;; amdgpu-corpus repo=ROCm/rocSPARSE kind=compiled arch=gfx1250 opt=O3
	.amdgcn_target "amdgcn-amd-amdhsa--gfx1250"
	.amdhsa_code_object_version 6
	.section	.text._ZN9rocsparseL18bsrxmvn_4x4_kernelILj128ELj4EfiifffEEvT3_20rocsparse_direction_NS_24const_host_device_scalarIT1_EES1_PKS1_PKT2_SA_S7_PKT4_PKT5_S5_PT6_21rocsparse_index_base_b,"axG",@progbits,_ZN9rocsparseL18bsrxmvn_4x4_kernelILj128ELj4EfiifffEEvT3_20rocsparse_direction_NS_24const_host_device_scalarIT1_EES1_PKS1_PKT2_SA_S7_PKT4_PKT5_S5_PT6_21rocsparse_index_base_b,comdat
	.globl	_ZN9rocsparseL18bsrxmvn_4x4_kernelILj128ELj4EfiifffEEvT3_20rocsparse_direction_NS_24const_host_device_scalarIT1_EES1_PKS1_PKT2_SA_S7_PKT4_PKT5_S5_PT6_21rocsparse_index_base_b ; -- Begin function _ZN9rocsparseL18bsrxmvn_4x4_kernelILj128ELj4EfiifffEEvT3_20rocsparse_direction_NS_24const_host_device_scalarIT1_EES1_PKS1_PKT2_SA_S7_PKT4_PKT5_S5_PT6_21rocsparse_index_base_b
	.p2align	8
	.type	_ZN9rocsparseL18bsrxmvn_4x4_kernelILj128ELj4EfiifffEEvT3_20rocsparse_direction_NS_24const_host_device_scalarIT1_EES1_PKS1_PKT2_SA_S7_PKT4_PKT5_S5_PT6_21rocsparse_index_base_b,@function
_ZN9rocsparseL18bsrxmvn_4x4_kernelILj128ELj4EfiifffEEvT3_20rocsparse_direction_NS_24const_host_device_scalarIT1_EES1_PKS1_PKT2_SA_S7_PKT4_PKT5_S5_PT6_21rocsparse_index_base_b: ; @_ZN9rocsparseL18bsrxmvn_4x4_kernelILj128ELj4EfiifffEEvT3_20rocsparse_direction_NS_24const_host_device_scalarIT1_EES1_PKS1_PKT2_SA_S7_PKT4_PKT5_S5_PT6_21rocsparse_index_base_b
; %bb.0:
	s_clause 0x2
	s_load_b64 s[16:17], s[0:1], 0x58
	s_load_b64 s[12:13], s[0:1], 0x8
	;; [unrolled: 1-line block ×3, first 2 shown]
	s_wait_kmcnt 0x0
	s_bitcmp1_b32 s17, 0
	s_cselect_b32 s2, -1, 0
	s_delay_alu instid0(SALU_CYCLE_1)
	s_and_b32 vcc_lo, exec_lo, s2
	s_xor_b32 s2, s2, -1
	s_cbranch_vccnz .LBB0_2
; %bb.1:
	s_load_b32 s12, s[12:13], 0x0
.LBB0_2:
	s_and_not1_b32 vcc_lo, exec_lo, s2
	s_cbranch_vccnz .LBB0_4
; %bb.3:
	s_load_b32 s14, s[14:15], 0x0
.LBB0_4:
	s_wait_kmcnt 0x0
	s_cmp_neq_f32 s12, 0
	s_mov_b32 s6, 0
	s_cselect_b32 s2, -1, 0
	s_cmp_neq_f32 s14, 1.0
	s_cselect_b32 s3, -1, 0
	s_delay_alu instid0(SALU_CYCLE_1) | instskip(NEXT) | instid1(SALU_CYCLE_1)
	s_or_b32 s2, s2, s3
	s_and_not1_b32 vcc_lo, exec_lo, s2
	s_cbranch_vccnz .LBB0_10
; %bb.5:
	s_clause 0x1
	s_load_b64 s[4:5], s[0:1], 0x18
	s_load_b64 s[2:3], s[0:1], 0x0
	s_bfe_u32 s7, ttmp6, 0x4000c
	s_and_b32 s8, ttmp6, 15
	s_add_co_i32 s7, s7, 1
	s_getreg_b32 s9, hwreg(HW_REG_IB_STS2, 6, 4)
	s_mul_i32 s7, ttmp9, s7
	v_lshrrev_b32_e32 v1, 2, v0
	s_add_co_i32 s8, s8, s7
	s_cmp_eq_u32 s9, 0
	s_cselect_b32 s7, ttmp9, s8
	s_delay_alu instid0(VALU_DEP_1) | instid1(SALU_CYCLE_1)
	v_lshl_or_b32 v2, s7, 5, v1
	s_wait_kmcnt 0x0
	s_cmp_lg_u64 s[4:5], 0
	s_cbranch_scc0 .LBB0_11
; %bb.6:
	s_load_b32 s6, s[0:1], 0x10
	s_mov_b32 s7, 0
                                        ; implicit-def: $vgpr1
	s_wait_kmcnt 0x0
	v_cmp_gt_i32_e32 vcc_lo, s6, v2
	s_mov_b32 s6, 0
	s_and_saveexec_b32 s8, vcc_lo
	s_delay_alu instid0(SALU_CYCLE_1)
	s_xor_b32 s8, exec_lo, s8
	s_cbranch_execz .LBB0_8
; %bb.7:
	global_load_b32 v1, v2, s[4:5] scale_offset
	s_mov_b32 s6, exec_lo
	s_wait_loadcnt 0x0
	v_subrev_nc_u32_e32 v1, s16, v1
.LBB0_8:
	s_or_b32 exec_lo, exec_lo, s8
	s_delay_alu instid0(SALU_CYCLE_1)
	s_and_b32 vcc_lo, exec_lo, s7
	s_cbranch_vccz .LBB0_12
.LBB0_9:
	v_cmp_gt_i32_e32 vcc_lo, s2, v2
	s_and_not1_b32 s2, s6, exec_lo
	s_and_b32 s4, vcc_lo, exec_lo
	s_delay_alu instid0(SALU_CYCLE_1) | instskip(NEXT) | instid1(SALU_CYCLE_1)
	s_or_b32 s6, s2, s4
	s_and_saveexec_b32 s2, s6
	s_cbranch_execnz .LBB0_13
.LBB0_10:
	s_sendmsg sendmsg(MSG_DEALLOC_VGPRS)
	s_endpgm
.LBB0_11:
                                        ; implicit-def: $vgpr1
	s_cbranch_execnz .LBB0_9
.LBB0_12:
	s_delay_alu instid0(VALU_DEP_1)
	v_mov_b32_e32 v2, v1
	s_and_saveexec_b32 s2, s6
	s_cbranch_execz .LBB0_10
.LBB0_13:
	s_load_b256 s[4:11], s[0:1], 0x20
	s_wait_kmcnt 0x0
	s_cmp_eq_u64 s[6:7], 0
	global_load_b32 v12, v2, s[4:5] scale_offset
	s_cselect_b32 vcc_lo, -1, 0
	v_ashrrev_i32_e32 v3, 31, v2
	s_cmp_eq_u32 s3, 1
	s_delay_alu instid0(VALU_DEP_1) | instskip(SKIP_1) | instid1(VALU_DEP_2)
	v_lshlrev_b64_e32 v[4:5], 2, v[2:3]
	v_and_b32_e32 v3, 3, v0
	v_add_nc_u64_e32 v[6:7], s[4:5], v[4:5]
	v_add_nc_u64_e32 v[4:5], s[6:7], v[4:5]
	s_wait_xcnt 0x0
	s_load_b64 s[4:5], s[0:1], 0x40
	s_delay_alu instid0(VALU_DEP_2) | instskip(NEXT) | instid1(VALU_DEP_1)
	v_add_nc_u64_e32 v[6:7], 4, v[6:7]
	v_dual_cndmask_b32 v5, v5, v7 :: v_dual_cndmask_b32 v4, v4, v6
	global_load_b32 v6, v[4:5], off
	s_wait_loadcnt 0x1
	v_subrev_nc_u32_e32 v0, s16, v12
	s_delay_alu instid0(VALU_DEP_1) | instskip(NEXT) | instid1(VALU_DEP_1)
	v_add_nc_u32_e32 v0, v0, v3
	v_ashrrev_i32_e32 v1, 31, v0
	s_wait_xcnt 0x0
	s_delay_alu instid0(VALU_DEP_1) | instskip(NEXT) | instid1(VALU_DEP_1)
	v_lshlrev_b64_e32 v[4:5], 6, v[0:1]
	v_add_nc_u64_e32 v[4:5], s[10:11], v[4:5]
	s_wait_loadcnt 0x0
	v_subrev_nc_u32_e32 v1, s16, v6
	s_delay_alu instid0(VALU_DEP_1)
	v_cmp_lt_i32_e64 s2, v0, v1
	s_cbranch_scc1 .LBB0_25
; %bb.14:
	v_dual_mov_b32 v7, 0 :: v_dual_mov_b32 v6, 0
	v_dual_mov_b32 v9, 0 :: v_dual_mov_b32 v8, 0
	s_and_saveexec_b32 s3, s2
	s_cbranch_execz .LBB0_24
; %bb.15:
	v_add_nc_u32_e32 v6, v12, v3
	v_not_b32_e32 v7, v12
	v_mov_b64_e32 v[8:9], 0
	v_mov_b32_e32 v13, v0
	s_delay_alu instid0(VALU_DEP_4) | instskip(NEXT) | instid1(VALU_DEP_1)
	v_subrev_nc_u32_e32 v6, s16, v6
	v_add_max_i32_e64 v6, v6, 4, v1
	s_delay_alu instid0(VALU_DEP_1) | instskip(NEXT) | instid1(VALU_DEP_1)
	v_add3_u32 v6, s16, v6, v7
	v_sub_nc_u32_e32 v14, v6, v3
	v_mov_b64_e32 v[6:7], 0
	s_delay_alu instid0(VALU_DEP_2) | instskip(NEXT) | instid1(VALU_DEP_1)
	v_and_b32_e32 v10, 12, v14
	v_cmp_ne_u32_e32 vcc_lo, 12, v10
	v_mov_b64_e32 v[10:11], v[4:5]
	s_and_saveexec_b32 s6, vcc_lo
	s_cbranch_execz .LBB0_19
; %bb.16:
	v_dual_lshrrev_b32 v6, 2, v14 :: v_dual_mov_b32 v8, 0
	v_mov_b64_e32 v[10:11], v[4:5]
	s_mov_b32 s7, 0
	s_delay_alu instid0(VALU_DEP_2) | instskip(NEXT) | instid1(VALU_DEP_1)
	v_dual_mov_b32 v13, v0 :: v_dual_add_nc_u32 v6, 1, v6
	v_dual_mov_b32 v9, v8 :: v_dual_bitop2_b32 v7, 3, v6 bitop3:0x40
	s_delay_alu instid0(VALU_DEP_1)
	v_dual_mov_b32 v6, v8 :: v_dual_sub_nc_u32 v15, 0, v7
	v_mov_b32_e32 v7, v8
.LBB0_17:                               ; =>This Inner Loop Header: Depth=1
	global_load_b32 v16, v13, s[8:9] scale_offset
	v_add_co_u32 v15, s10, v15, 1
	s_or_b32 s7, s10, s7
	s_wait_xcnt 0x0
	v_add_nc_u32_e32 v13, 4, v13
	s_wait_loadcnt 0x0
	v_subrev_nc_u32_e32 v16, s16, v16
	s_delay_alu instid0(VALU_DEP_1)
	v_lshlrev_b32_e32 v32, 2, v16
	s_clause 0x3
	global_load_b128 v[16:19], v[10:11], off offset:16
	global_load_b128 v[20:23], v[10:11], off
	global_load_b128 v[24:27], v[10:11], off offset:48
	global_load_b128 v[28:31], v[10:11], off offset:32
	s_wait_xcnt 0x0
	v_add_nc_u64_e32 v[10:11], 0x100, v[10:11]
	s_wait_loadcnt 0x2
	v_dual_mov_b32 v36, v20 :: v_dual_ashrrev_i32 v33, 31, v32
	s_wait_loadcnt 0x0
	v_dual_mov_b32 v37, v16 :: v_dual_mov_b32 v38, v28
	v_dual_mov_b32 v39, v24 :: v_dual_mov_b32 v16, v21
	v_mov_b32_e32 v20, v22
	s_wait_kmcnt 0x0
	v_lshl_add_u64 v[32:33], v[32:33], 2, s[4:5]
	v_dual_mov_b32 v24, v29 :: v_dual_mov_b32 v21, v18
	v_dual_mov_b32 v28, v30 :: v_dual_mov_b32 v29, v26
	global_load_b128 v[32:35], v[32:33], off
	v_dual_mov_b32 v18, v23 :: v_dual_mov_b32 v26, v31
	s_wait_loadcnt 0x0
	v_pk_fma_f32 v[8:9], v[36:37], v[32:33], v[8:9] op_sel_hi:[1,0,1]
	v_pk_fma_f32 v[6:7], v[38:39], v[32:33], v[6:7] op_sel_hi:[1,0,1]
	s_delay_alu instid0(VALU_DEP_2) | instskip(NEXT) | instid1(VALU_DEP_2)
	v_pk_fma_f32 v[8:9], v[16:17], v[32:33], v[8:9] op_sel:[0,1,0]
	v_pk_fma_f32 v[6:7], v[24:25], v[32:33], v[6:7] op_sel:[0,1,0]
	v_mov_b32_e32 v16, v35
	s_delay_alu instid0(VALU_DEP_3) | instskip(NEXT) | instid1(VALU_DEP_3)
	v_pk_fma_f32 v[8:9], v[20:21], v[34:35], v[8:9] op_sel_hi:[1,0,1]
	v_pk_fma_f32 v[6:7], v[28:29], v[34:35], v[6:7] op_sel_hi:[1,0,1]
	s_delay_alu instid0(VALU_DEP_2) | instskip(NEXT) | instid1(VALU_DEP_2)
	v_pk_fma_f32 v[8:9], v[18:19], v[16:17], v[8:9] op_sel_hi:[1,0,1]
	v_pk_fma_f32 v[6:7], v[26:27], v[16:17], v[6:7] op_sel_hi:[1,0,1]
	s_and_not1_b32 exec_lo, exec_lo, s7
	s_cbranch_execnz .LBB0_17
; %bb.18:
	s_or_b32 exec_lo, exec_lo, s7
.LBB0_19:
	s_delay_alu instid0(SALU_CYCLE_1) | instskip(NEXT) | instid1(SALU_CYCLE_1)
	s_or_b32 exec_lo, exec_lo, s6
	s_mov_b32 s6, exec_lo
	v_cmpx_lt_u32_e32 11, v14
	s_cbranch_execz .LBB0_23
; %bb.20:
	s_mov_b32 s7, 0
.LBB0_21:                               ; =>This Inner Loop Header: Depth=1
	s_clause 0x7
	global_load_b128 v[14:17], v[10:11], off
	global_load_b128 v[18:21], v[10:11], off offset:16
	global_load_b128 v[22:25], v[10:11], off offset:32
	;; [unrolled: 1-line block ×7, first 2 shown]
	s_clause 0x1
	global_load_b32 v68, v13, s[8:9] scale_offset
	global_load_b32 v70, v13, s[8:9] offset:16 scale_offset
	s_clause 0x1
	global_load_b128 v[46:49], v[10:11], off offset:560
	global_load_b128 v[50:53], v[10:11], off offset:544
	s_clause 0x1
	global_load_b32 v71, v13, s[8:9] offset:32 scale_offset
	global_load_b32 v72, v13, s[8:9] offset:48 scale_offset
	s_wait_xcnt 0x0
	v_add_nc_u32_e32 v13, 16, v13
	s_delay_alu instid0(VALU_DEP_1)
	v_cmp_ge_i32_e32 vcc_lo, v13, v1
	s_or_b32 s7, vcc_lo, s7
	s_wait_loadcnt 0xc
	v_dual_mov_b32 v54, v14 :: v_dual_mov_b32 v55, v18
	v_dual_mov_b32 v18, v15 :: v_dual_mov_b32 v56, v16
	v_dual_mov_b32 v57, v20 :: v_dual_mov_b32 v20, v17
	s_wait_loadcnt 0x8
	v_dual_mov_b32 v62, v30 :: v_dual_mov_b32 v63, v34
	s_wait_loadcnt 0x5
	v_subrev_nc_u32_e32 v14, s16, v68
	s_wait_loadcnt 0x4
	v_subrev_nc_u32_e32 v15, s16, v70
	v_dual_mov_b32 v34, v31 :: v_dual_mov_b32 v64, v32
	v_dual_mov_b32 v65, v36 :: v_dual_mov_b32 v36, v33
	s_delay_alu instid0(VALU_DEP_3) | instskip(SKIP_2) | instid1(VALU_DEP_3)
	v_dual_lshlrev_b32 v14, 2, v14 :: v_dual_lshlrev_b32 v16, 2, v15
	v_dual_mov_b32 v58, v22 :: v_dual_mov_b32 v59, v26
	v_dual_mov_b32 v26, v23 :: v_dual_mov_b32 v60, v24
	v_dual_ashrrev_i32 v15, 31, v14 :: v_dual_ashrrev_i32 v17, 31, v16
	v_dual_mov_b32 v61, v28 :: v_dual_mov_b32 v28, v25
	v_dual_mov_b32 v66, v38 :: v_dual_mov_b32 v67, v42
	s_wait_kmcnt 0x0
	s_delay_alu instid0(VALU_DEP_3)
	v_lshl_add_u64 v[30:31], v[14:15], 2, s[4:5]
	v_lshl_add_u64 v[32:33], v[16:17], 2, s[4:5]
	s_clause 0x1
	global_load_b128 v[14:17], v[30:31], off
	global_load_b128 v[22:25], v[32:33], off
	v_dual_mov_b32 v42, v39 :: v_dual_mov_b32 v68, v40
	v_dual_mov_b32 v69, v44 :: v_dual_mov_b32 v44, v41
	global_load_b128 v[30:33], v[10:11], off offset:528
	s_wait_loadcnt 0x2
	v_pk_fma_f32 v[8:9], v[54:55], v[14:15], v[8:9] op_sel_hi:[1,0,1]
	v_pk_fma_f32 v[38:39], v[58:59], v[14:15], v[6:7] op_sel_hi:[1,0,1]
	v_subrev_nc_u32_e32 v58, s16, v72
	s_delay_alu instid0(VALU_DEP_3) | instskip(NEXT) | instid1(VALU_DEP_3)
	v_pk_fma_f32 v[6:7], v[18:19], v[14:15], v[8:9] op_sel:[0,1,0]
	v_pk_fma_f32 v[14:15], v[26:27], v[14:15], v[38:39] op_sel:[0,1,0]
	s_delay_alu instid0(VALU_DEP_3) | instskip(NEXT) | instid1(VALU_DEP_3)
	v_dual_mov_b32 v38, v17 :: v_dual_lshlrev_b32 v58, 2, v58
	v_pk_fma_f32 v[18:19], v[56:57], v[16:17], v[6:7] op_sel_hi:[1,0,1]
	s_delay_alu instid0(VALU_DEP_3)
	v_pk_fma_f32 v[26:27], v[60:61], v[16:17], v[14:15] op_sel_hi:[1,0,1]
	global_load_b128 v[6:9], v[10:11], off offset:512
	v_ashrrev_i32_e32 v59, 31, v58
	global_load_b128 v[14:17], v[10:11], off offset:784
	v_pk_fma_f32 v[40:41], v[20:21], v[38:39], v[18:19] op_sel_hi:[1,0,1]
	v_subrev_nc_u32_e32 v39, s16, v71
	global_load_b128 v[18:21], v[10:11], off offset:768
	v_lshl_add_u64 v[58:59], v[58:59], 2, s[4:5]
	s_wait_loadcnt 0x4
	v_pk_fma_f32 v[56:57], v[62:63], v[22:23], v[40:41] op_sel_hi:[1,0,1]
	v_pk_fma_f32 v[54:55], v[28:29], v[38:39], v[26:27] op_sel_hi:[1,0,1]
	v_lshlrev_b32_e32 v38, 2, v39
	global_load_b128 v[26:29], v[10:11], off offset:800
	v_pk_fma_f32 v[34:35], v[34:35], v[22:23], v[56:57] op_sel:[0,1,0]
	v_pk_fma_f32 v[60:61], v[66:67], v[22:23], v[54:55] op_sel_hi:[1,0,1]
	v_ashrrev_i32_e32 v39, 31, v38
	global_load_b128 v[54:57], v[10:11], off offset:816
	s_wait_xcnt 0x0
	v_add_nc_u64_e32 v[10:11], 0x400, v[10:11]
	v_pk_fma_f32 v[34:35], v[64:65], v[24:25], v[34:35] op_sel_hi:[1,0,1]
	v_pk_fma_f32 v[22:23], v[42:43], v[22:23], v[60:61] op_sel:[0,1,0]
	v_lshl_add_u64 v[38:39], v[38:39], 2, s[4:5]
	global_load_b128 v[58:61], v[58:59], off
	s_wait_loadcnt 0x6
	v_mov_b32_e32 v43, v30
	v_pk_fma_f32 v[22:23], v[68:69], v[24:25], v[22:23] op_sel_hi:[1,0,1]
	global_load_b128 v[38:41], v[38:39], off
	s_wait_loadcnt 0x6
	v_dual_mov_b32 v24, v25 :: v_dual_mov_b32 v42, v6
	v_mov_b32_e32 v30, v7
	s_delay_alu instid0(VALU_DEP_2)
	v_pk_fma_f32 v[6:7], v[36:37], v[24:25], v[34:35] op_sel_hi:[1,0,1]
	v_dual_mov_b32 v34, v50 :: v_dual_mov_b32 v35, v46
	v_pk_fma_f32 v[22:23], v[44:45], v[24:25], v[22:23] op_sel_hi:[1,0,1]
	v_dual_mov_b32 v46, v51 :: v_dual_mov_b32 v24, v8
	v_dual_mov_b32 v25, v32 :: v_dual_mov_b32 v32, v9
	;; [unrolled: 1-line block ×3, first 2 shown]
	v_mov_b32_e32 v48, v53
	s_wait_loadcnt 0x0
	v_pk_fma_f32 v[6:7], v[42:43], v[38:39], v[6:7] op_sel_hi:[1,0,1]
	v_pk_fma_f32 v[22:23], v[34:35], v[38:39], v[22:23] op_sel_hi:[1,0,1]
	s_delay_alu instid0(VALU_DEP_2) | instskip(NEXT) | instid1(VALU_DEP_2)
	v_pk_fma_f32 v[6:7], v[30:31], v[38:39], v[6:7] op_sel:[0,1,0]
	v_pk_fma_f32 v[22:23], v[46:47], v[38:39], v[22:23] op_sel:[0,1,0]
	v_dual_mov_b32 v30, v18 :: v_dual_mov_b32 v18, v41
	v_mov_b32_e32 v31, v14
	s_delay_alu instid0(VALU_DEP_4) | instskip(NEXT) | instid1(VALU_DEP_4)
	v_pk_fma_f32 v[6:7], v[24:25], v[40:41], v[6:7] op_sel_hi:[1,0,1]
	v_pk_fma_f32 v[8:9], v[8:9], v[40:41], v[22:23] op_sel_hi:[1,0,1]
	v_dual_mov_b32 v22, v26 :: v_dual_mov_b32 v23, v54
	v_mov_b32_e32 v14, v19
	s_delay_alu instid0(VALU_DEP_4) | instskip(NEXT) | instid1(VALU_DEP_4)
	v_pk_fma_f32 v[6:7], v[32:33], v[18:19], v[6:7] op_sel_hi:[1,0,1]
	v_pk_fma_f32 v[8:9], v[48:49], v[18:19], v[8:9] op_sel_hi:[1,0,1]
	;; [unrolled: 5-line block ×3, first 2 shown]
	v_dual_mov_b32 v22, v28 :: v_dual_mov_b32 v23, v56
	v_dual_mov_b32 v16, v21 :: v_dual_mov_b32 v56, v29
	s_delay_alu instid0(VALU_DEP_4) | instskip(NEXT) | instid1(VALU_DEP_4)
	v_pk_fma_f32 v[6:7], v[14:15], v[58:59], v[6:7] op_sel:[0,1,0]
	v_pk_fma_f32 v[8:9], v[54:55], v[58:59], v[8:9] op_sel:[0,1,0]
	v_mov_b32_e32 v14, v61
	s_delay_alu instid0(VALU_DEP_3) | instskip(NEXT) | instid1(VALU_DEP_3)
	v_pk_fma_f32 v[6:7], v[18:19], v[60:61], v[6:7] op_sel_hi:[1,0,1]
	v_pk_fma_f32 v[18:19], v[22:23], v[60:61], v[8:9] op_sel_hi:[1,0,1]
	s_delay_alu instid0(VALU_DEP_2) | instskip(NEXT) | instid1(VALU_DEP_2)
	v_pk_fma_f32 v[8:9], v[16:17], v[14:15], v[6:7] op_sel_hi:[1,0,1]
	v_pk_fma_f32 v[6:7], v[56:57], v[14:15], v[18:19] op_sel_hi:[1,0,1]
	s_and_not1_b32 exec_lo, exec_lo, s7
	s_cbranch_execnz .LBB0_21
; %bb.22:
	s_or_b32 exec_lo, exec_lo, s7
.LBB0_23:
	s_delay_alu instid0(SALU_CYCLE_1)
	s_or_b32 exec_lo, exec_lo, s6
.LBB0_24:
	s_delay_alu instid0(SALU_CYCLE_1)
	s_or_b32 exec_lo, exec_lo, s3
	s_cbranch_execz .LBB0_26
	s_branch .LBB0_37
.LBB0_25:
                                        ; implicit-def: $vgpr7
                                        ; implicit-def: $vgpr9
.LBB0_26:
	v_dual_mov_b32 v7, 0 :: v_dual_mov_b32 v6, 0
	v_dual_mov_b32 v9, 0 :: v_dual_mov_b32 v8, 0
	s_and_saveexec_b32 s3, s2
	s_cbranch_execz .LBB0_36
; %bb.27:
	v_add_nc_u32_e32 v6, v12, v3
	v_not_b32_e32 v7, v12
	v_mov_b64_e32 v[8:9], 0
	s_mov_b32 s2, exec_lo
	s_delay_alu instid0(VALU_DEP_3) | instskip(NEXT) | instid1(VALU_DEP_1)
	v_subrev_nc_u32_e32 v6, s16, v6
	v_add_max_i32_e64 v6, v6, 4, v1
	s_delay_alu instid0(VALU_DEP_1) | instskip(NEXT) | instid1(VALU_DEP_1)
	v_add3_u32 v6, s16, v6, v7
	v_sub_nc_u32_e32 v10, v6, v3
	v_mov_b64_e32 v[6:7], 0
	s_delay_alu instid0(VALU_DEP_2) | instskip(NEXT) | instid1(VALU_DEP_1)
	v_and_b32_e32 v11, 12, v10
	v_cmpx_ne_u32_e32 12, v11
	s_cbranch_execz .LBB0_31
; %bb.28:
	v_dual_lshrrev_b32 v6, 2, v10 :: v_dual_mov_b32 v8, 0
	s_mov_b32 s6, 0
	s_delay_alu instid0(VALU_DEP_1) | instskip(NEXT) | instid1(VALU_DEP_1)
	v_dual_mov_b32 v9, v8 :: v_dual_add_nc_u32 v6, 1, v6
	v_dual_mov_b32 v6, v8 :: v_dual_bitop2_b32 v7, 3, v6 bitop3:0x40
	s_delay_alu instid0(VALU_DEP_1)
	v_dual_sub_nc_u32 v11, 0, v7 :: v_dual_mov_b32 v7, v8
.LBB0_29:                               ; =>This Inner Loop Header: Depth=1
	global_load_b32 v12, v0, s[8:9] scale_offset
	s_wait_xcnt 0x0
	v_add_nc_u32_e32 v0, 4, v0
	v_add_co_u32 v11, s7, v11, 1
	s_or_b32 s6, s7, s6
	s_wait_loadcnt 0x0
	v_subrev_nc_u32_e32 v12, s16, v12
	s_delay_alu instid0(VALU_DEP_1) | instskip(NEXT) | instid1(VALU_DEP_1)
	v_lshlrev_b32_e32 v12, 2, v12
	v_ashrrev_i32_e32 v13, 31, v12
	s_wait_kmcnt 0x0
	s_delay_alu instid0(VALU_DEP_1)
	v_lshl_add_u64 v[32:33], v[12:13], 2, s[4:5]
	s_clause 0x1
	global_load_b128 v[12:15], v[4:5], off offset:16
	global_load_b128 v[16:19], v[4:5], off
	global_load_b128 v[20:23], v[32:33], off
	s_clause 0x1
	global_load_b128 v[24:27], v[4:5], off offset:32
	global_load_b128 v[28:31], v[4:5], off offset:48
	s_wait_xcnt 0x0
	v_add_nc_u64_e32 v[4:5], 0x100, v[4:5]
	s_wait_loadcnt 0x2
	v_pk_fma_f32 v[8:9], v[16:17], v[20:21], v[8:9] op_sel_hi:[1,0,1]
	v_pk_fma_f32 v[6:7], v[18:19], v[20:21], v[6:7] op_sel_hi:[1,0,1]
	s_delay_alu instid0(VALU_DEP_2) | instskip(NEXT) | instid1(VALU_DEP_2)
	v_pk_fma_f32 v[8:9], v[12:13], v[20:21], v[8:9] op_sel:[0,1,0]
	v_pk_fma_f32 v[6:7], v[14:15], v[20:21], v[6:7] op_sel:[0,1,0]
	v_mov_b32_e32 v12, v23
	s_wait_loadcnt 0x1
	s_delay_alu instid0(VALU_DEP_3) | instskip(NEXT) | instid1(VALU_DEP_3)
	v_pk_fma_f32 v[8:9], v[24:25], v[22:23], v[8:9] op_sel_hi:[1,0,1]
	v_pk_fma_f32 v[6:7], v[26:27], v[22:23], v[6:7] op_sel_hi:[1,0,1]
	s_wait_loadcnt 0x0
	s_delay_alu instid0(VALU_DEP_2) | instskip(NEXT) | instid1(VALU_DEP_2)
	v_pk_fma_f32 v[8:9], v[28:29], v[12:13], v[8:9] op_sel_hi:[1,0,1]
	v_pk_fma_f32 v[6:7], v[30:31], v[12:13], v[6:7] op_sel_hi:[1,0,1]
	s_and_not1_b32 exec_lo, exec_lo, s6
	s_cbranch_execnz .LBB0_29
; %bb.30:
	s_or_b32 exec_lo, exec_lo, s6
.LBB0_31:
	s_delay_alu instid0(SALU_CYCLE_1) | instskip(NEXT) | instid1(SALU_CYCLE_1)
	s_or_b32 exec_lo, exec_lo, s2
	s_mov_b32 s2, exec_lo
	v_cmpx_lt_u32_e32 11, v10
	s_cbranch_execz .LBB0_35
; %bb.32:
	s_mov_b32 s6, 0
.LBB0_33:                               ; =>This Inner Loop Header: Depth=1
	s_clause 0x2
	global_load_b32 v38, v0, s[8:9] scale_offset
	global_load_b32 v39, v0, s[8:9] offset:16 scale_offset
	global_load_b32 v40, v0, s[8:9] offset:32 scale_offset
	s_clause 0x6
	global_load_b128 v[10:13], v[4:5], off offset:48
	global_load_b128 v[14:17], v[4:5], off offset:32
	;; [unrolled: 1-line block ×3, first 2 shown]
	global_load_b128 v[22:25], v[4:5], off
	global_load_b128 v[26:29], v[4:5], off offset:288
	global_load_b128 v[30:33], v[4:5], off offset:272
	;; [unrolled: 1-line block ×3, first 2 shown]
	global_load_b32 v62, v0, s[8:9] offset:48 scale_offset
	s_wait_xcnt 0x0
	v_add_nc_u32_e32 v0, 16, v0
	s_delay_alu instid0(VALU_DEP_1)
	v_cmp_ge_i32_e32 vcc_lo, v0, v1
	s_or_b32 s6, vcc_lo, s6
	s_wait_loadcnt 0xa
	v_subrev_nc_u32_e32 v38, s16, v38
	s_wait_loadcnt 0x9
	v_subrev_nc_u32_e32 v39, s16, v39
	;; [unrolled: 2-line block ×3, first 2 shown]
	s_delay_alu instid0(VALU_DEP_2) | instskip(NEXT) | instid1(VALU_DEP_1)
	v_dual_lshlrev_b32 v38, 2, v38 :: v_dual_lshlrev_b32 v40, 2, v39
	v_dual_ashrrev_i32 v39, 31, v38 :: v_dual_ashrrev_i32 v41, 31, v40
	s_wait_kmcnt 0x0
	s_delay_alu instid0(VALU_DEP_1) | instskip(NEXT) | instid1(VALU_DEP_2)
	v_lshl_add_u64 v[58:59], v[38:39], 2, s[4:5]
	v_lshl_add_u64 v[60:61], v[40:41], 2, s[4:5]
	s_clause 0x1
	global_load_b128 v[38:41], v[58:59], off
	global_load_b128 v[42:45], v[60:61], off
	s_clause 0x2
	global_load_b128 v[46:49], v[4:5], off offset:304
	global_load_b128 v[50:53], v[4:5], off offset:560
	;; [unrolled: 1-line block ×3, first 2 shown]
	s_wait_xcnt 0x4
	v_lshlrev_b32_e32 v58, 2, v63
	s_delay_alu instid0(VALU_DEP_1)
	v_ashrrev_i32_e32 v59, 31, v58
	s_wait_loadcnt 0x4
	v_pk_fma_f32 v[22:23], v[22:23], v[38:39], v[8:9] op_sel_hi:[1,0,1]
	v_pk_fma_f32 v[24:25], v[24:25], v[38:39], v[6:7] op_sel_hi:[1,0,1]
	global_load_b128 v[6:9], v[4:5], off offset:528
	v_pk_fma_f32 v[22:23], v[18:19], v[38:39], v[22:23] op_sel:[0,1,0]
	v_pk_fma_f32 v[24:25], v[20:21], v[38:39], v[24:25] op_sel:[0,1,0]
	v_lshl_add_u64 v[38:39], v[58:59], 2, s[4:5]
	global_load_b128 v[18:21], v[4:5], off offset:512
	v_subrev_nc_u32_e32 v58, s16, v62
	v_pk_fma_f32 v[22:23], v[14:15], v[40:41], v[22:23] op_sel_hi:[1,0,1]
	v_pk_fma_f32 v[24:25], v[16:17], v[40:41], v[24:25] op_sel_hi:[1,0,1]
	global_load_b128 v[14:17], v[38:39], off
	s_wait_xcnt 0x0
	v_dual_mov_b32 v40, v41 :: v_dual_lshlrev_b32 v38, 2, v58
	s_delay_alu instid0(VALU_DEP_1) | instskip(NEXT) | instid1(VALU_DEP_2)
	v_pk_fma_f32 v[58:59], v[10:11], v[40:41], v[22:23] op_sel_hi:[1,0,1]
	v_ashrrev_i32_e32 v39, 31, v38
	v_pk_fma_f32 v[40:41], v[12:13], v[40:41], v[24:25] op_sel_hi:[1,0,1]
	s_clause 0x1
	global_load_b128 v[10:13], v[4:5], off offset:784
	global_load_b128 v[22:25], v[4:5], off offset:768
	s_wait_loadcnt 0x8
	v_pk_fma_f32 v[58:59], v[34:35], v[42:43], v[58:59] op_sel_hi:[1,0,1]
	v_lshl_add_u64 v[38:39], v[38:39], 2, s[4:5]
	v_pk_fma_f32 v[40:41], v[36:37], v[42:43], v[40:41] op_sel_hi:[1,0,1]
	global_load_b128 v[34:37], v[38:39], off
	s_wait_xcnt 0x0
	v_pk_fma_f32 v[38:39], v[30:31], v[42:43], v[58:59] op_sel:[0,1,0]
	v_pk_fma_f32 v[40:41], v[32:33], v[42:43], v[40:41] op_sel:[0,1,0]
	global_load_b128 v[30:33], v[4:5], off offset:800
	v_mov_b32_e32 v42, v45
	v_pk_fma_f32 v[38:39], v[26:27], v[44:45], v[38:39] op_sel_hi:[1,0,1]
	v_pk_fma_f32 v[40:41], v[28:29], v[44:45], v[40:41] op_sel_hi:[1,0,1]
	global_load_b128 v[26:29], v[4:5], off offset:816
	s_wait_xcnt 0x0
	v_add_nc_u64_e32 v[4:5], 0x400, v[4:5]
	s_wait_loadcnt 0xa
	v_pk_fma_f32 v[38:39], v[46:47], v[42:43], v[38:39] op_sel_hi:[1,0,1]
	v_pk_fma_f32 v[40:41], v[48:49], v[42:43], v[40:41] op_sel_hi:[1,0,1]
	s_wait_loadcnt 0x5
	s_delay_alu instid0(VALU_DEP_2) | instskip(NEXT) | instid1(VALU_DEP_2)
	v_pk_fma_f32 v[18:19], v[18:19], v[14:15], v[38:39] op_sel_hi:[1,0,1]
	v_pk_fma_f32 v[20:21], v[20:21], v[14:15], v[40:41] op_sel_hi:[1,0,1]
	s_delay_alu instid0(VALU_DEP_2) | instskip(NEXT) | instid1(VALU_DEP_2)
	v_pk_fma_f32 v[6:7], v[6:7], v[14:15], v[18:19] op_sel:[0,1,0]
	v_pk_fma_f32 v[8:9], v[8:9], v[14:15], v[20:21] op_sel:[0,1,0]
	v_mov_b32_e32 v14, v17
	s_delay_alu instid0(VALU_DEP_3) | instskip(NEXT) | instid1(VALU_DEP_3)
	v_pk_fma_f32 v[6:7], v[54:55], v[16:17], v[6:7] op_sel_hi:[1,0,1]
	v_pk_fma_f32 v[8:9], v[56:57], v[16:17], v[8:9] op_sel_hi:[1,0,1]
	s_delay_alu instid0(VALU_DEP_2) | instskip(NEXT) | instid1(VALU_DEP_2)
	v_pk_fma_f32 v[6:7], v[50:51], v[14:15], v[6:7] op_sel_hi:[1,0,1]
	v_pk_fma_f32 v[8:9], v[52:53], v[14:15], v[8:9] op_sel_hi:[1,0,1]
	s_wait_loadcnt 0x2
	s_delay_alu instid0(VALU_DEP_2) | instskip(NEXT) | instid1(VALU_DEP_2)
	v_pk_fma_f32 v[6:7], v[22:23], v[34:35], v[6:7] op_sel_hi:[1,0,1]
	v_pk_fma_f32 v[8:9], v[24:25], v[34:35], v[8:9] op_sel_hi:[1,0,1]
	s_delay_alu instid0(VALU_DEP_2) | instskip(NEXT) | instid1(VALU_DEP_2)
	v_pk_fma_f32 v[6:7], v[10:11], v[34:35], v[6:7] op_sel:[0,1,0]
	v_pk_fma_f32 v[8:9], v[12:13], v[34:35], v[8:9] op_sel:[0,1,0]
	v_mov_b32_e32 v10, v37
	s_wait_loadcnt 0x1
	s_delay_alu instid0(VALU_DEP_3) | instskip(NEXT) | instid1(VALU_DEP_3)
	v_pk_fma_f32 v[6:7], v[30:31], v[36:37], v[6:7] op_sel_hi:[1,0,1]
	v_pk_fma_f32 v[12:13], v[32:33], v[36:37], v[8:9] op_sel_hi:[1,0,1]
	s_wait_loadcnt 0x0
	s_delay_alu instid0(VALU_DEP_2) | instskip(NEXT) | instid1(VALU_DEP_2)
	v_pk_fma_f32 v[8:9], v[26:27], v[10:11], v[6:7] op_sel_hi:[1,0,1]
	v_pk_fma_f32 v[6:7], v[28:29], v[10:11], v[12:13] op_sel_hi:[1,0,1]
	s_and_not1_b32 exec_lo, exec_lo, s6
	s_cbranch_execnz .LBB0_33
; %bb.34:
	s_or_b32 exec_lo, exec_lo, s6
.LBB0_35:
	s_delay_alu instid0(SALU_CYCLE_1)
	s_or_b32 exec_lo, exec_lo, s2
.LBB0_36:
	s_delay_alu instid0(SALU_CYCLE_1)
	s_or_b32 exec_lo, exec_lo, s3
.LBB0_37:
	v_mbcnt_lo_u32_b32 v10, -1, 0
	s_mov_b32 s2, -1
	s_delay_alu instid0(VALU_DEP_1) | instskip(SKIP_1) | instid1(VALU_DEP_1)
	v_xor_b32_e32 v11, 1, v10
	v_xor_b32_e32 v0, 2, v10
	v_cmp_gt_i32_e32 vcc_lo, 32, v0
	v_cndmask_b32_e32 v0, v10, v0, vcc_lo
	s_delay_alu instid0(VALU_DEP_4) | instskip(SKIP_2) | instid1(VALU_DEP_2)
	v_cmp_gt_i32_e32 vcc_lo, 32, v11
	v_cndmask_b32_e32 v10, v10, v11, vcc_lo
	v_cmp_eq_u32_e32 vcc_lo, 3, v3
	v_dual_lshlrev_b32 v10, 2, v10 :: v_dual_lshlrev_b32 v5, 2, v0
	ds_bpermute_b32 v0, v5, v8
	ds_bpermute_b32 v1, v5, v9
	;; [unrolled: 1-line block ×4, first 2 shown]
	s_wait_dscnt 0x2
	v_pk_add_f32 v[0:1], v[8:9], v[0:1]
	s_wait_dscnt 0x0
	v_pk_add_f32 v[6:7], v[6:7], v[4:5]
	ds_bpermute_b32 v4, v10, v0
	ds_bpermute_b32 v5, v10, v1
	;; [unrolled: 1-line block ×4, first 2 shown]
	s_and_b32 exec_lo, exec_lo, vcc_lo
	s_cbranch_execz .LBB0_10
; %bb.38:
	s_load_b64 s[0:1], s[0:1], 0x50
	s_wait_dscnt 0x2
	v_pk_add_f32 v[4:5], v[0:1], v[4:5]
	s_wait_dscnt 0x0
	v_pk_add_f32 v[0:1], v[6:7], v[8:9]
	v_lshlrev_b32_e32 v2, 2, v2
	s_cmp_eq_f32 s14, 0
	s_cbranch_scc0 .LBB0_40
; %bb.39:
	s_delay_alu instid0(VALU_DEP_1)
	v_ashrrev_i32_e32 v3, 31, v2
	v_pk_mul_f32 v[6:7], s[12:13], v[4:5] op_sel_hi:[0,1]
	v_pk_mul_f32 v[8:9], s[12:13], v[0:1] op_sel_hi:[0,1]
	s_mov_b32 s2, 0
	s_wait_kmcnt 0x0
	v_lshl_add_u64 v[10:11], v[2:3], 2, s[0:1]
	global_store_b128 v[10:11], v[6:9], off
.LBB0_40:
	s_and_not1_b32 vcc_lo, exec_lo, s2
	s_cbranch_vccnz .LBB0_10
; %bb.41:
	v_ashrrev_i32_e32 v3, 31, v2
	s_wait_kmcnt 0x0
	s_delay_alu instid0(VALU_DEP_1)
	v_lshl_add_u64 v[10:11], v[2:3], 2, s[0:1]
	v_pk_mul_f32 v[2:3], s[12:13], v[4:5] op_sel_hi:[0,1]
	v_pk_mul_f32 v[4:5], s[12:13], v[0:1] op_sel_hi:[0,1]
	global_load_b128 v[6:9], v[10:11], off
	s_wait_loadcnt 0x0
	v_pk_fma_f32 v[0:1], s[14:15], v[6:7], v[2:3] op_sel_hi:[0,1,1]
	v_pk_fma_f32 v[2:3], s[14:15], v[8:9], v[4:5] op_sel_hi:[0,1,1]
	global_store_b128 v[10:11], v[0:3], off
	s_sendmsg sendmsg(MSG_DEALLOC_VGPRS)
	s_endpgm
	.section	.rodata,"a",@progbits
	.p2align	6, 0x0
	.amdhsa_kernel _ZN9rocsparseL18bsrxmvn_4x4_kernelILj128ELj4EfiifffEEvT3_20rocsparse_direction_NS_24const_host_device_scalarIT1_EES1_PKS1_PKT2_SA_S7_PKT4_PKT5_S5_PT6_21rocsparse_index_base_b
		.amdhsa_group_segment_fixed_size 0
		.amdhsa_private_segment_fixed_size 0
		.amdhsa_kernarg_size 96
		.amdhsa_user_sgpr_count 2
		.amdhsa_user_sgpr_dispatch_ptr 0
		.amdhsa_user_sgpr_queue_ptr 0
		.amdhsa_user_sgpr_kernarg_segment_ptr 1
		.amdhsa_user_sgpr_dispatch_id 0
		.amdhsa_user_sgpr_kernarg_preload_length 0
		.amdhsa_user_sgpr_kernarg_preload_offset 0
		.amdhsa_user_sgpr_private_segment_size 0
		.amdhsa_wavefront_size32 1
		.amdhsa_uses_dynamic_stack 0
		.amdhsa_enable_private_segment 0
		.amdhsa_system_sgpr_workgroup_id_x 1
		.amdhsa_system_sgpr_workgroup_id_y 0
		.amdhsa_system_sgpr_workgroup_id_z 0
		.amdhsa_system_sgpr_workgroup_info 0
		.amdhsa_system_vgpr_workitem_id 0
		.amdhsa_next_free_vgpr 73
		.amdhsa_next_free_sgpr 18
		.amdhsa_named_barrier_count 0
		.amdhsa_reserve_vcc 1
		.amdhsa_float_round_mode_32 0
		.amdhsa_float_round_mode_16_64 0
		.amdhsa_float_denorm_mode_32 3
		.amdhsa_float_denorm_mode_16_64 3
		.amdhsa_fp16_overflow 0
		.amdhsa_memory_ordered 1
		.amdhsa_forward_progress 1
		.amdhsa_inst_pref_size 29
		.amdhsa_round_robin_scheduling 0
		.amdhsa_exception_fp_ieee_invalid_op 0
		.amdhsa_exception_fp_denorm_src 0
		.amdhsa_exception_fp_ieee_div_zero 0
		.amdhsa_exception_fp_ieee_overflow 0
		.amdhsa_exception_fp_ieee_underflow 0
		.amdhsa_exception_fp_ieee_inexact 0
		.amdhsa_exception_int_div_zero 0
	.end_amdhsa_kernel
	.section	.text._ZN9rocsparseL18bsrxmvn_4x4_kernelILj128ELj4EfiifffEEvT3_20rocsparse_direction_NS_24const_host_device_scalarIT1_EES1_PKS1_PKT2_SA_S7_PKT4_PKT5_S5_PT6_21rocsparse_index_base_b,"axG",@progbits,_ZN9rocsparseL18bsrxmvn_4x4_kernelILj128ELj4EfiifffEEvT3_20rocsparse_direction_NS_24const_host_device_scalarIT1_EES1_PKS1_PKT2_SA_S7_PKT4_PKT5_S5_PT6_21rocsparse_index_base_b,comdat
.Lfunc_end0:
	.size	_ZN9rocsparseL18bsrxmvn_4x4_kernelILj128ELj4EfiifffEEvT3_20rocsparse_direction_NS_24const_host_device_scalarIT1_EES1_PKS1_PKT2_SA_S7_PKT4_PKT5_S5_PT6_21rocsparse_index_base_b, .Lfunc_end0-_ZN9rocsparseL18bsrxmvn_4x4_kernelILj128ELj4EfiifffEEvT3_20rocsparse_direction_NS_24const_host_device_scalarIT1_EES1_PKS1_PKT2_SA_S7_PKT4_PKT5_S5_PT6_21rocsparse_index_base_b
                                        ; -- End function
	.set _ZN9rocsparseL18bsrxmvn_4x4_kernelILj128ELj4EfiifffEEvT3_20rocsparse_direction_NS_24const_host_device_scalarIT1_EES1_PKS1_PKT2_SA_S7_PKT4_PKT5_S5_PT6_21rocsparse_index_base_b.num_vgpr, 73
	.set _ZN9rocsparseL18bsrxmvn_4x4_kernelILj128ELj4EfiifffEEvT3_20rocsparse_direction_NS_24const_host_device_scalarIT1_EES1_PKS1_PKT2_SA_S7_PKT4_PKT5_S5_PT6_21rocsparse_index_base_b.num_agpr, 0
	.set _ZN9rocsparseL18bsrxmvn_4x4_kernelILj128ELj4EfiifffEEvT3_20rocsparse_direction_NS_24const_host_device_scalarIT1_EES1_PKS1_PKT2_SA_S7_PKT4_PKT5_S5_PT6_21rocsparse_index_base_b.numbered_sgpr, 18
	.set _ZN9rocsparseL18bsrxmvn_4x4_kernelILj128ELj4EfiifffEEvT3_20rocsparse_direction_NS_24const_host_device_scalarIT1_EES1_PKS1_PKT2_SA_S7_PKT4_PKT5_S5_PT6_21rocsparse_index_base_b.num_named_barrier, 0
	.set _ZN9rocsparseL18bsrxmvn_4x4_kernelILj128ELj4EfiifffEEvT3_20rocsparse_direction_NS_24const_host_device_scalarIT1_EES1_PKS1_PKT2_SA_S7_PKT4_PKT5_S5_PT6_21rocsparse_index_base_b.private_seg_size, 0
	.set _ZN9rocsparseL18bsrxmvn_4x4_kernelILj128ELj4EfiifffEEvT3_20rocsparse_direction_NS_24const_host_device_scalarIT1_EES1_PKS1_PKT2_SA_S7_PKT4_PKT5_S5_PT6_21rocsparse_index_base_b.uses_vcc, 1
	.set _ZN9rocsparseL18bsrxmvn_4x4_kernelILj128ELj4EfiifffEEvT3_20rocsparse_direction_NS_24const_host_device_scalarIT1_EES1_PKS1_PKT2_SA_S7_PKT4_PKT5_S5_PT6_21rocsparse_index_base_b.uses_flat_scratch, 0
	.set _ZN9rocsparseL18bsrxmvn_4x4_kernelILj128ELj4EfiifffEEvT3_20rocsparse_direction_NS_24const_host_device_scalarIT1_EES1_PKS1_PKT2_SA_S7_PKT4_PKT5_S5_PT6_21rocsparse_index_base_b.has_dyn_sized_stack, 0
	.set _ZN9rocsparseL18bsrxmvn_4x4_kernelILj128ELj4EfiifffEEvT3_20rocsparse_direction_NS_24const_host_device_scalarIT1_EES1_PKS1_PKT2_SA_S7_PKT4_PKT5_S5_PT6_21rocsparse_index_base_b.has_recursion, 0
	.set _ZN9rocsparseL18bsrxmvn_4x4_kernelILj128ELj4EfiifffEEvT3_20rocsparse_direction_NS_24const_host_device_scalarIT1_EES1_PKS1_PKT2_SA_S7_PKT4_PKT5_S5_PT6_21rocsparse_index_base_b.has_indirect_call, 0
	.section	.AMDGPU.csdata,"",@progbits
; Kernel info:
; codeLenInByte = 3644
; TotalNumSgprs: 20
; NumVgprs: 73
; ScratchSize: 0
; MemoryBound: 1
; FloatMode: 240
; IeeeMode: 1
; LDSByteSize: 0 bytes/workgroup (compile time only)
; SGPRBlocks: 0
; VGPRBlocks: 4
; NumSGPRsForWavesPerEU: 20
; NumVGPRsForWavesPerEU: 73
; NamedBarCnt: 0
; Occupancy: 12
; WaveLimiterHint : 1
; COMPUTE_PGM_RSRC2:SCRATCH_EN: 0
; COMPUTE_PGM_RSRC2:USER_SGPR: 2
; COMPUTE_PGM_RSRC2:TRAP_HANDLER: 0
; COMPUTE_PGM_RSRC2:TGID_X_EN: 1
; COMPUTE_PGM_RSRC2:TGID_Y_EN: 0
; COMPUTE_PGM_RSRC2:TGID_Z_EN: 0
; COMPUTE_PGM_RSRC2:TIDIG_COMP_CNT: 0
	.section	.text._ZN9rocsparseL18bsrxmvn_4x4_kernelILj128ELj8EfiifffEEvT3_20rocsparse_direction_NS_24const_host_device_scalarIT1_EES1_PKS1_PKT2_SA_S7_PKT4_PKT5_S5_PT6_21rocsparse_index_base_b,"axG",@progbits,_ZN9rocsparseL18bsrxmvn_4x4_kernelILj128ELj8EfiifffEEvT3_20rocsparse_direction_NS_24const_host_device_scalarIT1_EES1_PKS1_PKT2_SA_S7_PKT4_PKT5_S5_PT6_21rocsparse_index_base_b,comdat
	.globl	_ZN9rocsparseL18bsrxmvn_4x4_kernelILj128ELj8EfiifffEEvT3_20rocsparse_direction_NS_24const_host_device_scalarIT1_EES1_PKS1_PKT2_SA_S7_PKT4_PKT5_S5_PT6_21rocsparse_index_base_b ; -- Begin function _ZN9rocsparseL18bsrxmvn_4x4_kernelILj128ELj8EfiifffEEvT3_20rocsparse_direction_NS_24const_host_device_scalarIT1_EES1_PKS1_PKT2_SA_S7_PKT4_PKT5_S5_PT6_21rocsparse_index_base_b
	.p2align	8
	.type	_ZN9rocsparseL18bsrxmvn_4x4_kernelILj128ELj8EfiifffEEvT3_20rocsparse_direction_NS_24const_host_device_scalarIT1_EES1_PKS1_PKT2_SA_S7_PKT4_PKT5_S5_PT6_21rocsparse_index_base_b,@function
_ZN9rocsparseL18bsrxmvn_4x4_kernelILj128ELj8EfiifffEEvT3_20rocsparse_direction_NS_24const_host_device_scalarIT1_EES1_PKS1_PKT2_SA_S7_PKT4_PKT5_S5_PT6_21rocsparse_index_base_b: ; @_ZN9rocsparseL18bsrxmvn_4x4_kernelILj128ELj8EfiifffEEvT3_20rocsparse_direction_NS_24const_host_device_scalarIT1_EES1_PKS1_PKT2_SA_S7_PKT4_PKT5_S5_PT6_21rocsparse_index_base_b
; %bb.0:
	s_clause 0x2
	s_load_b64 s[16:17], s[0:1], 0x58
	s_load_b64 s[12:13], s[0:1], 0x8
	;; [unrolled: 1-line block ×3, first 2 shown]
	s_wait_kmcnt 0x0
	s_bitcmp1_b32 s17, 0
	s_cselect_b32 s2, -1, 0
	s_delay_alu instid0(SALU_CYCLE_1)
	s_and_b32 vcc_lo, exec_lo, s2
	s_xor_b32 s2, s2, -1
	s_cbranch_vccnz .LBB1_2
; %bb.1:
	s_load_b32 s12, s[12:13], 0x0
.LBB1_2:
	s_and_not1_b32 vcc_lo, exec_lo, s2
	s_cbranch_vccnz .LBB1_4
; %bb.3:
	s_load_b32 s14, s[14:15], 0x0
.LBB1_4:
	s_wait_kmcnt 0x0
	s_cmp_neq_f32 s12, 0
	s_mov_b32 s6, 0
	s_cselect_b32 s2, -1, 0
	s_cmp_neq_f32 s14, 1.0
	s_cselect_b32 s3, -1, 0
	s_delay_alu instid0(SALU_CYCLE_1) | instskip(NEXT) | instid1(SALU_CYCLE_1)
	s_or_b32 s2, s2, s3
	s_and_not1_b32 vcc_lo, exec_lo, s2
	s_cbranch_vccnz .LBB1_10
; %bb.5:
	s_clause 0x1
	s_load_b64 s[4:5], s[0:1], 0x18
	s_load_b64 s[2:3], s[0:1], 0x0
	s_bfe_u32 s7, ttmp6, 0x4000c
	s_and_b32 s8, ttmp6, 15
	s_add_co_i32 s7, s7, 1
	s_getreg_b32 s9, hwreg(HW_REG_IB_STS2, 6, 4)
	s_mul_i32 s7, ttmp9, s7
	v_lshrrev_b32_e32 v1, 3, v0
	s_add_co_i32 s8, s8, s7
	s_cmp_eq_u32 s9, 0
	s_cselect_b32 s7, ttmp9, s8
	s_delay_alu instid0(VALU_DEP_1) | instid1(SALU_CYCLE_1)
	v_lshl_or_b32 v2, s7, 4, v1
	s_wait_kmcnt 0x0
	s_cmp_lg_u64 s[4:5], 0
	s_cbranch_scc0 .LBB1_11
; %bb.6:
	s_load_b32 s6, s[0:1], 0x10
	s_mov_b32 s7, 0
                                        ; implicit-def: $vgpr1
	s_wait_kmcnt 0x0
	v_cmp_gt_i32_e32 vcc_lo, s6, v2
	s_mov_b32 s6, 0
	s_and_saveexec_b32 s8, vcc_lo
	s_delay_alu instid0(SALU_CYCLE_1)
	s_xor_b32 s8, exec_lo, s8
	s_cbranch_execz .LBB1_8
; %bb.7:
	global_load_b32 v1, v2, s[4:5] scale_offset
	s_mov_b32 s6, exec_lo
	s_wait_loadcnt 0x0
	v_subrev_nc_u32_e32 v1, s16, v1
.LBB1_8:
	s_or_b32 exec_lo, exec_lo, s8
	s_delay_alu instid0(SALU_CYCLE_1)
	s_and_b32 vcc_lo, exec_lo, s7
	s_cbranch_vccz .LBB1_12
.LBB1_9:
	v_cmp_gt_i32_e32 vcc_lo, s2, v2
	s_and_not1_b32 s2, s6, exec_lo
	s_and_b32 s4, vcc_lo, exec_lo
	s_delay_alu instid0(SALU_CYCLE_1) | instskip(NEXT) | instid1(SALU_CYCLE_1)
	s_or_b32 s6, s2, s4
	s_and_saveexec_b32 s2, s6
	s_cbranch_execnz .LBB1_13
.LBB1_10:
	s_sendmsg sendmsg(MSG_DEALLOC_VGPRS)
	s_endpgm
.LBB1_11:
                                        ; implicit-def: $vgpr1
	s_cbranch_execnz .LBB1_9
.LBB1_12:
	s_delay_alu instid0(VALU_DEP_1)
	v_mov_b32_e32 v2, v1
	s_and_saveexec_b32 s2, s6
	s_cbranch_execz .LBB1_10
.LBB1_13:
	s_load_b256 s[4:11], s[0:1], 0x20
	s_wait_kmcnt 0x0
	s_cmp_eq_u64 s[6:7], 0
	global_load_b32 v12, v2, s[4:5] scale_offset
	s_cselect_b32 vcc_lo, -1, 0
	v_ashrrev_i32_e32 v3, 31, v2
	s_cmp_eq_u32 s3, 1
	s_delay_alu instid0(VALU_DEP_1) | instskip(SKIP_1) | instid1(VALU_DEP_2)
	v_lshlrev_b64_e32 v[4:5], 2, v[2:3]
	v_and_b32_e32 v3, 7, v0
	v_add_nc_u64_e32 v[6:7], s[4:5], v[4:5]
	v_add_nc_u64_e32 v[4:5], s[6:7], v[4:5]
	s_wait_xcnt 0x0
	s_load_b64 s[4:5], s[0:1], 0x40
	s_delay_alu instid0(VALU_DEP_2) | instskip(NEXT) | instid1(VALU_DEP_1)
	v_add_nc_u64_e32 v[6:7], 4, v[6:7]
	v_dual_cndmask_b32 v5, v5, v7 :: v_dual_cndmask_b32 v4, v4, v6
	global_load_b32 v6, v[4:5], off
	s_wait_loadcnt 0x1
	v_subrev_nc_u32_e32 v0, s16, v12
	s_delay_alu instid0(VALU_DEP_1) | instskip(NEXT) | instid1(VALU_DEP_1)
	v_add_nc_u32_e32 v0, v0, v3
	v_ashrrev_i32_e32 v1, 31, v0
	s_wait_xcnt 0x0
	s_delay_alu instid0(VALU_DEP_1) | instskip(NEXT) | instid1(VALU_DEP_1)
	v_lshlrev_b64_e32 v[4:5], 6, v[0:1]
	v_add_nc_u64_e32 v[4:5], s[10:11], v[4:5]
	s_wait_loadcnt 0x0
	v_subrev_nc_u32_e32 v1, s16, v6
	s_delay_alu instid0(VALU_DEP_1)
	v_cmp_lt_i32_e64 s2, v0, v1
	s_cbranch_scc1 .LBB1_25
; %bb.14:
	v_dual_mov_b32 v7, 0 :: v_dual_mov_b32 v6, 0
	v_dual_mov_b32 v9, 0 :: v_dual_mov_b32 v8, 0
	s_and_saveexec_b32 s3, s2
	s_cbranch_execz .LBB1_24
; %bb.15:
	v_add_nc_u32_e32 v6, v12, v3
	v_not_b32_e32 v7, v12
	v_mov_b64_e32 v[8:9], 0
	v_mov_b32_e32 v13, v0
	s_delay_alu instid0(VALU_DEP_4) | instskip(NEXT) | instid1(VALU_DEP_1)
	v_subrev_nc_u32_e32 v6, s16, v6
	v_add_max_i32_e64 v6, v6, 8, v1
	s_delay_alu instid0(VALU_DEP_1) | instskip(NEXT) | instid1(VALU_DEP_1)
	v_add3_u32 v6, s16, v6, v7
	v_sub_nc_u32_e32 v14, v6, v3
	v_mov_b64_e32 v[6:7], 0
	s_delay_alu instid0(VALU_DEP_2) | instskip(NEXT) | instid1(VALU_DEP_1)
	v_and_b32_e32 v10, 24, v14
	v_cmp_ne_u32_e32 vcc_lo, 24, v10
	v_mov_b64_e32 v[10:11], v[4:5]
	s_and_saveexec_b32 s6, vcc_lo
	s_cbranch_execz .LBB1_19
; %bb.16:
	v_dual_lshrrev_b32 v6, 3, v14 :: v_dual_mov_b32 v8, 0
	v_mov_b64_e32 v[10:11], v[4:5]
	s_mov_b32 s7, 0
	s_delay_alu instid0(VALU_DEP_2) | instskip(NEXT) | instid1(VALU_DEP_1)
	v_dual_mov_b32 v13, v0 :: v_dual_add_nc_u32 v6, 1, v6
	v_dual_mov_b32 v9, v8 :: v_dual_bitop2_b32 v7, 3, v6 bitop3:0x40
	s_delay_alu instid0(VALU_DEP_1)
	v_dual_mov_b32 v6, v8 :: v_dual_sub_nc_u32 v15, 0, v7
	v_mov_b32_e32 v7, v8
.LBB1_17:                               ; =>This Inner Loop Header: Depth=1
	global_load_b32 v16, v13, s[8:9] scale_offset
	v_add_co_u32 v15, s10, v15, 1
	s_or_b32 s7, s10, s7
	s_wait_xcnt 0x0
	v_add_nc_u32_e32 v13, 8, v13
	s_wait_loadcnt 0x0
	v_subrev_nc_u32_e32 v16, s16, v16
	s_delay_alu instid0(VALU_DEP_1)
	v_lshlrev_b32_e32 v32, 2, v16
	s_clause 0x3
	global_load_b128 v[16:19], v[10:11], off offset:16
	global_load_b128 v[20:23], v[10:11], off
	global_load_b128 v[24:27], v[10:11], off offset:48
	global_load_b128 v[28:31], v[10:11], off offset:32
	s_wait_xcnt 0x0
	v_add_nc_u64_e32 v[10:11], 0x200, v[10:11]
	s_wait_loadcnt 0x2
	v_dual_mov_b32 v36, v20 :: v_dual_ashrrev_i32 v33, 31, v32
	s_wait_loadcnt 0x0
	v_dual_mov_b32 v37, v16 :: v_dual_mov_b32 v38, v28
	v_dual_mov_b32 v39, v24 :: v_dual_mov_b32 v16, v21
	v_mov_b32_e32 v20, v22
	s_wait_kmcnt 0x0
	v_lshl_add_u64 v[32:33], v[32:33], 2, s[4:5]
	v_dual_mov_b32 v24, v29 :: v_dual_mov_b32 v21, v18
	v_dual_mov_b32 v28, v30 :: v_dual_mov_b32 v29, v26
	global_load_b128 v[32:35], v[32:33], off
	v_dual_mov_b32 v18, v23 :: v_dual_mov_b32 v26, v31
	s_wait_loadcnt 0x0
	v_pk_fma_f32 v[8:9], v[36:37], v[32:33], v[8:9] op_sel_hi:[1,0,1]
	v_pk_fma_f32 v[6:7], v[38:39], v[32:33], v[6:7] op_sel_hi:[1,0,1]
	s_delay_alu instid0(VALU_DEP_2) | instskip(NEXT) | instid1(VALU_DEP_2)
	v_pk_fma_f32 v[8:9], v[16:17], v[32:33], v[8:9] op_sel:[0,1,0]
	v_pk_fma_f32 v[6:7], v[24:25], v[32:33], v[6:7] op_sel:[0,1,0]
	v_mov_b32_e32 v16, v35
	s_delay_alu instid0(VALU_DEP_3) | instskip(NEXT) | instid1(VALU_DEP_3)
	v_pk_fma_f32 v[8:9], v[20:21], v[34:35], v[8:9] op_sel_hi:[1,0,1]
	v_pk_fma_f32 v[6:7], v[28:29], v[34:35], v[6:7] op_sel_hi:[1,0,1]
	s_delay_alu instid0(VALU_DEP_2) | instskip(NEXT) | instid1(VALU_DEP_2)
	v_pk_fma_f32 v[8:9], v[18:19], v[16:17], v[8:9] op_sel_hi:[1,0,1]
	v_pk_fma_f32 v[6:7], v[26:27], v[16:17], v[6:7] op_sel_hi:[1,0,1]
	s_and_not1_b32 exec_lo, exec_lo, s7
	s_cbranch_execnz .LBB1_17
; %bb.18:
	s_or_b32 exec_lo, exec_lo, s7
.LBB1_19:
	s_delay_alu instid0(SALU_CYCLE_1) | instskip(NEXT) | instid1(SALU_CYCLE_1)
	s_or_b32 exec_lo, exec_lo, s6
	s_mov_b32 s6, exec_lo
	v_cmpx_lt_u32_e32 23, v14
	s_cbranch_execz .LBB1_23
; %bb.20:
	s_mov_b32 s7, 0
.LBB1_21:                               ; =>This Inner Loop Header: Depth=1
	s_clause 0x7
	global_load_b128 v[14:17], v[10:11], off
	global_load_b128 v[18:21], v[10:11], off offset:16
	global_load_b128 v[22:25], v[10:11], off offset:32
	;; [unrolled: 1-line block ×7, first 2 shown]
	s_clause 0x1
	global_load_b32 v68, v13, s[8:9] scale_offset
	global_load_b32 v70, v13, s[8:9] offset:32 scale_offset
	s_clause 0x1
	global_load_b128 v[46:49], v[10:11], off offset:1072
	global_load_b128 v[50:53], v[10:11], off offset:1056
	s_clause 0x1
	global_load_b32 v71, v13, s[8:9] offset:64 scale_offset
	global_load_b32 v72, v13, s[8:9] offset:96 scale_offset
	s_wait_xcnt 0x0
	v_add_nc_u32_e32 v13, 32, v13
	s_delay_alu instid0(VALU_DEP_1)
	v_cmp_ge_i32_e32 vcc_lo, v13, v1
	s_or_b32 s7, vcc_lo, s7
	s_wait_loadcnt 0xc
	v_dual_mov_b32 v54, v14 :: v_dual_mov_b32 v55, v18
	v_dual_mov_b32 v18, v15 :: v_dual_mov_b32 v56, v16
	;; [unrolled: 1-line block ×3, first 2 shown]
	s_wait_loadcnt 0x8
	v_dual_mov_b32 v62, v30 :: v_dual_mov_b32 v63, v34
	s_wait_loadcnt 0x5
	v_subrev_nc_u32_e32 v14, s16, v68
	s_wait_loadcnt 0x4
	v_subrev_nc_u32_e32 v15, s16, v70
	v_dual_mov_b32 v34, v31 :: v_dual_mov_b32 v64, v32
	v_dual_mov_b32 v65, v36 :: v_dual_mov_b32 v36, v33
	s_delay_alu instid0(VALU_DEP_3) | instskip(SKIP_2) | instid1(VALU_DEP_3)
	v_dual_lshlrev_b32 v14, 2, v14 :: v_dual_lshlrev_b32 v16, 2, v15
	v_dual_mov_b32 v58, v22 :: v_dual_mov_b32 v59, v26
	v_dual_mov_b32 v26, v23 :: v_dual_mov_b32 v60, v24
	v_dual_ashrrev_i32 v15, 31, v14 :: v_dual_ashrrev_i32 v17, 31, v16
	v_dual_mov_b32 v61, v28 :: v_dual_mov_b32 v28, v25
	v_dual_mov_b32 v66, v38 :: v_dual_mov_b32 v67, v42
	s_wait_kmcnt 0x0
	s_delay_alu instid0(VALU_DEP_3)
	v_lshl_add_u64 v[30:31], v[14:15], 2, s[4:5]
	v_lshl_add_u64 v[32:33], v[16:17], 2, s[4:5]
	s_clause 0x1
	global_load_b128 v[14:17], v[30:31], off
	global_load_b128 v[22:25], v[32:33], off
	v_dual_mov_b32 v42, v39 :: v_dual_mov_b32 v68, v40
	v_dual_mov_b32 v69, v44 :: v_dual_mov_b32 v44, v41
	global_load_b128 v[30:33], v[10:11], off offset:1040
	s_wait_loadcnt 0x2
	v_pk_fma_f32 v[8:9], v[54:55], v[14:15], v[8:9] op_sel_hi:[1,0,1]
	v_pk_fma_f32 v[38:39], v[58:59], v[14:15], v[6:7] op_sel_hi:[1,0,1]
	v_subrev_nc_u32_e32 v58, s16, v72
	s_delay_alu instid0(VALU_DEP_3) | instskip(NEXT) | instid1(VALU_DEP_3)
	v_pk_fma_f32 v[6:7], v[18:19], v[14:15], v[8:9] op_sel:[0,1,0]
	v_pk_fma_f32 v[14:15], v[26:27], v[14:15], v[38:39] op_sel:[0,1,0]
	s_delay_alu instid0(VALU_DEP_3) | instskip(NEXT) | instid1(VALU_DEP_3)
	v_dual_mov_b32 v38, v17 :: v_dual_lshlrev_b32 v58, 2, v58
	v_pk_fma_f32 v[18:19], v[56:57], v[16:17], v[6:7] op_sel_hi:[1,0,1]
	s_delay_alu instid0(VALU_DEP_3)
	v_pk_fma_f32 v[26:27], v[60:61], v[16:17], v[14:15] op_sel_hi:[1,0,1]
	global_load_b128 v[6:9], v[10:11], off offset:1024
	v_ashrrev_i32_e32 v59, 31, v58
	global_load_b128 v[14:17], v[10:11], off offset:1552
	v_pk_fma_f32 v[40:41], v[20:21], v[38:39], v[18:19] op_sel_hi:[1,0,1]
	v_subrev_nc_u32_e32 v39, s16, v71
	global_load_b128 v[18:21], v[10:11], off offset:1536
	v_lshl_add_u64 v[58:59], v[58:59], 2, s[4:5]
	s_wait_loadcnt 0x4
	v_pk_fma_f32 v[56:57], v[62:63], v[22:23], v[40:41] op_sel_hi:[1,0,1]
	v_pk_fma_f32 v[54:55], v[28:29], v[38:39], v[26:27] op_sel_hi:[1,0,1]
	v_lshlrev_b32_e32 v38, 2, v39
	global_load_b128 v[26:29], v[10:11], off offset:1568
	v_pk_fma_f32 v[34:35], v[34:35], v[22:23], v[56:57] op_sel:[0,1,0]
	v_pk_fma_f32 v[60:61], v[66:67], v[22:23], v[54:55] op_sel_hi:[1,0,1]
	v_ashrrev_i32_e32 v39, 31, v38
	global_load_b128 v[54:57], v[10:11], off offset:1584
	s_wait_xcnt 0x0
	v_add_nc_u64_e32 v[10:11], 0x800, v[10:11]
	v_pk_fma_f32 v[34:35], v[64:65], v[24:25], v[34:35] op_sel_hi:[1,0,1]
	v_pk_fma_f32 v[22:23], v[42:43], v[22:23], v[60:61] op_sel:[0,1,0]
	v_lshl_add_u64 v[38:39], v[38:39], 2, s[4:5]
	global_load_b128 v[58:61], v[58:59], off
	s_wait_loadcnt 0x6
	v_mov_b32_e32 v43, v30
	v_pk_fma_f32 v[22:23], v[68:69], v[24:25], v[22:23] op_sel_hi:[1,0,1]
	global_load_b128 v[38:41], v[38:39], off
	s_wait_loadcnt 0x6
	v_dual_mov_b32 v24, v25 :: v_dual_mov_b32 v42, v6
	v_mov_b32_e32 v30, v7
	s_delay_alu instid0(VALU_DEP_2)
	v_pk_fma_f32 v[6:7], v[36:37], v[24:25], v[34:35] op_sel_hi:[1,0,1]
	v_dual_mov_b32 v34, v50 :: v_dual_mov_b32 v35, v46
	v_pk_fma_f32 v[22:23], v[44:45], v[24:25], v[22:23] op_sel_hi:[1,0,1]
	v_dual_mov_b32 v46, v51 :: v_dual_mov_b32 v24, v8
	v_dual_mov_b32 v25, v32 :: v_dual_mov_b32 v32, v9
	;; [unrolled: 1-line block ×3, first 2 shown]
	v_mov_b32_e32 v48, v53
	s_wait_loadcnt 0x0
	v_pk_fma_f32 v[6:7], v[42:43], v[38:39], v[6:7] op_sel_hi:[1,0,1]
	v_pk_fma_f32 v[22:23], v[34:35], v[38:39], v[22:23] op_sel_hi:[1,0,1]
	s_delay_alu instid0(VALU_DEP_2) | instskip(NEXT) | instid1(VALU_DEP_2)
	v_pk_fma_f32 v[6:7], v[30:31], v[38:39], v[6:7] op_sel:[0,1,0]
	v_pk_fma_f32 v[22:23], v[46:47], v[38:39], v[22:23] op_sel:[0,1,0]
	v_dual_mov_b32 v30, v18 :: v_dual_mov_b32 v18, v41
	v_mov_b32_e32 v31, v14
	s_delay_alu instid0(VALU_DEP_4) | instskip(NEXT) | instid1(VALU_DEP_4)
	v_pk_fma_f32 v[6:7], v[24:25], v[40:41], v[6:7] op_sel_hi:[1,0,1]
	v_pk_fma_f32 v[8:9], v[8:9], v[40:41], v[22:23] op_sel_hi:[1,0,1]
	v_dual_mov_b32 v22, v26 :: v_dual_mov_b32 v23, v54
	v_mov_b32_e32 v14, v19
	s_delay_alu instid0(VALU_DEP_4) | instskip(NEXT) | instid1(VALU_DEP_4)
	v_pk_fma_f32 v[6:7], v[32:33], v[18:19], v[6:7] op_sel_hi:[1,0,1]
	v_pk_fma_f32 v[8:9], v[48:49], v[18:19], v[8:9] op_sel_hi:[1,0,1]
	;; [unrolled: 5-line block ×3, first 2 shown]
	v_dual_mov_b32 v22, v28 :: v_dual_mov_b32 v23, v56
	v_dual_mov_b32 v16, v21 :: v_dual_mov_b32 v56, v29
	s_delay_alu instid0(VALU_DEP_4) | instskip(NEXT) | instid1(VALU_DEP_4)
	v_pk_fma_f32 v[6:7], v[14:15], v[58:59], v[6:7] op_sel:[0,1,0]
	v_pk_fma_f32 v[8:9], v[54:55], v[58:59], v[8:9] op_sel:[0,1,0]
	v_mov_b32_e32 v14, v61
	s_delay_alu instid0(VALU_DEP_3) | instskip(NEXT) | instid1(VALU_DEP_3)
	v_pk_fma_f32 v[6:7], v[18:19], v[60:61], v[6:7] op_sel_hi:[1,0,1]
	v_pk_fma_f32 v[18:19], v[22:23], v[60:61], v[8:9] op_sel_hi:[1,0,1]
	s_delay_alu instid0(VALU_DEP_2) | instskip(NEXT) | instid1(VALU_DEP_2)
	v_pk_fma_f32 v[8:9], v[16:17], v[14:15], v[6:7] op_sel_hi:[1,0,1]
	v_pk_fma_f32 v[6:7], v[56:57], v[14:15], v[18:19] op_sel_hi:[1,0,1]
	s_and_not1_b32 exec_lo, exec_lo, s7
	s_cbranch_execnz .LBB1_21
; %bb.22:
	s_or_b32 exec_lo, exec_lo, s7
.LBB1_23:
	s_delay_alu instid0(SALU_CYCLE_1)
	s_or_b32 exec_lo, exec_lo, s6
.LBB1_24:
	s_delay_alu instid0(SALU_CYCLE_1)
	s_or_b32 exec_lo, exec_lo, s3
	s_cbranch_execz .LBB1_26
	s_branch .LBB1_37
.LBB1_25:
                                        ; implicit-def: $vgpr7
                                        ; implicit-def: $vgpr9
.LBB1_26:
	v_dual_mov_b32 v7, 0 :: v_dual_mov_b32 v6, 0
	v_dual_mov_b32 v9, 0 :: v_dual_mov_b32 v8, 0
	s_and_saveexec_b32 s3, s2
	s_cbranch_execz .LBB1_36
; %bb.27:
	v_add_nc_u32_e32 v6, v12, v3
	v_not_b32_e32 v7, v12
	v_mov_b64_e32 v[8:9], 0
	s_mov_b32 s2, exec_lo
	s_delay_alu instid0(VALU_DEP_3) | instskip(NEXT) | instid1(VALU_DEP_1)
	v_subrev_nc_u32_e32 v6, s16, v6
	v_add_max_i32_e64 v6, v6, 8, v1
	s_delay_alu instid0(VALU_DEP_1) | instskip(NEXT) | instid1(VALU_DEP_1)
	v_add3_u32 v6, s16, v6, v7
	v_sub_nc_u32_e32 v10, v6, v3
	v_mov_b64_e32 v[6:7], 0
	s_delay_alu instid0(VALU_DEP_2) | instskip(NEXT) | instid1(VALU_DEP_1)
	v_and_b32_e32 v11, 24, v10
	v_cmpx_ne_u32_e32 24, v11
	s_cbranch_execz .LBB1_31
; %bb.28:
	v_dual_lshrrev_b32 v6, 3, v10 :: v_dual_mov_b32 v8, 0
	s_mov_b32 s6, 0
	s_delay_alu instid0(VALU_DEP_1) | instskip(NEXT) | instid1(VALU_DEP_1)
	v_dual_mov_b32 v9, v8 :: v_dual_add_nc_u32 v6, 1, v6
	v_dual_mov_b32 v6, v8 :: v_dual_bitop2_b32 v7, 3, v6 bitop3:0x40
	s_delay_alu instid0(VALU_DEP_1)
	v_dual_sub_nc_u32 v11, 0, v7 :: v_dual_mov_b32 v7, v8
.LBB1_29:                               ; =>This Inner Loop Header: Depth=1
	global_load_b32 v12, v0, s[8:9] scale_offset
	s_wait_xcnt 0x0
	v_add_nc_u32_e32 v0, 8, v0
	v_add_co_u32 v11, s7, v11, 1
	s_or_b32 s6, s7, s6
	s_wait_loadcnt 0x0
	v_subrev_nc_u32_e32 v12, s16, v12
	s_delay_alu instid0(VALU_DEP_1) | instskip(NEXT) | instid1(VALU_DEP_1)
	v_lshlrev_b32_e32 v12, 2, v12
	v_ashrrev_i32_e32 v13, 31, v12
	s_wait_kmcnt 0x0
	s_delay_alu instid0(VALU_DEP_1)
	v_lshl_add_u64 v[32:33], v[12:13], 2, s[4:5]
	s_clause 0x1
	global_load_b128 v[12:15], v[4:5], off offset:16
	global_load_b128 v[16:19], v[4:5], off
	global_load_b128 v[20:23], v[32:33], off
	s_clause 0x1
	global_load_b128 v[24:27], v[4:5], off offset:32
	global_load_b128 v[28:31], v[4:5], off offset:48
	s_wait_xcnt 0x0
	v_add_nc_u64_e32 v[4:5], 0x200, v[4:5]
	s_wait_loadcnt 0x2
	v_pk_fma_f32 v[8:9], v[16:17], v[20:21], v[8:9] op_sel_hi:[1,0,1]
	v_pk_fma_f32 v[6:7], v[18:19], v[20:21], v[6:7] op_sel_hi:[1,0,1]
	s_delay_alu instid0(VALU_DEP_2) | instskip(NEXT) | instid1(VALU_DEP_2)
	v_pk_fma_f32 v[8:9], v[12:13], v[20:21], v[8:9] op_sel:[0,1,0]
	v_pk_fma_f32 v[6:7], v[14:15], v[20:21], v[6:7] op_sel:[0,1,0]
	v_mov_b32_e32 v12, v23
	s_wait_loadcnt 0x1
	s_delay_alu instid0(VALU_DEP_3) | instskip(NEXT) | instid1(VALU_DEP_3)
	v_pk_fma_f32 v[8:9], v[24:25], v[22:23], v[8:9] op_sel_hi:[1,0,1]
	v_pk_fma_f32 v[6:7], v[26:27], v[22:23], v[6:7] op_sel_hi:[1,0,1]
	s_wait_loadcnt 0x0
	s_delay_alu instid0(VALU_DEP_2) | instskip(NEXT) | instid1(VALU_DEP_2)
	v_pk_fma_f32 v[8:9], v[28:29], v[12:13], v[8:9] op_sel_hi:[1,0,1]
	v_pk_fma_f32 v[6:7], v[30:31], v[12:13], v[6:7] op_sel_hi:[1,0,1]
	s_and_not1_b32 exec_lo, exec_lo, s6
	s_cbranch_execnz .LBB1_29
; %bb.30:
	s_or_b32 exec_lo, exec_lo, s6
.LBB1_31:
	s_delay_alu instid0(SALU_CYCLE_1) | instskip(NEXT) | instid1(SALU_CYCLE_1)
	s_or_b32 exec_lo, exec_lo, s2
	s_mov_b32 s2, exec_lo
	v_cmpx_lt_u32_e32 23, v10
	s_cbranch_execz .LBB1_35
; %bb.32:
	s_mov_b32 s6, 0
.LBB1_33:                               ; =>This Inner Loop Header: Depth=1
	s_clause 0x2
	global_load_b32 v38, v0, s[8:9] scale_offset
	global_load_b32 v39, v0, s[8:9] offset:32 scale_offset
	global_load_b32 v40, v0, s[8:9] offset:64 scale_offset
	s_clause 0x6
	global_load_b128 v[10:13], v[4:5], off offset:48
	global_load_b128 v[14:17], v[4:5], off offset:32
	;; [unrolled: 1-line block ×3, first 2 shown]
	global_load_b128 v[22:25], v[4:5], off
	global_load_b128 v[26:29], v[4:5], off offset:544
	global_load_b128 v[30:33], v[4:5], off offset:528
	global_load_b128 v[34:37], v[4:5], off offset:512
	global_load_b32 v62, v0, s[8:9] offset:96 scale_offset
	s_wait_xcnt 0x0
	v_add_nc_u32_e32 v0, 32, v0
	s_delay_alu instid0(VALU_DEP_1)
	v_cmp_ge_i32_e32 vcc_lo, v0, v1
	s_or_b32 s6, vcc_lo, s6
	s_wait_loadcnt 0xa
	v_subrev_nc_u32_e32 v38, s16, v38
	s_wait_loadcnt 0x9
	v_subrev_nc_u32_e32 v39, s16, v39
	;; [unrolled: 2-line block ×3, first 2 shown]
	s_delay_alu instid0(VALU_DEP_2) | instskip(NEXT) | instid1(VALU_DEP_1)
	v_dual_lshlrev_b32 v38, 2, v38 :: v_dual_lshlrev_b32 v40, 2, v39
	v_dual_ashrrev_i32 v39, 31, v38 :: v_dual_ashrrev_i32 v41, 31, v40
	s_wait_kmcnt 0x0
	s_delay_alu instid0(VALU_DEP_1) | instskip(NEXT) | instid1(VALU_DEP_2)
	v_lshl_add_u64 v[58:59], v[38:39], 2, s[4:5]
	v_lshl_add_u64 v[60:61], v[40:41], 2, s[4:5]
	s_clause 0x1
	global_load_b128 v[38:41], v[58:59], off
	global_load_b128 v[42:45], v[60:61], off
	s_clause 0x2
	global_load_b128 v[46:49], v[4:5], off offset:560
	global_load_b128 v[50:53], v[4:5], off offset:1072
	;; [unrolled: 1-line block ×3, first 2 shown]
	s_wait_xcnt 0x4
	v_lshlrev_b32_e32 v58, 2, v63
	s_delay_alu instid0(VALU_DEP_1)
	v_ashrrev_i32_e32 v59, 31, v58
	s_wait_loadcnt 0x4
	v_pk_fma_f32 v[22:23], v[22:23], v[38:39], v[8:9] op_sel_hi:[1,0,1]
	v_pk_fma_f32 v[24:25], v[24:25], v[38:39], v[6:7] op_sel_hi:[1,0,1]
	global_load_b128 v[6:9], v[4:5], off offset:1040
	v_pk_fma_f32 v[22:23], v[18:19], v[38:39], v[22:23] op_sel:[0,1,0]
	v_pk_fma_f32 v[24:25], v[20:21], v[38:39], v[24:25] op_sel:[0,1,0]
	v_lshl_add_u64 v[38:39], v[58:59], 2, s[4:5]
	global_load_b128 v[18:21], v[4:5], off offset:1024
	v_subrev_nc_u32_e32 v58, s16, v62
	v_pk_fma_f32 v[22:23], v[14:15], v[40:41], v[22:23] op_sel_hi:[1,0,1]
	v_pk_fma_f32 v[24:25], v[16:17], v[40:41], v[24:25] op_sel_hi:[1,0,1]
	global_load_b128 v[14:17], v[38:39], off
	s_wait_xcnt 0x0
	v_dual_mov_b32 v40, v41 :: v_dual_lshlrev_b32 v38, 2, v58
	s_delay_alu instid0(VALU_DEP_1) | instskip(NEXT) | instid1(VALU_DEP_2)
	v_pk_fma_f32 v[58:59], v[10:11], v[40:41], v[22:23] op_sel_hi:[1,0,1]
	v_ashrrev_i32_e32 v39, 31, v38
	v_pk_fma_f32 v[40:41], v[12:13], v[40:41], v[24:25] op_sel_hi:[1,0,1]
	s_clause 0x1
	global_load_b128 v[10:13], v[4:5], off offset:1552
	global_load_b128 v[22:25], v[4:5], off offset:1536
	s_wait_loadcnt 0x8
	v_pk_fma_f32 v[58:59], v[34:35], v[42:43], v[58:59] op_sel_hi:[1,0,1]
	v_lshl_add_u64 v[38:39], v[38:39], 2, s[4:5]
	v_pk_fma_f32 v[40:41], v[36:37], v[42:43], v[40:41] op_sel_hi:[1,0,1]
	global_load_b128 v[34:37], v[38:39], off
	s_wait_xcnt 0x0
	v_pk_fma_f32 v[38:39], v[30:31], v[42:43], v[58:59] op_sel:[0,1,0]
	v_pk_fma_f32 v[40:41], v[32:33], v[42:43], v[40:41] op_sel:[0,1,0]
	global_load_b128 v[30:33], v[4:5], off offset:1568
	v_mov_b32_e32 v42, v45
	v_pk_fma_f32 v[38:39], v[26:27], v[44:45], v[38:39] op_sel_hi:[1,0,1]
	v_pk_fma_f32 v[40:41], v[28:29], v[44:45], v[40:41] op_sel_hi:[1,0,1]
	global_load_b128 v[26:29], v[4:5], off offset:1584
	s_wait_xcnt 0x0
	v_add_nc_u64_e32 v[4:5], 0x800, v[4:5]
	s_wait_loadcnt 0xa
	v_pk_fma_f32 v[38:39], v[46:47], v[42:43], v[38:39] op_sel_hi:[1,0,1]
	v_pk_fma_f32 v[40:41], v[48:49], v[42:43], v[40:41] op_sel_hi:[1,0,1]
	s_wait_loadcnt 0x5
	s_delay_alu instid0(VALU_DEP_2) | instskip(NEXT) | instid1(VALU_DEP_2)
	v_pk_fma_f32 v[18:19], v[18:19], v[14:15], v[38:39] op_sel_hi:[1,0,1]
	v_pk_fma_f32 v[20:21], v[20:21], v[14:15], v[40:41] op_sel_hi:[1,0,1]
	s_delay_alu instid0(VALU_DEP_2) | instskip(NEXT) | instid1(VALU_DEP_2)
	v_pk_fma_f32 v[6:7], v[6:7], v[14:15], v[18:19] op_sel:[0,1,0]
	v_pk_fma_f32 v[8:9], v[8:9], v[14:15], v[20:21] op_sel:[0,1,0]
	v_mov_b32_e32 v14, v17
	s_delay_alu instid0(VALU_DEP_3) | instskip(NEXT) | instid1(VALU_DEP_3)
	v_pk_fma_f32 v[6:7], v[54:55], v[16:17], v[6:7] op_sel_hi:[1,0,1]
	v_pk_fma_f32 v[8:9], v[56:57], v[16:17], v[8:9] op_sel_hi:[1,0,1]
	s_delay_alu instid0(VALU_DEP_2) | instskip(NEXT) | instid1(VALU_DEP_2)
	v_pk_fma_f32 v[6:7], v[50:51], v[14:15], v[6:7] op_sel_hi:[1,0,1]
	v_pk_fma_f32 v[8:9], v[52:53], v[14:15], v[8:9] op_sel_hi:[1,0,1]
	s_wait_loadcnt 0x2
	s_delay_alu instid0(VALU_DEP_2) | instskip(NEXT) | instid1(VALU_DEP_2)
	v_pk_fma_f32 v[6:7], v[22:23], v[34:35], v[6:7] op_sel_hi:[1,0,1]
	v_pk_fma_f32 v[8:9], v[24:25], v[34:35], v[8:9] op_sel_hi:[1,0,1]
	s_delay_alu instid0(VALU_DEP_2) | instskip(NEXT) | instid1(VALU_DEP_2)
	v_pk_fma_f32 v[6:7], v[10:11], v[34:35], v[6:7] op_sel:[0,1,0]
	v_pk_fma_f32 v[8:9], v[12:13], v[34:35], v[8:9] op_sel:[0,1,0]
	v_mov_b32_e32 v10, v37
	s_wait_loadcnt 0x1
	s_delay_alu instid0(VALU_DEP_3) | instskip(NEXT) | instid1(VALU_DEP_3)
	v_pk_fma_f32 v[6:7], v[30:31], v[36:37], v[6:7] op_sel_hi:[1,0,1]
	v_pk_fma_f32 v[12:13], v[32:33], v[36:37], v[8:9] op_sel_hi:[1,0,1]
	s_wait_loadcnt 0x0
	s_delay_alu instid0(VALU_DEP_2) | instskip(NEXT) | instid1(VALU_DEP_2)
	v_pk_fma_f32 v[8:9], v[26:27], v[10:11], v[6:7] op_sel_hi:[1,0,1]
	v_pk_fma_f32 v[6:7], v[28:29], v[10:11], v[12:13] op_sel_hi:[1,0,1]
	s_and_not1_b32 exec_lo, exec_lo, s6
	s_cbranch_execnz .LBB1_33
; %bb.34:
	s_or_b32 exec_lo, exec_lo, s6
.LBB1_35:
	s_delay_alu instid0(SALU_CYCLE_1)
	s_or_b32 exec_lo, exec_lo, s2
.LBB1_36:
	s_delay_alu instid0(SALU_CYCLE_1)
	s_or_b32 exec_lo, exec_lo, s3
.LBB1_37:
	v_mbcnt_lo_u32_b32 v10, -1, 0
	s_mov_b32 s2, -1
	s_delay_alu instid0(VALU_DEP_1) | instskip(SKIP_1) | instid1(VALU_DEP_1)
	v_xor_b32_e32 v11, 2, v10
	v_xor_b32_e32 v0, 4, v10
	v_cmp_gt_i32_e32 vcc_lo, 32, v0
	v_cndmask_b32_e32 v0, v10, v0, vcc_lo
	s_delay_alu instid0(VALU_DEP_4) | instskip(SKIP_1) | instid1(VALU_DEP_1)
	v_cmp_gt_i32_e32 vcc_lo, 32, v11
	v_cndmask_b32_e32 v11, v10, v11, vcc_lo
	v_dual_lshlrev_b32 v11, 2, v11 :: v_dual_lshlrev_b32 v5, 2, v0
	ds_bpermute_b32 v0, v5, v8
	ds_bpermute_b32 v1, v5, v9
	;; [unrolled: 1-line block ×4, first 2 shown]
	s_wait_dscnt 0x2
	v_pk_add_f32 v[0:1], v[8:9], v[0:1]
	s_wait_dscnt 0x0
	v_pk_add_f32 v[4:5], v[6:7], v[4:5]
	ds_bpermute_b32 v6, v11, v0
	ds_bpermute_b32 v7, v11, v1
	;; [unrolled: 1-line block ×4, first 2 shown]
	v_xor_b32_e32 v11, 1, v10
	s_delay_alu instid0(VALU_DEP_1) | instskip(SKIP_2) | instid1(VALU_DEP_2)
	v_cmp_gt_i32_e32 vcc_lo, 32, v11
	v_cndmask_b32_e32 v10, v10, v11, vcc_lo
	v_cmp_eq_u32_e32 vcc_lo, 7, v3
	v_lshlrev_b32_e32 v10, 2, v10
	s_wait_dscnt 0x2
	v_pk_add_f32 v[0:1], v[0:1], v[6:7]
	s_wait_dscnt 0x0
	v_pk_add_f32 v[6:7], v[4:5], v[8:9]
	ds_bpermute_b32 v4, v10, v0
	ds_bpermute_b32 v5, v10, v1
	;; [unrolled: 1-line block ×4, first 2 shown]
	s_and_b32 exec_lo, exec_lo, vcc_lo
	s_cbranch_execz .LBB1_10
; %bb.38:
	s_load_b64 s[0:1], s[0:1], 0x50
	s_wait_dscnt 0x2
	v_pk_add_f32 v[4:5], v[0:1], v[4:5]
	s_wait_dscnt 0x0
	v_pk_add_f32 v[0:1], v[6:7], v[8:9]
	v_lshlrev_b32_e32 v2, 2, v2
	s_cmp_eq_f32 s14, 0
	s_cbranch_scc0 .LBB1_40
; %bb.39:
	s_delay_alu instid0(VALU_DEP_1)
	v_ashrrev_i32_e32 v3, 31, v2
	v_pk_mul_f32 v[6:7], s[12:13], v[4:5] op_sel_hi:[0,1]
	v_pk_mul_f32 v[8:9], s[12:13], v[0:1] op_sel_hi:[0,1]
	s_mov_b32 s2, 0
	s_wait_kmcnt 0x0
	v_lshl_add_u64 v[10:11], v[2:3], 2, s[0:1]
	global_store_b128 v[10:11], v[6:9], off
.LBB1_40:
	s_and_not1_b32 vcc_lo, exec_lo, s2
	s_cbranch_vccnz .LBB1_10
; %bb.41:
	v_ashrrev_i32_e32 v3, 31, v2
	s_wait_kmcnt 0x0
	s_delay_alu instid0(VALU_DEP_1)
	v_lshl_add_u64 v[10:11], v[2:3], 2, s[0:1]
	v_pk_mul_f32 v[2:3], s[12:13], v[4:5] op_sel_hi:[0,1]
	v_pk_mul_f32 v[4:5], s[12:13], v[0:1] op_sel_hi:[0,1]
	global_load_b128 v[6:9], v[10:11], off
	s_wait_loadcnt 0x0
	v_pk_fma_f32 v[0:1], s[14:15], v[6:7], v[2:3] op_sel_hi:[0,1,1]
	v_pk_fma_f32 v[2:3], s[14:15], v[8:9], v[4:5] op_sel_hi:[0,1,1]
	global_store_b128 v[10:11], v[0:3], off
	s_sendmsg sendmsg(MSG_DEALLOC_VGPRS)
	s_endpgm
	.section	.rodata,"a",@progbits
	.p2align	6, 0x0
	.amdhsa_kernel _ZN9rocsparseL18bsrxmvn_4x4_kernelILj128ELj8EfiifffEEvT3_20rocsparse_direction_NS_24const_host_device_scalarIT1_EES1_PKS1_PKT2_SA_S7_PKT4_PKT5_S5_PT6_21rocsparse_index_base_b
		.amdhsa_group_segment_fixed_size 0
		.amdhsa_private_segment_fixed_size 0
		.amdhsa_kernarg_size 96
		.amdhsa_user_sgpr_count 2
		.amdhsa_user_sgpr_dispatch_ptr 0
		.amdhsa_user_sgpr_queue_ptr 0
		.amdhsa_user_sgpr_kernarg_segment_ptr 1
		.amdhsa_user_sgpr_dispatch_id 0
		.amdhsa_user_sgpr_kernarg_preload_length 0
		.amdhsa_user_sgpr_kernarg_preload_offset 0
		.amdhsa_user_sgpr_private_segment_size 0
		.amdhsa_wavefront_size32 1
		.amdhsa_uses_dynamic_stack 0
		.amdhsa_enable_private_segment 0
		.amdhsa_system_sgpr_workgroup_id_x 1
		.amdhsa_system_sgpr_workgroup_id_y 0
		.amdhsa_system_sgpr_workgroup_id_z 0
		.amdhsa_system_sgpr_workgroup_info 0
		.amdhsa_system_vgpr_workitem_id 0
		.amdhsa_next_free_vgpr 73
		.amdhsa_next_free_sgpr 18
		.amdhsa_named_barrier_count 0
		.amdhsa_reserve_vcc 1
		.amdhsa_float_round_mode_32 0
		.amdhsa_float_round_mode_16_64 0
		.amdhsa_float_denorm_mode_32 3
		.amdhsa_float_denorm_mode_16_64 3
		.amdhsa_fp16_overflow 0
		.amdhsa_memory_ordered 1
		.amdhsa_forward_progress 1
		.amdhsa_inst_pref_size 30
		.amdhsa_round_robin_scheduling 0
		.amdhsa_exception_fp_ieee_invalid_op 0
		.amdhsa_exception_fp_denorm_src 0
		.amdhsa_exception_fp_ieee_div_zero 0
		.amdhsa_exception_fp_ieee_overflow 0
		.amdhsa_exception_fp_ieee_underflow 0
		.amdhsa_exception_fp_ieee_inexact 0
		.amdhsa_exception_int_div_zero 0
	.end_amdhsa_kernel
	.section	.text._ZN9rocsparseL18bsrxmvn_4x4_kernelILj128ELj8EfiifffEEvT3_20rocsparse_direction_NS_24const_host_device_scalarIT1_EES1_PKS1_PKT2_SA_S7_PKT4_PKT5_S5_PT6_21rocsparse_index_base_b,"axG",@progbits,_ZN9rocsparseL18bsrxmvn_4x4_kernelILj128ELj8EfiifffEEvT3_20rocsparse_direction_NS_24const_host_device_scalarIT1_EES1_PKS1_PKT2_SA_S7_PKT4_PKT5_S5_PT6_21rocsparse_index_base_b,comdat
.Lfunc_end1:
	.size	_ZN9rocsparseL18bsrxmvn_4x4_kernelILj128ELj8EfiifffEEvT3_20rocsparse_direction_NS_24const_host_device_scalarIT1_EES1_PKS1_PKT2_SA_S7_PKT4_PKT5_S5_PT6_21rocsparse_index_base_b, .Lfunc_end1-_ZN9rocsparseL18bsrxmvn_4x4_kernelILj128ELj8EfiifffEEvT3_20rocsparse_direction_NS_24const_host_device_scalarIT1_EES1_PKS1_PKT2_SA_S7_PKT4_PKT5_S5_PT6_21rocsparse_index_base_b
                                        ; -- End function
	.set _ZN9rocsparseL18bsrxmvn_4x4_kernelILj128ELj8EfiifffEEvT3_20rocsparse_direction_NS_24const_host_device_scalarIT1_EES1_PKS1_PKT2_SA_S7_PKT4_PKT5_S5_PT6_21rocsparse_index_base_b.num_vgpr, 73
	.set _ZN9rocsparseL18bsrxmvn_4x4_kernelILj128ELj8EfiifffEEvT3_20rocsparse_direction_NS_24const_host_device_scalarIT1_EES1_PKS1_PKT2_SA_S7_PKT4_PKT5_S5_PT6_21rocsparse_index_base_b.num_agpr, 0
	.set _ZN9rocsparseL18bsrxmvn_4x4_kernelILj128ELj8EfiifffEEvT3_20rocsparse_direction_NS_24const_host_device_scalarIT1_EES1_PKS1_PKT2_SA_S7_PKT4_PKT5_S5_PT6_21rocsparse_index_base_b.numbered_sgpr, 18
	.set _ZN9rocsparseL18bsrxmvn_4x4_kernelILj128ELj8EfiifffEEvT3_20rocsparse_direction_NS_24const_host_device_scalarIT1_EES1_PKS1_PKT2_SA_S7_PKT4_PKT5_S5_PT6_21rocsparse_index_base_b.num_named_barrier, 0
	.set _ZN9rocsparseL18bsrxmvn_4x4_kernelILj128ELj8EfiifffEEvT3_20rocsparse_direction_NS_24const_host_device_scalarIT1_EES1_PKS1_PKT2_SA_S7_PKT4_PKT5_S5_PT6_21rocsparse_index_base_b.private_seg_size, 0
	.set _ZN9rocsparseL18bsrxmvn_4x4_kernelILj128ELj8EfiifffEEvT3_20rocsparse_direction_NS_24const_host_device_scalarIT1_EES1_PKS1_PKT2_SA_S7_PKT4_PKT5_S5_PT6_21rocsparse_index_base_b.uses_vcc, 1
	.set _ZN9rocsparseL18bsrxmvn_4x4_kernelILj128ELj8EfiifffEEvT3_20rocsparse_direction_NS_24const_host_device_scalarIT1_EES1_PKS1_PKT2_SA_S7_PKT4_PKT5_S5_PT6_21rocsparse_index_base_b.uses_flat_scratch, 0
	.set _ZN9rocsparseL18bsrxmvn_4x4_kernelILj128ELj8EfiifffEEvT3_20rocsparse_direction_NS_24const_host_device_scalarIT1_EES1_PKS1_PKT2_SA_S7_PKT4_PKT5_S5_PT6_21rocsparse_index_base_b.has_dyn_sized_stack, 0
	.set _ZN9rocsparseL18bsrxmvn_4x4_kernelILj128ELj8EfiifffEEvT3_20rocsparse_direction_NS_24const_host_device_scalarIT1_EES1_PKS1_PKT2_SA_S7_PKT4_PKT5_S5_PT6_21rocsparse_index_base_b.has_recursion, 0
	.set _ZN9rocsparseL18bsrxmvn_4x4_kernelILj128ELj8EfiifffEEvT3_20rocsparse_direction_NS_24const_host_device_scalarIT1_EES1_PKS1_PKT2_SA_S7_PKT4_PKT5_S5_PT6_21rocsparse_index_base_b.has_indirect_call, 0
	.section	.AMDGPU.csdata,"",@progbits
; Kernel info:
; codeLenInByte = 3720
; TotalNumSgprs: 20
; NumVgprs: 73
; ScratchSize: 0
; MemoryBound: 1
; FloatMode: 240
; IeeeMode: 1
; LDSByteSize: 0 bytes/workgroup (compile time only)
; SGPRBlocks: 0
; VGPRBlocks: 4
; NumSGPRsForWavesPerEU: 20
; NumVGPRsForWavesPerEU: 73
; NamedBarCnt: 0
; Occupancy: 12
; WaveLimiterHint : 1
; COMPUTE_PGM_RSRC2:SCRATCH_EN: 0
; COMPUTE_PGM_RSRC2:USER_SGPR: 2
; COMPUTE_PGM_RSRC2:TRAP_HANDLER: 0
; COMPUTE_PGM_RSRC2:TGID_X_EN: 1
; COMPUTE_PGM_RSRC2:TGID_Y_EN: 0
; COMPUTE_PGM_RSRC2:TGID_Z_EN: 0
; COMPUTE_PGM_RSRC2:TIDIG_COMP_CNT: 0
	.section	.text._ZN9rocsparseL18bsrxmvn_4x4_kernelILj128ELj16EfiifffEEvT3_20rocsparse_direction_NS_24const_host_device_scalarIT1_EES1_PKS1_PKT2_SA_S7_PKT4_PKT5_S5_PT6_21rocsparse_index_base_b,"axG",@progbits,_ZN9rocsparseL18bsrxmvn_4x4_kernelILj128ELj16EfiifffEEvT3_20rocsparse_direction_NS_24const_host_device_scalarIT1_EES1_PKS1_PKT2_SA_S7_PKT4_PKT5_S5_PT6_21rocsparse_index_base_b,comdat
	.globl	_ZN9rocsparseL18bsrxmvn_4x4_kernelILj128ELj16EfiifffEEvT3_20rocsparse_direction_NS_24const_host_device_scalarIT1_EES1_PKS1_PKT2_SA_S7_PKT4_PKT5_S5_PT6_21rocsparse_index_base_b ; -- Begin function _ZN9rocsparseL18bsrxmvn_4x4_kernelILj128ELj16EfiifffEEvT3_20rocsparse_direction_NS_24const_host_device_scalarIT1_EES1_PKS1_PKT2_SA_S7_PKT4_PKT5_S5_PT6_21rocsparse_index_base_b
	.p2align	8
	.type	_ZN9rocsparseL18bsrxmvn_4x4_kernelILj128ELj16EfiifffEEvT3_20rocsparse_direction_NS_24const_host_device_scalarIT1_EES1_PKS1_PKT2_SA_S7_PKT4_PKT5_S5_PT6_21rocsparse_index_base_b,@function
_ZN9rocsparseL18bsrxmvn_4x4_kernelILj128ELj16EfiifffEEvT3_20rocsparse_direction_NS_24const_host_device_scalarIT1_EES1_PKS1_PKT2_SA_S7_PKT4_PKT5_S5_PT6_21rocsparse_index_base_b: ; @_ZN9rocsparseL18bsrxmvn_4x4_kernelILj128ELj16EfiifffEEvT3_20rocsparse_direction_NS_24const_host_device_scalarIT1_EES1_PKS1_PKT2_SA_S7_PKT4_PKT5_S5_PT6_21rocsparse_index_base_b
; %bb.0:
	s_clause 0x2
	s_load_b64 s[16:17], s[0:1], 0x58
	s_load_b64 s[12:13], s[0:1], 0x8
	;; [unrolled: 1-line block ×3, first 2 shown]
	s_wait_kmcnt 0x0
	s_bitcmp1_b32 s17, 0
	s_cselect_b32 s2, -1, 0
	s_delay_alu instid0(SALU_CYCLE_1)
	s_and_b32 vcc_lo, exec_lo, s2
	s_xor_b32 s2, s2, -1
	s_cbranch_vccnz .LBB2_2
; %bb.1:
	s_load_b32 s12, s[12:13], 0x0
.LBB2_2:
	s_and_not1_b32 vcc_lo, exec_lo, s2
	s_cbranch_vccnz .LBB2_4
; %bb.3:
	s_load_b32 s14, s[14:15], 0x0
.LBB2_4:
	s_wait_kmcnt 0x0
	s_cmp_neq_f32 s12, 0
	s_mov_b32 s6, 0
	s_cselect_b32 s2, -1, 0
	s_cmp_neq_f32 s14, 1.0
	s_cselect_b32 s3, -1, 0
	s_delay_alu instid0(SALU_CYCLE_1) | instskip(NEXT) | instid1(SALU_CYCLE_1)
	s_or_b32 s2, s2, s3
	s_and_not1_b32 vcc_lo, exec_lo, s2
	s_cbranch_vccnz .LBB2_10
; %bb.5:
	s_clause 0x1
	s_load_b64 s[4:5], s[0:1], 0x18
	s_load_b64 s[2:3], s[0:1], 0x0
	s_bfe_u32 s7, ttmp6, 0x4000c
	s_and_b32 s8, ttmp6, 15
	s_add_co_i32 s7, s7, 1
	s_getreg_b32 s9, hwreg(HW_REG_IB_STS2, 6, 4)
	s_mul_i32 s7, ttmp9, s7
	v_lshrrev_b32_e32 v1, 4, v0
	s_add_co_i32 s8, s8, s7
	s_cmp_eq_u32 s9, 0
	s_cselect_b32 s7, ttmp9, s8
	s_delay_alu instid0(VALU_DEP_1) | instid1(SALU_CYCLE_1)
	v_lshl_or_b32 v2, s7, 3, v1
	s_wait_kmcnt 0x0
	s_cmp_lg_u64 s[4:5], 0
	s_cbranch_scc0 .LBB2_11
; %bb.6:
	s_load_b32 s6, s[0:1], 0x10
	s_mov_b32 s7, 0
                                        ; implicit-def: $vgpr1
	s_wait_kmcnt 0x0
	v_cmp_gt_i32_e32 vcc_lo, s6, v2
	s_mov_b32 s6, 0
	s_and_saveexec_b32 s8, vcc_lo
	s_delay_alu instid0(SALU_CYCLE_1)
	s_xor_b32 s8, exec_lo, s8
	s_cbranch_execz .LBB2_8
; %bb.7:
	global_load_b32 v1, v2, s[4:5] scale_offset
	s_mov_b32 s6, exec_lo
	s_wait_loadcnt 0x0
	v_subrev_nc_u32_e32 v1, s16, v1
.LBB2_8:
	s_or_b32 exec_lo, exec_lo, s8
	s_delay_alu instid0(SALU_CYCLE_1)
	s_and_b32 vcc_lo, exec_lo, s7
	s_cbranch_vccz .LBB2_12
.LBB2_9:
	v_cmp_gt_i32_e32 vcc_lo, s2, v2
	s_and_not1_b32 s2, s6, exec_lo
	s_and_b32 s4, vcc_lo, exec_lo
	s_delay_alu instid0(SALU_CYCLE_1) | instskip(NEXT) | instid1(SALU_CYCLE_1)
	s_or_b32 s6, s2, s4
	s_and_saveexec_b32 s2, s6
	s_cbranch_execnz .LBB2_13
.LBB2_10:
	s_sendmsg sendmsg(MSG_DEALLOC_VGPRS)
	s_endpgm
.LBB2_11:
                                        ; implicit-def: $vgpr1
	s_cbranch_execnz .LBB2_9
.LBB2_12:
	s_delay_alu instid0(VALU_DEP_1)
	v_mov_b32_e32 v2, v1
	s_and_saveexec_b32 s2, s6
	s_cbranch_execz .LBB2_10
.LBB2_13:
	s_load_b256 s[4:11], s[0:1], 0x20
	s_wait_kmcnt 0x0
	s_cmp_eq_u64 s[6:7], 0
	global_load_b32 v12, v2, s[4:5] scale_offset
	s_cselect_b32 vcc_lo, -1, 0
	v_ashrrev_i32_e32 v3, 31, v2
	s_cmp_eq_u32 s3, 1
	s_delay_alu instid0(VALU_DEP_1) | instskip(SKIP_1) | instid1(VALU_DEP_2)
	v_lshlrev_b64_e32 v[4:5], 2, v[2:3]
	v_and_b32_e32 v3, 15, v0
	v_add_nc_u64_e32 v[6:7], s[4:5], v[4:5]
	v_add_nc_u64_e32 v[4:5], s[6:7], v[4:5]
	s_wait_xcnt 0x0
	s_load_b64 s[4:5], s[0:1], 0x40
	s_delay_alu instid0(VALU_DEP_2) | instskip(NEXT) | instid1(VALU_DEP_1)
	v_add_nc_u64_e32 v[6:7], 4, v[6:7]
	v_dual_cndmask_b32 v5, v5, v7 :: v_dual_cndmask_b32 v4, v4, v6
	global_load_b32 v6, v[4:5], off
	s_wait_loadcnt 0x1
	v_subrev_nc_u32_e32 v0, s16, v12
	s_delay_alu instid0(VALU_DEP_1) | instskip(NEXT) | instid1(VALU_DEP_1)
	v_add_nc_u32_e32 v0, v0, v3
	v_ashrrev_i32_e32 v1, 31, v0
	s_wait_xcnt 0x0
	s_delay_alu instid0(VALU_DEP_1) | instskip(NEXT) | instid1(VALU_DEP_1)
	v_lshlrev_b64_e32 v[4:5], 6, v[0:1]
	v_add_nc_u64_e32 v[4:5], s[10:11], v[4:5]
	s_wait_loadcnt 0x0
	v_subrev_nc_u32_e32 v1, s16, v6
	s_delay_alu instid0(VALU_DEP_1)
	v_cmp_lt_i32_e64 s2, v0, v1
	s_cbranch_scc1 .LBB2_25
; %bb.14:
	v_dual_mov_b32 v7, 0 :: v_dual_mov_b32 v6, 0
	v_dual_mov_b32 v9, 0 :: v_dual_mov_b32 v8, 0
	s_and_saveexec_b32 s3, s2
	s_cbranch_execz .LBB2_24
; %bb.15:
	v_dual_add_nc_u32 v6, v12, v3 :: v_dual_mov_b32 v8, 0
	v_not_b32_e32 v7, v12
	v_mov_b32_e32 v13, v0
	s_delay_alu instid0(VALU_DEP_3) | instskip(NEXT) | instid1(VALU_DEP_4)
	v_subrev_nc_u32_e32 v6, s16, v6
	v_mov_b32_e32 v9, v8
	s_delay_alu instid0(VALU_DEP_2) | instskip(NEXT) | instid1(VALU_DEP_1)
	v_add_max_i32_e64 v6, v6, 16, v1
	v_add3_u32 v6, s16, v6, v7
	s_delay_alu instid0(VALU_DEP_1) | instskip(NEXT) | instid1(VALU_DEP_1)
	v_dual_mov_b32 v7, v8 :: v_dual_sub_nc_u32 v14, v6, v3
	v_dual_mov_b32 v6, v8 :: v_dual_bitop2_b32 v10, 48, v14 bitop3:0x40
	s_delay_alu instid0(VALU_DEP_1)
	v_cmp_ne_u32_e32 vcc_lo, 48, v10
	v_mov_b64_e32 v[10:11], v[4:5]
	s_and_saveexec_b32 s6, vcc_lo
	s_cbranch_execz .LBB2_19
; %bb.16:
	v_dual_mov_b32 v7, 0 :: v_dual_lshrrev_b32 v6, 4, v14
	v_mov_b64_e32 v[10:11], v[4:5]
	s_mov_b32 s7, 0
	s_delay_alu instid0(VALU_DEP_2) | instskip(NEXT) | instid1(VALU_DEP_1)
	v_dual_mov_b32 v13, v0 :: v_dual_add_nc_u32 v6, 1, v6
	v_dual_mov_b32 v6, v7 :: v_dual_bitop2_b32 v8, 3, v6 bitop3:0x40
	s_delay_alu instid0(VALU_DEP_1)
	v_dual_mov_b32 v9, v7 :: v_dual_sub_nc_u32 v15, 0, v8
	v_mov_b32_e32 v8, v7
.LBB2_17:                               ; =>This Inner Loop Header: Depth=1
	global_load_b32 v16, v13, s[8:9] scale_offset
	v_add_co_u32 v15, s10, v15, 1
	s_or_b32 s7, s10, s7
	s_wait_xcnt 0x0
	v_add_nc_u32_e32 v13, 16, v13
	s_wait_loadcnt 0x0
	v_subrev_nc_u32_e32 v16, s16, v16
	s_delay_alu instid0(VALU_DEP_1)
	v_lshlrev_b32_e32 v32, 2, v16
	s_clause 0x3
	global_load_b128 v[16:19], v[10:11], off offset:16
	global_load_b128 v[20:23], v[10:11], off
	global_load_b128 v[24:27], v[10:11], off offset:48
	global_load_b128 v[28:31], v[10:11], off offset:32
	s_wait_xcnt 0x0
	v_add_nc_u64_e32 v[10:11], 0x400, v[10:11]
	s_wait_loadcnt 0x2
	v_dual_mov_b32 v36, v20 :: v_dual_ashrrev_i32 v33, 31, v32
	s_wait_loadcnt 0x0
	v_dual_mov_b32 v37, v16 :: v_dual_mov_b32 v38, v28
	v_dual_mov_b32 v39, v24 :: v_dual_mov_b32 v16, v21
	v_mov_b32_e32 v20, v22
	s_wait_kmcnt 0x0
	v_lshl_add_u64 v[32:33], v[32:33], 2, s[4:5]
	v_dual_mov_b32 v24, v29 :: v_dual_mov_b32 v21, v18
	v_dual_mov_b32 v28, v30 :: v_dual_mov_b32 v29, v26
	global_load_b128 v[32:35], v[32:33], off
	v_dual_mov_b32 v18, v23 :: v_dual_mov_b32 v26, v31
	s_wait_loadcnt 0x0
	v_pk_fma_f32 v[8:9], v[36:37], v[32:33], v[8:9] op_sel_hi:[1,0,1]
	v_pk_fma_f32 v[6:7], v[38:39], v[32:33], v[6:7] op_sel_hi:[1,0,1]
	s_delay_alu instid0(VALU_DEP_2) | instskip(NEXT) | instid1(VALU_DEP_2)
	v_pk_fma_f32 v[8:9], v[16:17], v[32:33], v[8:9] op_sel:[0,1,0]
	v_pk_fma_f32 v[6:7], v[24:25], v[32:33], v[6:7] op_sel:[0,1,0]
	v_mov_b32_e32 v16, v35
	s_delay_alu instid0(VALU_DEP_3) | instskip(NEXT) | instid1(VALU_DEP_3)
	v_pk_fma_f32 v[8:9], v[20:21], v[34:35], v[8:9] op_sel_hi:[1,0,1]
	v_pk_fma_f32 v[6:7], v[28:29], v[34:35], v[6:7] op_sel_hi:[1,0,1]
	s_delay_alu instid0(VALU_DEP_2) | instskip(NEXT) | instid1(VALU_DEP_2)
	v_pk_fma_f32 v[8:9], v[18:19], v[16:17], v[8:9] op_sel_hi:[1,0,1]
	v_pk_fma_f32 v[6:7], v[26:27], v[16:17], v[6:7] op_sel_hi:[1,0,1]
	s_and_not1_b32 exec_lo, exec_lo, s7
	s_cbranch_execnz .LBB2_17
; %bb.18:
	s_or_b32 exec_lo, exec_lo, s7
.LBB2_19:
	s_delay_alu instid0(SALU_CYCLE_1) | instskip(NEXT) | instid1(SALU_CYCLE_1)
	s_or_b32 exec_lo, exec_lo, s6
	s_mov_b32 s6, exec_lo
	v_cmpx_lt_u32_e32 47, v14
	s_cbranch_execz .LBB2_23
; %bb.20:
	s_mov_b32 s7, 0
.LBB2_21:                               ; =>This Inner Loop Header: Depth=1
	s_clause 0x7
	global_load_b128 v[14:17], v[10:11], off
	global_load_b128 v[18:21], v[10:11], off offset:16
	global_load_b128 v[22:25], v[10:11], off offset:32
	global_load_b128 v[26:29], v[10:11], off offset:48
	global_load_b128 v[30:33], v[10:11], off offset:1024
	global_load_b128 v[34:37], v[10:11], off offset:1040
	global_load_b128 v[38:41], v[10:11], off offset:1056
	global_load_b128 v[42:45], v[10:11], off offset:1072
	s_clause 0x1
	global_load_b32 v68, v13, s[8:9] scale_offset
	global_load_b32 v70, v13, s[8:9] offset:64 scale_offset
	s_clause 0x1
	global_load_b128 v[46:49], v[10:11], off offset:2096
	global_load_b128 v[50:53], v[10:11], off offset:2080
	s_clause 0x1
	global_load_b32 v71, v13, s[8:9] offset:128 scale_offset
	global_load_b32 v72, v13, s[8:9] offset:192 scale_offset
	s_wait_xcnt 0x0
	v_add_nc_u32_e32 v13, 64, v13
	s_delay_alu instid0(VALU_DEP_1)
	v_cmp_ge_i32_e32 vcc_lo, v13, v1
	s_or_b32 s7, vcc_lo, s7
	s_wait_loadcnt 0xc
	v_dual_mov_b32 v54, v14 :: v_dual_mov_b32 v55, v18
	v_dual_mov_b32 v18, v15 :: v_dual_mov_b32 v56, v16
	;; [unrolled: 1-line block ×3, first 2 shown]
	s_wait_loadcnt 0x8
	v_dual_mov_b32 v62, v30 :: v_dual_mov_b32 v63, v34
	s_wait_loadcnt 0x5
	v_subrev_nc_u32_e32 v14, s16, v68
	s_wait_loadcnt 0x4
	v_subrev_nc_u32_e32 v15, s16, v70
	v_dual_mov_b32 v34, v31 :: v_dual_mov_b32 v64, v32
	v_dual_mov_b32 v65, v36 :: v_dual_mov_b32 v36, v33
	s_delay_alu instid0(VALU_DEP_3) | instskip(SKIP_2) | instid1(VALU_DEP_3)
	v_dual_lshlrev_b32 v14, 2, v14 :: v_dual_lshlrev_b32 v16, 2, v15
	v_dual_mov_b32 v58, v22 :: v_dual_mov_b32 v59, v26
	v_dual_mov_b32 v26, v23 :: v_dual_mov_b32 v60, v24
	v_dual_ashrrev_i32 v15, 31, v14 :: v_dual_ashrrev_i32 v17, 31, v16
	v_dual_mov_b32 v61, v28 :: v_dual_mov_b32 v28, v25
	v_dual_mov_b32 v66, v38 :: v_dual_mov_b32 v67, v42
	s_wait_kmcnt 0x0
	s_delay_alu instid0(VALU_DEP_3)
	v_lshl_add_u64 v[30:31], v[14:15], 2, s[4:5]
	v_lshl_add_u64 v[32:33], v[16:17], 2, s[4:5]
	s_clause 0x1
	global_load_b128 v[14:17], v[30:31], off
	global_load_b128 v[22:25], v[32:33], off
	v_dual_mov_b32 v42, v39 :: v_dual_mov_b32 v68, v40
	v_dual_mov_b32 v69, v44 :: v_dual_mov_b32 v44, v41
	global_load_b128 v[30:33], v[10:11], off offset:2064
	s_wait_loadcnt 0x2
	v_pk_fma_f32 v[8:9], v[54:55], v[14:15], v[8:9] op_sel_hi:[1,0,1]
	v_pk_fma_f32 v[38:39], v[58:59], v[14:15], v[6:7] op_sel_hi:[1,0,1]
	v_subrev_nc_u32_e32 v58, s16, v72
	s_delay_alu instid0(VALU_DEP_3) | instskip(NEXT) | instid1(VALU_DEP_3)
	v_pk_fma_f32 v[6:7], v[18:19], v[14:15], v[8:9] op_sel:[0,1,0]
	v_pk_fma_f32 v[14:15], v[26:27], v[14:15], v[38:39] op_sel:[0,1,0]
	s_delay_alu instid0(VALU_DEP_3) | instskip(NEXT) | instid1(VALU_DEP_3)
	v_dual_mov_b32 v38, v17 :: v_dual_lshlrev_b32 v58, 2, v58
	v_pk_fma_f32 v[18:19], v[56:57], v[16:17], v[6:7] op_sel_hi:[1,0,1]
	s_delay_alu instid0(VALU_DEP_3)
	v_pk_fma_f32 v[26:27], v[60:61], v[16:17], v[14:15] op_sel_hi:[1,0,1]
	global_load_b128 v[6:9], v[10:11], off offset:2048
	v_ashrrev_i32_e32 v59, 31, v58
	global_load_b128 v[14:17], v[10:11], off offset:3088
	v_pk_fma_f32 v[40:41], v[20:21], v[38:39], v[18:19] op_sel_hi:[1,0,1]
	v_subrev_nc_u32_e32 v39, s16, v71
	global_load_b128 v[18:21], v[10:11], off offset:3072
	v_lshl_add_u64 v[58:59], v[58:59], 2, s[4:5]
	s_wait_loadcnt 0x4
	v_pk_fma_f32 v[56:57], v[62:63], v[22:23], v[40:41] op_sel_hi:[1,0,1]
	v_pk_fma_f32 v[54:55], v[28:29], v[38:39], v[26:27] op_sel_hi:[1,0,1]
	v_lshlrev_b32_e32 v38, 2, v39
	global_load_b128 v[26:29], v[10:11], off offset:3104
	v_pk_fma_f32 v[34:35], v[34:35], v[22:23], v[56:57] op_sel:[0,1,0]
	v_pk_fma_f32 v[60:61], v[66:67], v[22:23], v[54:55] op_sel_hi:[1,0,1]
	v_ashrrev_i32_e32 v39, 31, v38
	global_load_b128 v[54:57], v[10:11], off offset:3120
	s_wait_xcnt 0x0
	v_add_nc_u64_e32 v[10:11], 0x1000, v[10:11]
	v_pk_fma_f32 v[34:35], v[64:65], v[24:25], v[34:35] op_sel_hi:[1,0,1]
	v_pk_fma_f32 v[22:23], v[42:43], v[22:23], v[60:61] op_sel:[0,1,0]
	v_lshl_add_u64 v[38:39], v[38:39], 2, s[4:5]
	global_load_b128 v[58:61], v[58:59], off
	s_wait_loadcnt 0x6
	v_mov_b32_e32 v43, v30
	v_pk_fma_f32 v[22:23], v[68:69], v[24:25], v[22:23] op_sel_hi:[1,0,1]
	global_load_b128 v[38:41], v[38:39], off
	s_wait_loadcnt 0x6
	v_dual_mov_b32 v24, v25 :: v_dual_mov_b32 v42, v6
	v_mov_b32_e32 v30, v7
	s_delay_alu instid0(VALU_DEP_2)
	v_pk_fma_f32 v[6:7], v[36:37], v[24:25], v[34:35] op_sel_hi:[1,0,1]
	v_dual_mov_b32 v34, v50 :: v_dual_mov_b32 v35, v46
	v_pk_fma_f32 v[22:23], v[44:45], v[24:25], v[22:23] op_sel_hi:[1,0,1]
	v_dual_mov_b32 v46, v51 :: v_dual_mov_b32 v24, v8
	v_dual_mov_b32 v25, v32 :: v_dual_mov_b32 v32, v9
	;; [unrolled: 1-line block ×3, first 2 shown]
	v_mov_b32_e32 v48, v53
	s_wait_loadcnt 0x0
	v_pk_fma_f32 v[6:7], v[42:43], v[38:39], v[6:7] op_sel_hi:[1,0,1]
	v_pk_fma_f32 v[22:23], v[34:35], v[38:39], v[22:23] op_sel_hi:[1,0,1]
	s_delay_alu instid0(VALU_DEP_2) | instskip(NEXT) | instid1(VALU_DEP_2)
	v_pk_fma_f32 v[6:7], v[30:31], v[38:39], v[6:7] op_sel:[0,1,0]
	v_pk_fma_f32 v[22:23], v[46:47], v[38:39], v[22:23] op_sel:[0,1,0]
	v_dual_mov_b32 v30, v18 :: v_dual_mov_b32 v18, v41
	v_mov_b32_e32 v31, v14
	s_delay_alu instid0(VALU_DEP_4) | instskip(NEXT) | instid1(VALU_DEP_4)
	v_pk_fma_f32 v[6:7], v[24:25], v[40:41], v[6:7] op_sel_hi:[1,0,1]
	v_pk_fma_f32 v[8:9], v[8:9], v[40:41], v[22:23] op_sel_hi:[1,0,1]
	v_dual_mov_b32 v22, v26 :: v_dual_mov_b32 v23, v54
	v_mov_b32_e32 v14, v19
	s_delay_alu instid0(VALU_DEP_4) | instskip(NEXT) | instid1(VALU_DEP_4)
	v_pk_fma_f32 v[6:7], v[32:33], v[18:19], v[6:7] op_sel_hi:[1,0,1]
	v_pk_fma_f32 v[8:9], v[48:49], v[18:19], v[8:9] op_sel_hi:[1,0,1]
	;; [unrolled: 5-line block ×3, first 2 shown]
	v_dual_mov_b32 v22, v28 :: v_dual_mov_b32 v23, v56
	v_dual_mov_b32 v16, v21 :: v_dual_mov_b32 v56, v29
	s_delay_alu instid0(VALU_DEP_4) | instskip(NEXT) | instid1(VALU_DEP_4)
	v_pk_fma_f32 v[6:7], v[14:15], v[58:59], v[6:7] op_sel:[0,1,0]
	v_pk_fma_f32 v[8:9], v[54:55], v[58:59], v[8:9] op_sel:[0,1,0]
	v_mov_b32_e32 v14, v61
	s_delay_alu instid0(VALU_DEP_3) | instskip(NEXT) | instid1(VALU_DEP_3)
	v_pk_fma_f32 v[6:7], v[18:19], v[60:61], v[6:7] op_sel_hi:[1,0,1]
	v_pk_fma_f32 v[18:19], v[22:23], v[60:61], v[8:9] op_sel_hi:[1,0,1]
	s_delay_alu instid0(VALU_DEP_2) | instskip(NEXT) | instid1(VALU_DEP_2)
	v_pk_fma_f32 v[8:9], v[16:17], v[14:15], v[6:7] op_sel_hi:[1,0,1]
	v_pk_fma_f32 v[6:7], v[56:57], v[14:15], v[18:19] op_sel_hi:[1,0,1]
	s_and_not1_b32 exec_lo, exec_lo, s7
	s_cbranch_execnz .LBB2_21
; %bb.22:
	s_or_b32 exec_lo, exec_lo, s7
.LBB2_23:
	s_delay_alu instid0(SALU_CYCLE_1)
	s_or_b32 exec_lo, exec_lo, s6
.LBB2_24:
	s_delay_alu instid0(SALU_CYCLE_1)
	s_or_b32 exec_lo, exec_lo, s3
	s_cbranch_execz .LBB2_26
	s_branch .LBB2_37
.LBB2_25:
                                        ; implicit-def: $vgpr7
                                        ; implicit-def: $vgpr9
.LBB2_26:
	v_dual_mov_b32 v7, 0 :: v_dual_mov_b32 v6, 0
	v_dual_mov_b32 v9, 0 :: v_dual_mov_b32 v8, 0
	s_and_saveexec_b32 s3, s2
	s_cbranch_execz .LBB2_36
; %bb.27:
	v_dual_add_nc_u32 v6, v12, v3 :: v_dual_mov_b32 v8, 0
	v_not_b32_e32 v7, v12
	s_delay_alu instid0(VALU_DEP_2) | instskip(NEXT) | instid1(VALU_DEP_3)
	v_subrev_nc_u32_e32 v6, s16, v6
	v_mov_b32_e32 v9, v8
	s_delay_alu instid0(VALU_DEP_2) | instskip(NEXT) | instid1(VALU_DEP_1)
	v_add_max_i32_e64 v6, v6, 16, v1
	v_add3_u32 v6, s16, v6, v7
	s_delay_alu instid0(VALU_DEP_1) | instskip(NEXT) | instid1(VALU_DEP_1)
	v_dual_sub_nc_u32 v10, v6, v3 :: v_dual_mov_b32 v6, v8
	v_and_b32_e32 v7, 48, v10
	s_delay_alu instid0(VALU_DEP_1)
	v_cmp_ne_u32_e32 vcc_lo, 48, v7
	v_mov_b32_e32 v7, v8
	s_and_saveexec_b32 s2, vcc_lo
	s_cbranch_execz .LBB2_31
; %bb.28:
	v_dual_mov_b32 v7, 0 :: v_dual_lshrrev_b32 v6, 4, v10
	s_mov_b32 s6, 0
	s_delay_alu instid0(VALU_DEP_1) | instskip(NEXT) | instid1(VALU_DEP_1)
	v_dual_mov_b32 v9, v7 :: v_dual_add_nc_u32 v6, 1, v6
	v_dual_mov_b32 v6, v7 :: v_dual_bitop2_b32 v8, 3, v6 bitop3:0x40
	s_delay_alu instid0(VALU_DEP_1)
	v_dual_mov_b32 v8, v7 :: v_dual_sub_nc_u32 v11, 0, v8
.LBB2_29:                               ; =>This Inner Loop Header: Depth=1
	global_load_b32 v12, v0, s[8:9] scale_offset
	s_wait_xcnt 0x0
	v_add_nc_u32_e32 v0, 16, v0
	v_add_co_u32 v11, s7, v11, 1
	s_or_b32 s6, s7, s6
	s_wait_loadcnt 0x0
	v_subrev_nc_u32_e32 v12, s16, v12
	s_delay_alu instid0(VALU_DEP_1) | instskip(NEXT) | instid1(VALU_DEP_1)
	v_lshlrev_b32_e32 v12, 2, v12
	v_ashrrev_i32_e32 v13, 31, v12
	s_wait_kmcnt 0x0
	s_delay_alu instid0(VALU_DEP_1)
	v_lshl_add_u64 v[32:33], v[12:13], 2, s[4:5]
	s_clause 0x1
	global_load_b128 v[12:15], v[4:5], off offset:16
	global_load_b128 v[16:19], v[4:5], off
	global_load_b128 v[20:23], v[32:33], off
	s_clause 0x1
	global_load_b128 v[24:27], v[4:5], off offset:32
	global_load_b128 v[28:31], v[4:5], off offset:48
	s_wait_xcnt 0x0
	v_add_nc_u64_e32 v[4:5], 0x400, v[4:5]
	s_wait_loadcnt 0x2
	v_pk_fma_f32 v[8:9], v[16:17], v[20:21], v[8:9] op_sel_hi:[1,0,1]
	v_pk_fma_f32 v[6:7], v[18:19], v[20:21], v[6:7] op_sel_hi:[1,0,1]
	s_delay_alu instid0(VALU_DEP_2) | instskip(NEXT) | instid1(VALU_DEP_2)
	v_pk_fma_f32 v[8:9], v[12:13], v[20:21], v[8:9] op_sel:[0,1,0]
	v_pk_fma_f32 v[6:7], v[14:15], v[20:21], v[6:7] op_sel:[0,1,0]
	v_mov_b32_e32 v12, v23
	s_wait_loadcnt 0x1
	s_delay_alu instid0(VALU_DEP_3) | instskip(NEXT) | instid1(VALU_DEP_3)
	v_pk_fma_f32 v[8:9], v[24:25], v[22:23], v[8:9] op_sel_hi:[1,0,1]
	v_pk_fma_f32 v[6:7], v[26:27], v[22:23], v[6:7] op_sel_hi:[1,0,1]
	s_wait_loadcnt 0x0
	s_delay_alu instid0(VALU_DEP_2) | instskip(NEXT) | instid1(VALU_DEP_2)
	v_pk_fma_f32 v[8:9], v[28:29], v[12:13], v[8:9] op_sel_hi:[1,0,1]
	v_pk_fma_f32 v[6:7], v[30:31], v[12:13], v[6:7] op_sel_hi:[1,0,1]
	s_and_not1_b32 exec_lo, exec_lo, s6
	s_cbranch_execnz .LBB2_29
; %bb.30:
	s_or_b32 exec_lo, exec_lo, s6
.LBB2_31:
	s_delay_alu instid0(SALU_CYCLE_1) | instskip(NEXT) | instid1(SALU_CYCLE_1)
	s_or_b32 exec_lo, exec_lo, s2
	s_mov_b32 s2, exec_lo
	v_cmpx_lt_u32_e32 47, v10
	s_cbranch_execz .LBB2_35
; %bb.32:
	s_mov_b32 s6, 0
.LBB2_33:                               ; =>This Inner Loop Header: Depth=1
	s_clause 0x2
	global_load_b32 v38, v0, s[8:9] scale_offset
	global_load_b32 v39, v0, s[8:9] offset:64 scale_offset
	global_load_b32 v40, v0, s[8:9] offset:128 scale_offset
	s_clause 0x6
	global_load_b128 v[10:13], v[4:5], off offset:48
	global_load_b128 v[14:17], v[4:5], off offset:32
	;; [unrolled: 1-line block ×3, first 2 shown]
	global_load_b128 v[22:25], v[4:5], off
	global_load_b128 v[26:29], v[4:5], off offset:1056
	global_load_b128 v[30:33], v[4:5], off offset:1040
	;; [unrolled: 1-line block ×3, first 2 shown]
	global_load_b32 v62, v0, s[8:9] offset:192 scale_offset
	s_wait_xcnt 0x0
	v_add_nc_u32_e32 v0, 64, v0
	s_delay_alu instid0(VALU_DEP_1)
	v_cmp_ge_i32_e32 vcc_lo, v0, v1
	s_or_b32 s6, vcc_lo, s6
	s_wait_loadcnt 0xa
	v_subrev_nc_u32_e32 v38, s16, v38
	s_wait_loadcnt 0x9
	v_subrev_nc_u32_e32 v39, s16, v39
	;; [unrolled: 2-line block ×3, first 2 shown]
	s_delay_alu instid0(VALU_DEP_2) | instskip(NEXT) | instid1(VALU_DEP_1)
	v_dual_lshlrev_b32 v38, 2, v38 :: v_dual_lshlrev_b32 v40, 2, v39
	v_dual_ashrrev_i32 v39, 31, v38 :: v_dual_ashrrev_i32 v41, 31, v40
	s_wait_kmcnt 0x0
	s_delay_alu instid0(VALU_DEP_1) | instskip(NEXT) | instid1(VALU_DEP_2)
	v_lshl_add_u64 v[58:59], v[38:39], 2, s[4:5]
	v_lshl_add_u64 v[60:61], v[40:41], 2, s[4:5]
	s_clause 0x1
	global_load_b128 v[38:41], v[58:59], off
	global_load_b128 v[42:45], v[60:61], off
	s_clause 0x2
	global_load_b128 v[46:49], v[4:5], off offset:1072
	global_load_b128 v[50:53], v[4:5], off offset:2096
	;; [unrolled: 1-line block ×3, first 2 shown]
	s_wait_xcnt 0x4
	v_lshlrev_b32_e32 v58, 2, v63
	s_delay_alu instid0(VALU_DEP_1)
	v_ashrrev_i32_e32 v59, 31, v58
	s_wait_loadcnt 0x4
	v_pk_fma_f32 v[22:23], v[22:23], v[38:39], v[8:9] op_sel_hi:[1,0,1]
	v_pk_fma_f32 v[24:25], v[24:25], v[38:39], v[6:7] op_sel_hi:[1,0,1]
	global_load_b128 v[6:9], v[4:5], off offset:2064
	v_pk_fma_f32 v[22:23], v[18:19], v[38:39], v[22:23] op_sel:[0,1,0]
	v_pk_fma_f32 v[24:25], v[20:21], v[38:39], v[24:25] op_sel:[0,1,0]
	v_lshl_add_u64 v[38:39], v[58:59], 2, s[4:5]
	global_load_b128 v[18:21], v[4:5], off offset:2048
	v_subrev_nc_u32_e32 v58, s16, v62
	v_pk_fma_f32 v[22:23], v[14:15], v[40:41], v[22:23] op_sel_hi:[1,0,1]
	v_pk_fma_f32 v[24:25], v[16:17], v[40:41], v[24:25] op_sel_hi:[1,0,1]
	global_load_b128 v[14:17], v[38:39], off
	s_wait_xcnt 0x0
	v_dual_mov_b32 v40, v41 :: v_dual_lshlrev_b32 v38, 2, v58
	s_delay_alu instid0(VALU_DEP_1) | instskip(NEXT) | instid1(VALU_DEP_2)
	v_pk_fma_f32 v[58:59], v[10:11], v[40:41], v[22:23] op_sel_hi:[1,0,1]
	v_ashrrev_i32_e32 v39, 31, v38
	v_pk_fma_f32 v[40:41], v[12:13], v[40:41], v[24:25] op_sel_hi:[1,0,1]
	s_clause 0x1
	global_load_b128 v[10:13], v[4:5], off offset:3088
	global_load_b128 v[22:25], v[4:5], off offset:3072
	s_wait_loadcnt 0x8
	v_pk_fma_f32 v[58:59], v[34:35], v[42:43], v[58:59] op_sel_hi:[1,0,1]
	v_lshl_add_u64 v[38:39], v[38:39], 2, s[4:5]
	v_pk_fma_f32 v[40:41], v[36:37], v[42:43], v[40:41] op_sel_hi:[1,0,1]
	global_load_b128 v[34:37], v[38:39], off
	s_wait_xcnt 0x0
	v_pk_fma_f32 v[38:39], v[30:31], v[42:43], v[58:59] op_sel:[0,1,0]
	v_pk_fma_f32 v[40:41], v[32:33], v[42:43], v[40:41] op_sel:[0,1,0]
	global_load_b128 v[30:33], v[4:5], off offset:3104
	v_mov_b32_e32 v42, v45
	v_pk_fma_f32 v[38:39], v[26:27], v[44:45], v[38:39] op_sel_hi:[1,0,1]
	v_pk_fma_f32 v[40:41], v[28:29], v[44:45], v[40:41] op_sel_hi:[1,0,1]
	global_load_b128 v[26:29], v[4:5], off offset:3120
	s_wait_xcnt 0x0
	v_add_nc_u64_e32 v[4:5], 0x1000, v[4:5]
	s_wait_loadcnt 0xa
	v_pk_fma_f32 v[38:39], v[46:47], v[42:43], v[38:39] op_sel_hi:[1,0,1]
	v_pk_fma_f32 v[40:41], v[48:49], v[42:43], v[40:41] op_sel_hi:[1,0,1]
	s_wait_loadcnt 0x5
	s_delay_alu instid0(VALU_DEP_2) | instskip(NEXT) | instid1(VALU_DEP_2)
	v_pk_fma_f32 v[18:19], v[18:19], v[14:15], v[38:39] op_sel_hi:[1,0,1]
	v_pk_fma_f32 v[20:21], v[20:21], v[14:15], v[40:41] op_sel_hi:[1,0,1]
	s_delay_alu instid0(VALU_DEP_2) | instskip(NEXT) | instid1(VALU_DEP_2)
	v_pk_fma_f32 v[6:7], v[6:7], v[14:15], v[18:19] op_sel:[0,1,0]
	v_pk_fma_f32 v[8:9], v[8:9], v[14:15], v[20:21] op_sel:[0,1,0]
	v_mov_b32_e32 v14, v17
	s_delay_alu instid0(VALU_DEP_3) | instskip(NEXT) | instid1(VALU_DEP_3)
	v_pk_fma_f32 v[6:7], v[54:55], v[16:17], v[6:7] op_sel_hi:[1,0,1]
	v_pk_fma_f32 v[8:9], v[56:57], v[16:17], v[8:9] op_sel_hi:[1,0,1]
	s_delay_alu instid0(VALU_DEP_2) | instskip(NEXT) | instid1(VALU_DEP_2)
	v_pk_fma_f32 v[6:7], v[50:51], v[14:15], v[6:7] op_sel_hi:[1,0,1]
	v_pk_fma_f32 v[8:9], v[52:53], v[14:15], v[8:9] op_sel_hi:[1,0,1]
	s_wait_loadcnt 0x2
	s_delay_alu instid0(VALU_DEP_2) | instskip(NEXT) | instid1(VALU_DEP_2)
	v_pk_fma_f32 v[6:7], v[22:23], v[34:35], v[6:7] op_sel_hi:[1,0,1]
	v_pk_fma_f32 v[8:9], v[24:25], v[34:35], v[8:9] op_sel_hi:[1,0,1]
	s_delay_alu instid0(VALU_DEP_2) | instskip(NEXT) | instid1(VALU_DEP_2)
	v_pk_fma_f32 v[6:7], v[10:11], v[34:35], v[6:7] op_sel:[0,1,0]
	v_pk_fma_f32 v[8:9], v[12:13], v[34:35], v[8:9] op_sel:[0,1,0]
	v_mov_b32_e32 v10, v37
	s_wait_loadcnt 0x1
	s_delay_alu instid0(VALU_DEP_3) | instskip(NEXT) | instid1(VALU_DEP_3)
	v_pk_fma_f32 v[6:7], v[30:31], v[36:37], v[6:7] op_sel_hi:[1,0,1]
	v_pk_fma_f32 v[12:13], v[32:33], v[36:37], v[8:9] op_sel_hi:[1,0,1]
	s_wait_loadcnt 0x0
	s_delay_alu instid0(VALU_DEP_2) | instskip(NEXT) | instid1(VALU_DEP_2)
	v_pk_fma_f32 v[8:9], v[26:27], v[10:11], v[6:7] op_sel_hi:[1,0,1]
	v_pk_fma_f32 v[6:7], v[28:29], v[10:11], v[12:13] op_sel_hi:[1,0,1]
	s_and_not1_b32 exec_lo, exec_lo, s6
	s_cbranch_execnz .LBB2_33
; %bb.34:
	s_or_b32 exec_lo, exec_lo, s6
.LBB2_35:
	s_delay_alu instid0(SALU_CYCLE_1)
	s_or_b32 exec_lo, exec_lo, s2
.LBB2_36:
	s_delay_alu instid0(SALU_CYCLE_1)
	s_or_b32 exec_lo, exec_lo, s3
.LBB2_37:
	v_mbcnt_lo_u32_b32 v10, -1, 0
	s_mov_b32 s2, -1
	s_delay_alu instid0(VALU_DEP_1) | instskip(SKIP_1) | instid1(VALU_DEP_1)
	v_xor_b32_e32 v11, 4, v10
	v_xor_b32_e32 v0, 8, v10
	v_cmp_gt_i32_e32 vcc_lo, 32, v0
	v_cndmask_b32_e32 v0, v10, v0, vcc_lo
	s_delay_alu instid0(VALU_DEP_4) | instskip(SKIP_1) | instid1(VALU_DEP_1)
	v_cmp_gt_i32_e32 vcc_lo, 32, v11
	v_cndmask_b32_e32 v11, v10, v11, vcc_lo
	v_dual_lshlrev_b32 v11, 2, v11 :: v_dual_lshlrev_b32 v5, 2, v0
	ds_bpermute_b32 v0, v5, v8
	ds_bpermute_b32 v1, v5, v9
	;; [unrolled: 1-line block ×4, first 2 shown]
	s_wait_dscnt 0x2
	v_pk_add_f32 v[0:1], v[8:9], v[0:1]
	s_wait_dscnt 0x0
	v_pk_add_f32 v[4:5], v[6:7], v[4:5]
	ds_bpermute_b32 v6, v11, v0
	ds_bpermute_b32 v7, v11, v1
	;; [unrolled: 1-line block ×4, first 2 shown]
	v_xor_b32_e32 v11, 2, v10
	s_delay_alu instid0(VALU_DEP_1) | instskip(SKIP_1) | instid1(VALU_DEP_1)
	v_cmp_gt_i32_e32 vcc_lo, 32, v11
	v_cndmask_b32_e32 v11, v10, v11, vcc_lo
	v_lshlrev_b32_e32 v11, 2, v11
	s_wait_dscnt 0x2
	v_pk_add_f32 v[0:1], v[0:1], v[6:7]
	s_wait_dscnt 0x0
	v_pk_add_f32 v[4:5], v[4:5], v[8:9]
	ds_bpermute_b32 v6, v11, v0
	ds_bpermute_b32 v7, v11, v1
	;; [unrolled: 1-line block ×4, first 2 shown]
	v_xor_b32_e32 v11, 1, v10
	s_delay_alu instid0(VALU_DEP_1) | instskip(SKIP_2) | instid1(VALU_DEP_2)
	v_cmp_gt_i32_e32 vcc_lo, 32, v11
	v_cndmask_b32_e32 v10, v10, v11, vcc_lo
	v_cmp_eq_u32_e32 vcc_lo, 15, v3
	v_lshlrev_b32_e32 v10, 2, v10
	s_wait_dscnt 0x2
	v_pk_add_f32 v[0:1], v[0:1], v[6:7]
	s_wait_dscnt 0x0
	v_pk_add_f32 v[6:7], v[4:5], v[8:9]
	ds_bpermute_b32 v4, v10, v0
	ds_bpermute_b32 v5, v10, v1
	;; [unrolled: 1-line block ×4, first 2 shown]
	s_and_b32 exec_lo, exec_lo, vcc_lo
	s_cbranch_execz .LBB2_10
; %bb.38:
	s_load_b64 s[0:1], s[0:1], 0x50
	s_wait_dscnt 0x2
	v_pk_add_f32 v[4:5], v[0:1], v[4:5]
	s_wait_dscnt 0x0
	v_pk_add_f32 v[0:1], v[6:7], v[8:9]
	v_lshlrev_b32_e32 v2, 2, v2
	s_cmp_eq_f32 s14, 0
	s_cbranch_scc0 .LBB2_40
; %bb.39:
	s_delay_alu instid0(VALU_DEP_1)
	v_ashrrev_i32_e32 v3, 31, v2
	v_pk_mul_f32 v[6:7], s[12:13], v[4:5] op_sel_hi:[0,1]
	v_pk_mul_f32 v[8:9], s[12:13], v[0:1] op_sel_hi:[0,1]
	s_mov_b32 s2, 0
	s_wait_kmcnt 0x0
	v_lshl_add_u64 v[10:11], v[2:3], 2, s[0:1]
	global_store_b128 v[10:11], v[6:9], off
.LBB2_40:
	s_and_not1_b32 vcc_lo, exec_lo, s2
	s_cbranch_vccnz .LBB2_10
; %bb.41:
	v_ashrrev_i32_e32 v3, 31, v2
	s_wait_kmcnt 0x0
	s_delay_alu instid0(VALU_DEP_1)
	v_lshl_add_u64 v[10:11], v[2:3], 2, s[0:1]
	v_pk_mul_f32 v[2:3], s[12:13], v[4:5] op_sel_hi:[0,1]
	v_pk_mul_f32 v[4:5], s[12:13], v[0:1] op_sel_hi:[0,1]
	global_load_b128 v[6:9], v[10:11], off
	s_wait_loadcnt 0x0
	v_pk_fma_f32 v[0:1], s[14:15], v[6:7], v[2:3] op_sel_hi:[0,1,1]
	v_pk_fma_f32 v[2:3], s[14:15], v[8:9], v[4:5] op_sel_hi:[0,1,1]
	global_store_b128 v[10:11], v[0:3], off
	s_sendmsg sendmsg(MSG_DEALLOC_VGPRS)
	s_endpgm
	.section	.rodata,"a",@progbits
	.p2align	6, 0x0
	.amdhsa_kernel _ZN9rocsparseL18bsrxmvn_4x4_kernelILj128ELj16EfiifffEEvT3_20rocsparse_direction_NS_24const_host_device_scalarIT1_EES1_PKS1_PKT2_SA_S7_PKT4_PKT5_S5_PT6_21rocsparse_index_base_b
		.amdhsa_group_segment_fixed_size 0
		.amdhsa_private_segment_fixed_size 0
		.amdhsa_kernarg_size 96
		.amdhsa_user_sgpr_count 2
		.amdhsa_user_sgpr_dispatch_ptr 0
		.amdhsa_user_sgpr_queue_ptr 0
		.amdhsa_user_sgpr_kernarg_segment_ptr 1
		.amdhsa_user_sgpr_dispatch_id 0
		.amdhsa_user_sgpr_kernarg_preload_length 0
		.amdhsa_user_sgpr_kernarg_preload_offset 0
		.amdhsa_user_sgpr_private_segment_size 0
		.amdhsa_wavefront_size32 1
		.amdhsa_uses_dynamic_stack 0
		.amdhsa_enable_private_segment 0
		.amdhsa_system_sgpr_workgroup_id_x 1
		.amdhsa_system_sgpr_workgroup_id_y 0
		.amdhsa_system_sgpr_workgroup_id_z 0
		.amdhsa_system_sgpr_workgroup_info 0
		.amdhsa_system_vgpr_workitem_id 0
		.amdhsa_next_free_vgpr 73
		.amdhsa_next_free_sgpr 18
		.amdhsa_named_barrier_count 0
		.amdhsa_reserve_vcc 1
		.amdhsa_float_round_mode_32 0
		.amdhsa_float_round_mode_16_64 0
		.amdhsa_float_denorm_mode_32 3
		.amdhsa_float_denorm_mode_16_64 3
		.amdhsa_fp16_overflow 0
		.amdhsa_memory_ordered 1
		.amdhsa_forward_progress 1
		.amdhsa_inst_pref_size 30
		.amdhsa_round_robin_scheduling 0
		.amdhsa_exception_fp_ieee_invalid_op 0
		.amdhsa_exception_fp_denorm_src 0
		.amdhsa_exception_fp_ieee_div_zero 0
		.amdhsa_exception_fp_ieee_overflow 0
		.amdhsa_exception_fp_ieee_underflow 0
		.amdhsa_exception_fp_ieee_inexact 0
		.amdhsa_exception_int_div_zero 0
	.end_amdhsa_kernel
	.section	.text._ZN9rocsparseL18bsrxmvn_4x4_kernelILj128ELj16EfiifffEEvT3_20rocsparse_direction_NS_24const_host_device_scalarIT1_EES1_PKS1_PKT2_SA_S7_PKT4_PKT5_S5_PT6_21rocsparse_index_base_b,"axG",@progbits,_ZN9rocsparseL18bsrxmvn_4x4_kernelILj128ELj16EfiifffEEvT3_20rocsparse_direction_NS_24const_host_device_scalarIT1_EES1_PKS1_PKT2_SA_S7_PKT4_PKT5_S5_PT6_21rocsparse_index_base_b,comdat
.Lfunc_end2:
	.size	_ZN9rocsparseL18bsrxmvn_4x4_kernelILj128ELj16EfiifffEEvT3_20rocsparse_direction_NS_24const_host_device_scalarIT1_EES1_PKS1_PKT2_SA_S7_PKT4_PKT5_S5_PT6_21rocsparse_index_base_b, .Lfunc_end2-_ZN9rocsparseL18bsrxmvn_4x4_kernelILj128ELj16EfiifffEEvT3_20rocsparse_direction_NS_24const_host_device_scalarIT1_EES1_PKS1_PKT2_SA_S7_PKT4_PKT5_S5_PT6_21rocsparse_index_base_b
                                        ; -- End function
	.set _ZN9rocsparseL18bsrxmvn_4x4_kernelILj128ELj16EfiifffEEvT3_20rocsparse_direction_NS_24const_host_device_scalarIT1_EES1_PKS1_PKT2_SA_S7_PKT4_PKT5_S5_PT6_21rocsparse_index_base_b.num_vgpr, 73
	.set _ZN9rocsparseL18bsrxmvn_4x4_kernelILj128ELj16EfiifffEEvT3_20rocsparse_direction_NS_24const_host_device_scalarIT1_EES1_PKS1_PKT2_SA_S7_PKT4_PKT5_S5_PT6_21rocsparse_index_base_b.num_agpr, 0
	.set _ZN9rocsparseL18bsrxmvn_4x4_kernelILj128ELj16EfiifffEEvT3_20rocsparse_direction_NS_24const_host_device_scalarIT1_EES1_PKS1_PKT2_SA_S7_PKT4_PKT5_S5_PT6_21rocsparse_index_base_b.numbered_sgpr, 18
	.set _ZN9rocsparseL18bsrxmvn_4x4_kernelILj128ELj16EfiifffEEvT3_20rocsparse_direction_NS_24const_host_device_scalarIT1_EES1_PKS1_PKT2_SA_S7_PKT4_PKT5_S5_PT6_21rocsparse_index_base_b.num_named_barrier, 0
	.set _ZN9rocsparseL18bsrxmvn_4x4_kernelILj128ELj16EfiifffEEvT3_20rocsparse_direction_NS_24const_host_device_scalarIT1_EES1_PKS1_PKT2_SA_S7_PKT4_PKT5_S5_PT6_21rocsparse_index_base_b.private_seg_size, 0
	.set _ZN9rocsparseL18bsrxmvn_4x4_kernelILj128ELj16EfiifffEEvT3_20rocsparse_direction_NS_24const_host_device_scalarIT1_EES1_PKS1_PKT2_SA_S7_PKT4_PKT5_S5_PT6_21rocsparse_index_base_b.uses_vcc, 1
	.set _ZN9rocsparseL18bsrxmvn_4x4_kernelILj128ELj16EfiifffEEvT3_20rocsparse_direction_NS_24const_host_device_scalarIT1_EES1_PKS1_PKT2_SA_S7_PKT4_PKT5_S5_PT6_21rocsparse_index_base_b.uses_flat_scratch, 0
	.set _ZN9rocsparseL18bsrxmvn_4x4_kernelILj128ELj16EfiifffEEvT3_20rocsparse_direction_NS_24const_host_device_scalarIT1_EES1_PKS1_PKT2_SA_S7_PKT4_PKT5_S5_PT6_21rocsparse_index_base_b.has_dyn_sized_stack, 0
	.set _ZN9rocsparseL18bsrxmvn_4x4_kernelILj128ELj16EfiifffEEvT3_20rocsparse_direction_NS_24const_host_device_scalarIT1_EES1_PKS1_PKT2_SA_S7_PKT4_PKT5_S5_PT6_21rocsparse_index_base_b.has_recursion, 0
	.set _ZN9rocsparseL18bsrxmvn_4x4_kernelILj128ELj16EfiifffEEvT3_20rocsparse_direction_NS_24const_host_device_scalarIT1_EES1_PKS1_PKT2_SA_S7_PKT4_PKT5_S5_PT6_21rocsparse_index_base_b.has_indirect_call, 0
	.section	.AMDGPU.csdata,"",@progbits
; Kernel info:
; codeLenInByte = 3828
; TotalNumSgprs: 20
; NumVgprs: 73
; ScratchSize: 0
; MemoryBound: 0
; FloatMode: 240
; IeeeMode: 1
; LDSByteSize: 0 bytes/workgroup (compile time only)
; SGPRBlocks: 0
; VGPRBlocks: 4
; NumSGPRsForWavesPerEU: 20
; NumVGPRsForWavesPerEU: 73
; NamedBarCnt: 0
; Occupancy: 12
; WaveLimiterHint : 1
; COMPUTE_PGM_RSRC2:SCRATCH_EN: 0
; COMPUTE_PGM_RSRC2:USER_SGPR: 2
; COMPUTE_PGM_RSRC2:TRAP_HANDLER: 0
; COMPUTE_PGM_RSRC2:TGID_X_EN: 1
; COMPUTE_PGM_RSRC2:TGID_Y_EN: 0
; COMPUTE_PGM_RSRC2:TGID_Z_EN: 0
; COMPUTE_PGM_RSRC2:TIDIG_COMP_CNT: 0
	.section	.text._ZN9rocsparseL18bsrxmvn_4x4_kernelILj128ELj32EfiifffEEvT3_20rocsparse_direction_NS_24const_host_device_scalarIT1_EES1_PKS1_PKT2_SA_S7_PKT4_PKT5_S5_PT6_21rocsparse_index_base_b,"axG",@progbits,_ZN9rocsparseL18bsrxmvn_4x4_kernelILj128ELj32EfiifffEEvT3_20rocsparse_direction_NS_24const_host_device_scalarIT1_EES1_PKS1_PKT2_SA_S7_PKT4_PKT5_S5_PT6_21rocsparse_index_base_b,comdat
	.globl	_ZN9rocsparseL18bsrxmvn_4x4_kernelILj128ELj32EfiifffEEvT3_20rocsparse_direction_NS_24const_host_device_scalarIT1_EES1_PKS1_PKT2_SA_S7_PKT4_PKT5_S5_PT6_21rocsparse_index_base_b ; -- Begin function _ZN9rocsparseL18bsrxmvn_4x4_kernelILj128ELj32EfiifffEEvT3_20rocsparse_direction_NS_24const_host_device_scalarIT1_EES1_PKS1_PKT2_SA_S7_PKT4_PKT5_S5_PT6_21rocsparse_index_base_b
	.p2align	8
	.type	_ZN9rocsparseL18bsrxmvn_4x4_kernelILj128ELj32EfiifffEEvT3_20rocsparse_direction_NS_24const_host_device_scalarIT1_EES1_PKS1_PKT2_SA_S7_PKT4_PKT5_S5_PT6_21rocsparse_index_base_b,@function
_ZN9rocsparseL18bsrxmvn_4x4_kernelILj128ELj32EfiifffEEvT3_20rocsparse_direction_NS_24const_host_device_scalarIT1_EES1_PKS1_PKT2_SA_S7_PKT4_PKT5_S5_PT6_21rocsparse_index_base_b: ; @_ZN9rocsparseL18bsrxmvn_4x4_kernelILj128ELj32EfiifffEEvT3_20rocsparse_direction_NS_24const_host_device_scalarIT1_EES1_PKS1_PKT2_SA_S7_PKT4_PKT5_S5_PT6_21rocsparse_index_base_b
; %bb.0:
	s_clause 0x2
	s_load_b64 s[16:17], s[0:1], 0x58
	s_load_b64 s[12:13], s[0:1], 0x8
	;; [unrolled: 1-line block ×3, first 2 shown]
	s_wait_kmcnt 0x0
	s_bitcmp1_b32 s17, 0
	s_cselect_b32 s2, -1, 0
	s_delay_alu instid0(SALU_CYCLE_1)
	s_and_b32 vcc_lo, exec_lo, s2
	s_xor_b32 s2, s2, -1
	s_cbranch_vccnz .LBB3_2
; %bb.1:
	s_load_b32 s12, s[12:13], 0x0
.LBB3_2:
	s_and_not1_b32 vcc_lo, exec_lo, s2
	s_cbranch_vccnz .LBB3_4
; %bb.3:
	s_load_b32 s14, s[14:15], 0x0
.LBB3_4:
	s_wait_kmcnt 0x0
	s_cmp_neq_f32 s12, 0
	s_mov_b32 s6, 0
	s_cselect_b32 s2, -1, 0
	s_cmp_neq_f32 s14, 1.0
	s_cselect_b32 s3, -1, 0
	s_delay_alu instid0(SALU_CYCLE_1) | instskip(NEXT) | instid1(SALU_CYCLE_1)
	s_or_b32 s2, s2, s3
	s_and_not1_b32 vcc_lo, exec_lo, s2
	s_cbranch_vccnz .LBB3_10
; %bb.5:
	s_clause 0x1
	s_load_b64 s[4:5], s[0:1], 0x18
	s_load_b64 s[2:3], s[0:1], 0x0
	s_bfe_u32 s7, ttmp6, 0x4000c
	s_and_b32 s8, ttmp6, 15
	s_add_co_i32 s7, s7, 1
	s_getreg_b32 s9, hwreg(HW_REG_IB_STS2, 6, 4)
	s_mul_i32 s7, ttmp9, s7
	v_lshrrev_b32_e32 v1, 5, v0
	s_add_co_i32 s8, s8, s7
	s_cmp_eq_u32 s9, 0
	s_cselect_b32 s7, ttmp9, s8
	s_delay_alu instid0(VALU_DEP_1) | instid1(SALU_CYCLE_1)
	v_lshl_or_b32 v2, s7, 2, v1
	s_wait_kmcnt 0x0
	s_cmp_lg_u64 s[4:5], 0
	s_cbranch_scc0 .LBB3_11
; %bb.6:
	s_load_b32 s6, s[0:1], 0x10
	s_mov_b32 s7, 0
                                        ; implicit-def: $vgpr1
	s_wait_kmcnt 0x0
	v_cmp_gt_i32_e32 vcc_lo, s6, v2
	s_mov_b32 s6, 0
	s_and_saveexec_b32 s8, vcc_lo
	s_delay_alu instid0(SALU_CYCLE_1)
	s_xor_b32 s8, exec_lo, s8
	s_cbranch_execz .LBB3_8
; %bb.7:
	global_load_b32 v1, v2, s[4:5] scale_offset
	s_mov_b32 s6, exec_lo
	s_wait_loadcnt 0x0
	v_subrev_nc_u32_e32 v1, s16, v1
.LBB3_8:
	s_or_b32 exec_lo, exec_lo, s8
	s_delay_alu instid0(SALU_CYCLE_1)
	s_and_b32 vcc_lo, exec_lo, s7
	s_cbranch_vccz .LBB3_12
.LBB3_9:
	v_cmp_gt_i32_e32 vcc_lo, s2, v2
	s_and_not1_b32 s2, s6, exec_lo
	s_and_b32 s4, vcc_lo, exec_lo
	s_delay_alu instid0(SALU_CYCLE_1) | instskip(NEXT) | instid1(SALU_CYCLE_1)
	s_or_b32 s6, s2, s4
	s_and_saveexec_b32 s2, s6
	s_cbranch_execnz .LBB3_13
.LBB3_10:
	s_sendmsg sendmsg(MSG_DEALLOC_VGPRS)
	s_endpgm
.LBB3_11:
                                        ; implicit-def: $vgpr1
	s_cbranch_execnz .LBB3_9
.LBB3_12:
	s_delay_alu instid0(VALU_DEP_1)
	v_mov_b32_e32 v2, v1
	s_and_saveexec_b32 s2, s6
	s_cbranch_execz .LBB3_10
.LBB3_13:
	s_load_b256 s[4:11], s[0:1], 0x20
	s_wait_kmcnt 0x0
	s_cmp_eq_u64 s[6:7], 0
	global_load_b32 v12, v2, s[4:5] scale_offset
	s_cselect_b32 vcc_lo, -1, 0
	v_ashrrev_i32_e32 v3, 31, v2
	s_cmp_eq_u32 s3, 1
	s_delay_alu instid0(VALU_DEP_1) | instskip(SKIP_1) | instid1(VALU_DEP_2)
	v_lshlrev_b64_e32 v[4:5], 2, v[2:3]
	v_and_b32_e32 v3, 31, v0
	v_add_nc_u64_e32 v[6:7], s[4:5], v[4:5]
	v_add_nc_u64_e32 v[4:5], s[6:7], v[4:5]
	s_wait_xcnt 0x0
	s_load_b64 s[4:5], s[0:1], 0x40
	s_delay_alu instid0(VALU_DEP_2) | instskip(NEXT) | instid1(VALU_DEP_1)
	v_add_nc_u64_e32 v[6:7], 4, v[6:7]
	v_dual_cndmask_b32 v5, v5, v7 :: v_dual_cndmask_b32 v4, v4, v6
	global_load_b32 v6, v[4:5], off
	s_wait_loadcnt 0x1
	v_subrev_nc_u32_e32 v0, s16, v12
	s_delay_alu instid0(VALU_DEP_1) | instskip(NEXT) | instid1(VALU_DEP_1)
	v_add_nc_u32_e32 v0, v0, v3
	v_ashrrev_i32_e32 v1, 31, v0
	s_wait_xcnt 0x0
	s_delay_alu instid0(VALU_DEP_1) | instskip(NEXT) | instid1(VALU_DEP_1)
	v_lshlrev_b64_e32 v[4:5], 6, v[0:1]
	v_add_nc_u64_e32 v[4:5], s[10:11], v[4:5]
	s_wait_loadcnt 0x0
	v_subrev_nc_u32_e32 v1, s16, v6
	s_delay_alu instid0(VALU_DEP_1)
	v_cmp_lt_i32_e64 s2, v0, v1
	s_cbranch_scc1 .LBB3_25
; %bb.14:
	v_dual_mov_b32 v7, 0 :: v_dual_mov_b32 v6, 0
	v_dual_mov_b32 v9, 0 :: v_dual_mov_b32 v8, 0
	s_and_saveexec_b32 s3, s2
	s_cbranch_execz .LBB3_24
; %bb.15:
	v_add_nc_u32_e32 v6, v12, v3
	v_not_b32_e32 v7, v12
	v_mov_b64_e32 v[8:9], 0
	v_mov_b32_e32 v13, v0
	s_delay_alu instid0(VALU_DEP_4) | instskip(NEXT) | instid1(VALU_DEP_1)
	v_subrev_nc_u32_e32 v6, s16, v6
	v_add_max_i32_e64 v6, v6, 32, v1
	s_delay_alu instid0(VALU_DEP_1) | instskip(NEXT) | instid1(VALU_DEP_1)
	v_add3_u32 v6, s16, v6, v7
	v_sub_nc_u32_e32 v14, v6, v3
	v_mov_b64_e32 v[6:7], 0
	s_delay_alu instid0(VALU_DEP_2) | instskip(NEXT) | instid1(VALU_DEP_1)
	v_and_b32_e32 v10, 0x60, v14
	v_cmp_ne_u32_e32 vcc_lo, 0x60, v10
	v_mov_b64_e32 v[10:11], v[4:5]
	s_and_saveexec_b32 s6, vcc_lo
	s_cbranch_execz .LBB3_19
; %bb.16:
	v_lshrrev_b32_e32 v6, 5, v14
	v_mov_b64_e32 v[10:11], v[4:5]
	s_mov_b32 s7, 0
	s_delay_alu instid0(VALU_DEP_2) | instskip(NEXT) | instid1(VALU_DEP_1)
	v_dual_mov_b32 v6, 0 :: v_dual_add_nc_u32 v7, 1, v6
	v_dual_mov_b32 v13, v0 :: v_dual_bitop2_b32 v9, 3, v7 bitop3:0x40
	s_delay_alu instid0(VALU_DEP_2) | instskip(NEXT) | instid1(VALU_DEP_2)
	v_dual_mov_b32 v7, v6 :: v_dual_mov_b32 v8, v6
	v_dual_sub_nc_u32 v15, 0, v9 :: v_dual_mov_b32 v9, v6
.LBB3_17:                               ; =>This Inner Loop Header: Depth=1
	global_load_b32 v16, v13, s[8:9] scale_offset
	v_add_co_u32 v15, s10, v15, 1
	s_or_b32 s7, s10, s7
	s_wait_xcnt 0x0
	v_add_nc_u32_e32 v13, 32, v13
	s_wait_loadcnt 0x0
	v_subrev_nc_u32_e32 v16, s16, v16
	s_delay_alu instid0(VALU_DEP_1)
	v_lshlrev_b32_e32 v32, 2, v16
	s_clause 0x3
	global_load_b128 v[16:19], v[10:11], off offset:16
	global_load_b128 v[20:23], v[10:11], off
	global_load_b128 v[24:27], v[10:11], off offset:48
	global_load_b128 v[28:31], v[10:11], off offset:32
	s_wait_xcnt 0x0
	v_add_nc_u64_e32 v[10:11], 0x800, v[10:11]
	s_wait_loadcnt 0x2
	v_dual_mov_b32 v36, v20 :: v_dual_ashrrev_i32 v33, 31, v32
	s_wait_loadcnt 0x0
	v_dual_mov_b32 v37, v16 :: v_dual_mov_b32 v38, v28
	v_dual_mov_b32 v39, v24 :: v_dual_mov_b32 v16, v21
	v_mov_b32_e32 v20, v22
	s_wait_kmcnt 0x0
	v_lshl_add_u64 v[32:33], v[32:33], 2, s[4:5]
	v_dual_mov_b32 v24, v29 :: v_dual_mov_b32 v21, v18
	v_dual_mov_b32 v28, v30 :: v_dual_mov_b32 v29, v26
	global_load_b128 v[32:35], v[32:33], off
	v_dual_mov_b32 v18, v23 :: v_dual_mov_b32 v26, v31
	s_wait_loadcnt 0x0
	v_pk_fma_f32 v[8:9], v[36:37], v[32:33], v[8:9] op_sel_hi:[1,0,1]
	v_pk_fma_f32 v[6:7], v[38:39], v[32:33], v[6:7] op_sel_hi:[1,0,1]
	s_delay_alu instid0(VALU_DEP_2) | instskip(NEXT) | instid1(VALU_DEP_2)
	v_pk_fma_f32 v[8:9], v[16:17], v[32:33], v[8:9] op_sel:[0,1,0]
	v_pk_fma_f32 v[6:7], v[24:25], v[32:33], v[6:7] op_sel:[0,1,0]
	v_mov_b32_e32 v16, v35
	s_delay_alu instid0(VALU_DEP_3) | instskip(NEXT) | instid1(VALU_DEP_3)
	v_pk_fma_f32 v[8:9], v[20:21], v[34:35], v[8:9] op_sel_hi:[1,0,1]
	v_pk_fma_f32 v[6:7], v[28:29], v[34:35], v[6:7] op_sel_hi:[1,0,1]
	s_delay_alu instid0(VALU_DEP_2) | instskip(NEXT) | instid1(VALU_DEP_2)
	v_pk_fma_f32 v[8:9], v[18:19], v[16:17], v[8:9] op_sel_hi:[1,0,1]
	v_pk_fma_f32 v[6:7], v[26:27], v[16:17], v[6:7] op_sel_hi:[1,0,1]
	s_and_not1_b32 exec_lo, exec_lo, s7
	s_cbranch_execnz .LBB3_17
; %bb.18:
	s_or_b32 exec_lo, exec_lo, s7
.LBB3_19:
	s_delay_alu instid0(SALU_CYCLE_1) | instskip(NEXT) | instid1(SALU_CYCLE_1)
	s_or_b32 exec_lo, exec_lo, s6
	s_mov_b32 s6, exec_lo
	v_cmpx_lt_u32_e32 0x5f, v14
	s_cbranch_execz .LBB3_23
; %bb.20:
	s_mov_b32 s7, 0
.LBB3_21:                               ; =>This Inner Loop Header: Depth=1
	s_clause 0x7
	global_load_b128 v[14:17], v[10:11], off
	global_load_b128 v[18:21], v[10:11], off offset:16
	global_load_b128 v[22:25], v[10:11], off offset:32
	;; [unrolled: 1-line block ×7, first 2 shown]
	s_clause 0x1
	global_load_b32 v68, v13, s[8:9] scale_offset
	global_load_b32 v70, v13, s[8:9] offset:128 scale_offset
	s_clause 0x1
	global_load_b128 v[46:49], v[10:11], off offset:4144
	global_load_b128 v[50:53], v[10:11], off offset:4128
	s_clause 0x1
	global_load_b32 v71, v13, s[8:9] offset:256 scale_offset
	global_load_b32 v72, v13, s[8:9] offset:384 scale_offset
	s_wait_loadcnt 0xc
	v_dual_mov_b32 v54, v14 :: v_dual_mov_b32 v55, v18
	v_dual_mov_b32 v18, v15 :: v_dual_mov_b32 v56, v16
	;; [unrolled: 1-line block ×3, first 2 shown]
	s_wait_loadcnt 0x8
	v_dual_mov_b32 v62, v30 :: v_dual_mov_b32 v63, v34
	s_wait_loadcnt 0x5
	v_subrev_nc_u32_e32 v14, s16, v68
	s_wait_loadcnt 0x4
	v_subrev_nc_u32_e32 v15, s16, v70
	v_dual_mov_b32 v34, v31 :: v_dual_mov_b32 v64, v32
	v_dual_mov_b32 v65, v36 :: v_dual_mov_b32 v36, v33
	s_delay_alu instid0(VALU_DEP_3) | instskip(SKIP_2) | instid1(VALU_DEP_3)
	v_dual_lshlrev_b32 v14, 2, v14 :: v_dual_lshlrev_b32 v16, 2, v15
	v_dual_mov_b32 v58, v22 :: v_dual_mov_b32 v59, v26
	v_dual_mov_b32 v26, v23 :: v_dual_mov_b32 v60, v24
	v_dual_ashrrev_i32 v15, 31, v14 :: v_dual_ashrrev_i32 v17, 31, v16
	v_dual_mov_b32 v61, v28 :: v_dual_mov_b32 v28, v25
	v_dual_mov_b32 v66, v38 :: v_dual_mov_b32 v67, v42
	s_wait_kmcnt 0x0
	s_delay_alu instid0(VALU_DEP_3)
	v_lshl_add_u64 v[30:31], v[14:15], 2, s[4:5]
	v_lshl_add_u64 v[32:33], v[16:17], 2, s[4:5]
	s_clause 0x1
	global_load_b128 v[14:17], v[30:31], off
	global_load_b128 v[22:25], v[32:33], off
	v_dual_mov_b32 v42, v39 :: v_dual_mov_b32 v68, v40
	v_dual_mov_b32 v69, v44 :: v_dual_mov_b32 v44, v41
	global_load_b128 v[30:33], v[10:11], off offset:4112
	s_wait_loadcnt 0x2
	v_pk_fma_f32 v[8:9], v[54:55], v[14:15], v[8:9] op_sel_hi:[1,0,1]
	v_pk_fma_f32 v[38:39], v[58:59], v[14:15], v[6:7] op_sel_hi:[1,0,1]
	v_subrev_nc_u32_e32 v58, s16, v72
	s_delay_alu instid0(VALU_DEP_3) | instskip(NEXT) | instid1(VALU_DEP_3)
	v_pk_fma_f32 v[6:7], v[18:19], v[14:15], v[8:9] op_sel:[0,1,0]
	v_pk_fma_f32 v[14:15], v[26:27], v[14:15], v[38:39] op_sel:[0,1,0]
	s_delay_alu instid0(VALU_DEP_3) | instskip(NEXT) | instid1(VALU_DEP_3)
	v_dual_mov_b32 v38, v17 :: v_dual_lshlrev_b32 v58, 2, v58
	v_pk_fma_f32 v[18:19], v[56:57], v[16:17], v[6:7] op_sel_hi:[1,0,1]
	s_delay_alu instid0(VALU_DEP_3)
	v_pk_fma_f32 v[26:27], v[60:61], v[16:17], v[14:15] op_sel_hi:[1,0,1]
	s_clause 0x1
	global_load_b128 v[6:9], v[10:11], off offset:4096
	global_load_b128 v[14:17], v[10:11], off offset:6160
	v_add_nc_u32_e32 v13, 0x80, v13
	v_pk_fma_f32 v[40:41], v[20:21], v[38:39], v[18:19] op_sel_hi:[1,0,1]
	v_subrev_nc_u32_e32 v39, s16, v71
	v_ashrrev_i32_e32 v59, 31, v58
	global_load_b128 v[18:21], v[10:11], off offset:6144
	s_wait_loadcnt 0x4
	v_pk_fma_f32 v[56:57], v[62:63], v[22:23], v[40:41] op_sel_hi:[1,0,1]
	v_pk_fma_f32 v[54:55], v[28:29], v[38:39], v[26:27] op_sel_hi:[1,0,1]
	v_lshlrev_b32_e32 v38, 2, v39
	global_load_b128 v[26:29], v[10:11], off offset:6176
	v_lshl_add_u64 v[58:59], v[58:59], 2, s[4:5]
	v_pk_fma_f32 v[34:35], v[34:35], v[22:23], v[56:57] op_sel:[0,1,0]
	v_pk_fma_f32 v[60:61], v[66:67], v[22:23], v[54:55] op_sel_hi:[1,0,1]
	v_ashrrev_i32_e32 v39, 31, v38
	global_load_b128 v[54:57], v[10:11], off offset:6192
	s_wait_xcnt 0x0
	v_add_nc_u64_e32 v[10:11], 0x2000, v[10:11]
	v_pk_fma_f32 v[34:35], v[64:65], v[24:25], v[34:35] op_sel_hi:[1,0,1]
	v_pk_fma_f32 v[22:23], v[42:43], v[22:23], v[60:61] op_sel:[0,1,0]
	s_wait_loadcnt 0x5
	v_mov_b32_e32 v43, v30
	global_load_b128 v[58:61], v[58:59], off
	v_pk_fma_f32 v[22:23], v[68:69], v[24:25], v[22:23] op_sel_hi:[1,0,1]
	v_mov_b32_e32 v24, v25
	v_lshl_add_u64 v[38:39], v[38:39], 2, s[4:5]
	s_delay_alu instid0(VALU_DEP_2)
	v_pk_fma_f32 v[22:23], v[44:45], v[24:25], v[22:23] op_sel_hi:[1,0,1]
	global_load_b128 v[38:41], v[38:39], off
	s_wait_loadcnt 0x6
	v_dual_mov_b32 v42, v6 :: v_dual_mov_b32 v30, v7
	v_pk_fma_f32 v[6:7], v[36:37], v[24:25], v[34:35] op_sel_hi:[1,0,1]
	v_dual_mov_b32 v34, v50 :: v_dual_mov_b32 v35, v46
	v_dual_mov_b32 v46, v51 :: v_dual_mov_b32 v24, v8
	v_dual_mov_b32 v25, v32 :: v_dual_mov_b32 v32, v9
	v_dual_mov_b32 v8, v52 :: v_dual_mov_b32 v9, v48
	v_mov_b32_e32 v48, v53
	v_cmp_ge_i32_e32 vcc_lo, v13, v1
	s_or_b32 s7, vcc_lo, s7
	s_wait_loadcnt 0x0
	v_pk_fma_f32 v[6:7], v[42:43], v[38:39], v[6:7] op_sel_hi:[1,0,1]
	v_pk_fma_f32 v[22:23], v[34:35], v[38:39], v[22:23] op_sel_hi:[1,0,1]
	s_delay_alu instid0(VALU_DEP_2) | instskip(NEXT) | instid1(VALU_DEP_2)
	v_pk_fma_f32 v[6:7], v[30:31], v[38:39], v[6:7] op_sel:[0,1,0]
	v_pk_fma_f32 v[22:23], v[46:47], v[38:39], v[22:23] op_sel:[0,1,0]
	v_dual_mov_b32 v30, v18 :: v_dual_mov_b32 v18, v41
	v_mov_b32_e32 v31, v14
	s_delay_alu instid0(VALU_DEP_4) | instskip(NEXT) | instid1(VALU_DEP_4)
	v_pk_fma_f32 v[6:7], v[24:25], v[40:41], v[6:7] op_sel_hi:[1,0,1]
	v_pk_fma_f32 v[8:9], v[8:9], v[40:41], v[22:23] op_sel_hi:[1,0,1]
	v_dual_mov_b32 v22, v26 :: v_dual_mov_b32 v23, v54
	v_mov_b32_e32 v14, v19
	s_delay_alu instid0(VALU_DEP_4) | instskip(NEXT) | instid1(VALU_DEP_4)
	v_pk_fma_f32 v[6:7], v[32:33], v[18:19], v[6:7] op_sel_hi:[1,0,1]
	v_pk_fma_f32 v[8:9], v[48:49], v[18:19], v[8:9] op_sel_hi:[1,0,1]
	;; [unrolled: 5-line block ×3, first 2 shown]
	v_dual_mov_b32 v22, v28 :: v_dual_mov_b32 v23, v56
	v_dual_mov_b32 v16, v21 :: v_dual_mov_b32 v56, v29
	s_delay_alu instid0(VALU_DEP_4) | instskip(NEXT) | instid1(VALU_DEP_4)
	v_pk_fma_f32 v[6:7], v[14:15], v[58:59], v[6:7] op_sel:[0,1,0]
	v_pk_fma_f32 v[8:9], v[54:55], v[58:59], v[8:9] op_sel:[0,1,0]
	v_mov_b32_e32 v14, v61
	s_delay_alu instid0(VALU_DEP_3) | instskip(NEXT) | instid1(VALU_DEP_3)
	v_pk_fma_f32 v[6:7], v[18:19], v[60:61], v[6:7] op_sel_hi:[1,0,1]
	v_pk_fma_f32 v[18:19], v[22:23], v[60:61], v[8:9] op_sel_hi:[1,0,1]
	s_delay_alu instid0(VALU_DEP_2) | instskip(NEXT) | instid1(VALU_DEP_2)
	v_pk_fma_f32 v[8:9], v[16:17], v[14:15], v[6:7] op_sel_hi:[1,0,1]
	v_pk_fma_f32 v[6:7], v[56:57], v[14:15], v[18:19] op_sel_hi:[1,0,1]
	s_and_not1_b32 exec_lo, exec_lo, s7
	s_cbranch_execnz .LBB3_21
; %bb.22:
	s_or_b32 exec_lo, exec_lo, s7
.LBB3_23:
	s_delay_alu instid0(SALU_CYCLE_1)
	s_or_b32 exec_lo, exec_lo, s6
.LBB3_24:
	s_delay_alu instid0(SALU_CYCLE_1)
	s_or_b32 exec_lo, exec_lo, s3
	s_cbranch_execz .LBB3_26
	s_branch .LBB3_37
.LBB3_25:
                                        ; implicit-def: $vgpr7
                                        ; implicit-def: $vgpr9
.LBB3_26:
	v_dual_mov_b32 v7, 0 :: v_dual_mov_b32 v6, 0
	v_dual_mov_b32 v9, 0 :: v_dual_mov_b32 v8, 0
	s_and_saveexec_b32 s3, s2
	s_cbranch_execz .LBB3_36
; %bb.27:
	v_add_nc_u32_e32 v6, v12, v3
	v_not_b32_e32 v7, v12
	v_mov_b64_e32 v[8:9], 0
	s_mov_b32 s2, exec_lo
	s_delay_alu instid0(VALU_DEP_3) | instskip(NEXT) | instid1(VALU_DEP_1)
	v_subrev_nc_u32_e32 v6, s16, v6
	v_add_max_i32_e64 v6, v6, 32, v1
	s_delay_alu instid0(VALU_DEP_1) | instskip(NEXT) | instid1(VALU_DEP_1)
	v_add3_u32 v6, s16, v6, v7
	v_sub_nc_u32_e32 v10, v6, v3
	v_mov_b64_e32 v[6:7], 0
	s_delay_alu instid0(VALU_DEP_2) | instskip(NEXT) | instid1(VALU_DEP_1)
	v_and_b32_e32 v11, 0x60, v10
	v_cmpx_ne_u32_e32 0x60, v11
	s_cbranch_execz .LBB3_31
; %bb.28:
	v_lshrrev_b32_e32 v6, 5, v10
	s_mov_b32 s6, 0
	s_delay_alu instid0(VALU_DEP_1) | instskip(NEXT) | instid1(VALU_DEP_1)
	v_dual_mov_b32 v6, 0 :: v_dual_add_nc_u32 v7, 1, v6
	v_dual_mov_b32 v7, v6 :: v_dual_bitop2_b32 v9, 3, v7 bitop3:0x40
	s_delay_alu instid0(VALU_DEP_1)
	v_dual_mov_b32 v8, v6 :: v_dual_sub_nc_u32 v11, 0, v9
	v_mov_b32_e32 v9, v6
.LBB3_29:                               ; =>This Inner Loop Header: Depth=1
	global_load_b32 v12, v0, s[8:9] scale_offset
	s_wait_xcnt 0x0
	v_add_nc_u32_e32 v0, 32, v0
	v_add_co_u32 v11, s7, v11, 1
	s_or_b32 s6, s7, s6
	s_wait_loadcnt 0x0
	v_subrev_nc_u32_e32 v12, s16, v12
	s_delay_alu instid0(VALU_DEP_1) | instskip(NEXT) | instid1(VALU_DEP_1)
	v_lshlrev_b32_e32 v12, 2, v12
	v_ashrrev_i32_e32 v13, 31, v12
	s_wait_kmcnt 0x0
	s_delay_alu instid0(VALU_DEP_1)
	v_lshl_add_u64 v[32:33], v[12:13], 2, s[4:5]
	s_clause 0x1
	global_load_b128 v[12:15], v[4:5], off offset:16
	global_load_b128 v[16:19], v[4:5], off
	global_load_b128 v[20:23], v[32:33], off
	s_clause 0x1
	global_load_b128 v[24:27], v[4:5], off offset:32
	global_load_b128 v[28:31], v[4:5], off offset:48
	s_wait_xcnt 0x0
	v_add_nc_u64_e32 v[4:5], 0x800, v[4:5]
	s_wait_loadcnt 0x2
	v_pk_fma_f32 v[8:9], v[16:17], v[20:21], v[8:9] op_sel_hi:[1,0,1]
	v_pk_fma_f32 v[6:7], v[18:19], v[20:21], v[6:7] op_sel_hi:[1,0,1]
	s_delay_alu instid0(VALU_DEP_2) | instskip(NEXT) | instid1(VALU_DEP_2)
	v_pk_fma_f32 v[8:9], v[12:13], v[20:21], v[8:9] op_sel:[0,1,0]
	v_pk_fma_f32 v[6:7], v[14:15], v[20:21], v[6:7] op_sel:[0,1,0]
	v_mov_b32_e32 v12, v23
	s_wait_loadcnt 0x1
	s_delay_alu instid0(VALU_DEP_3) | instskip(NEXT) | instid1(VALU_DEP_3)
	v_pk_fma_f32 v[8:9], v[24:25], v[22:23], v[8:9] op_sel_hi:[1,0,1]
	v_pk_fma_f32 v[6:7], v[26:27], v[22:23], v[6:7] op_sel_hi:[1,0,1]
	s_wait_loadcnt 0x0
	s_delay_alu instid0(VALU_DEP_2) | instskip(NEXT) | instid1(VALU_DEP_2)
	v_pk_fma_f32 v[8:9], v[28:29], v[12:13], v[8:9] op_sel_hi:[1,0,1]
	v_pk_fma_f32 v[6:7], v[30:31], v[12:13], v[6:7] op_sel_hi:[1,0,1]
	s_and_not1_b32 exec_lo, exec_lo, s6
	s_cbranch_execnz .LBB3_29
; %bb.30:
	s_or_b32 exec_lo, exec_lo, s6
.LBB3_31:
	s_delay_alu instid0(SALU_CYCLE_1) | instskip(NEXT) | instid1(SALU_CYCLE_1)
	s_or_b32 exec_lo, exec_lo, s2
	s_mov_b32 s2, exec_lo
	v_cmpx_lt_u32_e32 0x5f, v10
	s_cbranch_execz .LBB3_35
; %bb.32:
	s_mov_b32 s6, 0
.LBB3_33:                               ; =>This Inner Loop Header: Depth=1
	s_clause 0x2
	global_load_b32 v38, v0, s[8:9] scale_offset
	global_load_b32 v39, v0, s[8:9] offset:128 scale_offset
	global_load_b32 v40, v0, s[8:9] offset:256 scale_offset
	s_clause 0x6
	global_load_b128 v[10:13], v[4:5], off offset:48
	global_load_b128 v[14:17], v[4:5], off offset:32
	;; [unrolled: 1-line block ×3, first 2 shown]
	global_load_b128 v[22:25], v[4:5], off
	global_load_b128 v[26:29], v[4:5], off offset:2080
	global_load_b128 v[30:33], v[4:5], off offset:2064
	;; [unrolled: 1-line block ×3, first 2 shown]
	global_load_b32 v62, v0, s[8:9] offset:384 scale_offset
	s_wait_xcnt 0x0
	v_add_nc_u32_e32 v0, 0x80, v0
	s_delay_alu instid0(VALU_DEP_1)
	v_cmp_ge_i32_e32 vcc_lo, v0, v1
	s_or_b32 s6, vcc_lo, s6
	s_wait_loadcnt 0xa
	v_subrev_nc_u32_e32 v38, s16, v38
	s_wait_loadcnt 0x9
	v_subrev_nc_u32_e32 v39, s16, v39
	;; [unrolled: 2-line block ×3, first 2 shown]
	s_delay_alu instid0(VALU_DEP_2) | instskip(NEXT) | instid1(VALU_DEP_1)
	v_dual_lshlrev_b32 v38, 2, v38 :: v_dual_lshlrev_b32 v40, 2, v39
	v_dual_ashrrev_i32 v39, 31, v38 :: v_dual_ashrrev_i32 v41, 31, v40
	s_wait_kmcnt 0x0
	s_delay_alu instid0(VALU_DEP_1) | instskip(NEXT) | instid1(VALU_DEP_2)
	v_lshl_add_u64 v[58:59], v[38:39], 2, s[4:5]
	v_lshl_add_u64 v[60:61], v[40:41], 2, s[4:5]
	s_clause 0x1
	global_load_b128 v[38:41], v[58:59], off
	global_load_b128 v[42:45], v[60:61], off
	s_clause 0x2
	global_load_b128 v[46:49], v[4:5], off offset:2096
	global_load_b128 v[50:53], v[4:5], off offset:4144
	;; [unrolled: 1-line block ×3, first 2 shown]
	s_wait_xcnt 0x4
	v_lshlrev_b32_e32 v58, 2, v63
	s_delay_alu instid0(VALU_DEP_1)
	v_ashrrev_i32_e32 v59, 31, v58
	s_wait_loadcnt 0x4
	v_pk_fma_f32 v[22:23], v[22:23], v[38:39], v[8:9] op_sel_hi:[1,0,1]
	v_pk_fma_f32 v[24:25], v[24:25], v[38:39], v[6:7] op_sel_hi:[1,0,1]
	global_load_b128 v[6:9], v[4:5], off offset:4112
	v_pk_fma_f32 v[22:23], v[18:19], v[38:39], v[22:23] op_sel:[0,1,0]
	v_pk_fma_f32 v[24:25], v[20:21], v[38:39], v[24:25] op_sel:[0,1,0]
	v_lshl_add_u64 v[38:39], v[58:59], 2, s[4:5]
	global_load_b128 v[18:21], v[4:5], off offset:4096
	v_subrev_nc_u32_e32 v58, s16, v62
	v_pk_fma_f32 v[22:23], v[14:15], v[40:41], v[22:23] op_sel_hi:[1,0,1]
	v_pk_fma_f32 v[24:25], v[16:17], v[40:41], v[24:25] op_sel_hi:[1,0,1]
	global_load_b128 v[14:17], v[38:39], off
	s_wait_xcnt 0x0
	v_dual_mov_b32 v40, v41 :: v_dual_lshlrev_b32 v38, 2, v58
	s_delay_alu instid0(VALU_DEP_1) | instskip(NEXT) | instid1(VALU_DEP_2)
	v_pk_fma_f32 v[58:59], v[10:11], v[40:41], v[22:23] op_sel_hi:[1,0,1]
	v_ashrrev_i32_e32 v39, 31, v38
	v_pk_fma_f32 v[40:41], v[12:13], v[40:41], v[24:25] op_sel_hi:[1,0,1]
	s_clause 0x1
	global_load_b128 v[10:13], v[4:5], off offset:6160
	global_load_b128 v[22:25], v[4:5], off offset:6144
	s_wait_loadcnt 0x8
	v_pk_fma_f32 v[58:59], v[34:35], v[42:43], v[58:59] op_sel_hi:[1,0,1]
	v_lshl_add_u64 v[38:39], v[38:39], 2, s[4:5]
	v_pk_fma_f32 v[40:41], v[36:37], v[42:43], v[40:41] op_sel_hi:[1,0,1]
	global_load_b128 v[34:37], v[38:39], off
	s_wait_xcnt 0x0
	v_pk_fma_f32 v[38:39], v[30:31], v[42:43], v[58:59] op_sel:[0,1,0]
	v_pk_fma_f32 v[40:41], v[32:33], v[42:43], v[40:41] op_sel:[0,1,0]
	global_load_b128 v[30:33], v[4:5], off offset:6176
	v_mov_b32_e32 v42, v45
	v_pk_fma_f32 v[38:39], v[26:27], v[44:45], v[38:39] op_sel_hi:[1,0,1]
	v_pk_fma_f32 v[40:41], v[28:29], v[44:45], v[40:41] op_sel_hi:[1,0,1]
	global_load_b128 v[26:29], v[4:5], off offset:6192
	s_wait_xcnt 0x0
	v_add_nc_u64_e32 v[4:5], 0x2000, v[4:5]
	s_wait_loadcnt 0xa
	v_pk_fma_f32 v[38:39], v[46:47], v[42:43], v[38:39] op_sel_hi:[1,0,1]
	v_pk_fma_f32 v[40:41], v[48:49], v[42:43], v[40:41] op_sel_hi:[1,0,1]
	s_wait_loadcnt 0x5
	s_delay_alu instid0(VALU_DEP_2) | instskip(NEXT) | instid1(VALU_DEP_2)
	v_pk_fma_f32 v[18:19], v[18:19], v[14:15], v[38:39] op_sel_hi:[1,0,1]
	v_pk_fma_f32 v[20:21], v[20:21], v[14:15], v[40:41] op_sel_hi:[1,0,1]
	s_delay_alu instid0(VALU_DEP_2) | instskip(NEXT) | instid1(VALU_DEP_2)
	v_pk_fma_f32 v[6:7], v[6:7], v[14:15], v[18:19] op_sel:[0,1,0]
	v_pk_fma_f32 v[8:9], v[8:9], v[14:15], v[20:21] op_sel:[0,1,0]
	v_mov_b32_e32 v14, v17
	s_delay_alu instid0(VALU_DEP_3) | instskip(NEXT) | instid1(VALU_DEP_3)
	v_pk_fma_f32 v[6:7], v[54:55], v[16:17], v[6:7] op_sel_hi:[1,0,1]
	v_pk_fma_f32 v[8:9], v[56:57], v[16:17], v[8:9] op_sel_hi:[1,0,1]
	s_delay_alu instid0(VALU_DEP_2) | instskip(SKIP_1) | instid1(VALU_DEP_1)
	v_pk_fma_f32 v[6:7], v[50:51], v[14:15], v[6:7] op_sel_hi:[1,0,1]
	s_wait_loadcnt 0x2
	v_pk_fma_f32 v[6:7], v[22:23], v[34:35], v[6:7] op_sel_hi:[1,0,1]
	s_delay_alu instid0(VALU_DEP_1) | instskip(SKIP_3) | instid1(VALU_DEP_3)
	v_pk_fma_f32 v[6:7], v[10:11], v[34:35], v[6:7] op_sel:[0,1,0]
	v_mov_b32_e32 v10, v37
	v_pk_fma_f32 v[8:9], v[52:53], v[14:15], v[8:9] op_sel_hi:[1,0,1]
	s_wait_loadcnt 0x1
	v_pk_fma_f32 v[6:7], v[30:31], v[36:37], v[6:7] op_sel_hi:[1,0,1]
	s_delay_alu instid0(VALU_DEP_2) | instskip(NEXT) | instid1(VALU_DEP_1)
	v_pk_fma_f32 v[8:9], v[24:25], v[34:35], v[8:9] op_sel_hi:[1,0,1]
	v_pk_fma_f32 v[8:9], v[12:13], v[34:35], v[8:9] op_sel:[0,1,0]
	s_delay_alu instid0(VALU_DEP_1) | instskip(SKIP_2) | instid1(VALU_DEP_2)
	v_pk_fma_f32 v[12:13], v[32:33], v[36:37], v[8:9] op_sel_hi:[1,0,1]
	s_wait_loadcnt 0x0
	v_pk_fma_f32 v[8:9], v[26:27], v[10:11], v[6:7] op_sel_hi:[1,0,1]
	v_pk_fma_f32 v[6:7], v[28:29], v[10:11], v[12:13] op_sel_hi:[1,0,1]
	s_and_not1_b32 exec_lo, exec_lo, s6
	s_cbranch_execnz .LBB3_33
; %bb.34:
	s_or_b32 exec_lo, exec_lo, s6
.LBB3_35:
	s_delay_alu instid0(SALU_CYCLE_1)
	s_or_b32 exec_lo, exec_lo, s2
.LBB3_36:
	s_delay_alu instid0(SALU_CYCLE_1)
	s_or_b32 exec_lo, exec_lo, s3
.LBB3_37:
	v_mbcnt_lo_u32_b32 v10, -1, 0
	s_mov_b32 s2, -1
	s_delay_alu instid0(VALU_DEP_1) | instskip(SKIP_1) | instid1(VALU_DEP_1)
	v_xor_b32_e32 v11, 8, v10
	v_xor_b32_e32 v0, 16, v10
	v_cmp_gt_i32_e32 vcc_lo, 32, v0
	v_cndmask_b32_e32 v0, v10, v0, vcc_lo
	s_delay_alu instid0(VALU_DEP_4) | instskip(SKIP_1) | instid1(VALU_DEP_1)
	v_cmp_gt_i32_e32 vcc_lo, 32, v11
	v_cndmask_b32_e32 v11, v10, v11, vcc_lo
	v_dual_lshlrev_b32 v11, 2, v11 :: v_dual_lshlrev_b32 v5, 2, v0
	ds_bpermute_b32 v0, v5, v8
	ds_bpermute_b32 v1, v5, v9
	;; [unrolled: 1-line block ×4, first 2 shown]
	s_wait_dscnt 0x2
	v_pk_add_f32 v[0:1], v[8:9], v[0:1]
	s_wait_dscnt 0x0
	v_pk_add_f32 v[4:5], v[6:7], v[4:5]
	ds_bpermute_b32 v6, v11, v0
	ds_bpermute_b32 v7, v11, v1
	;; [unrolled: 1-line block ×4, first 2 shown]
	v_xor_b32_e32 v11, 4, v10
	s_delay_alu instid0(VALU_DEP_1) | instskip(SKIP_1) | instid1(VALU_DEP_1)
	v_cmp_gt_i32_e32 vcc_lo, 32, v11
	v_cndmask_b32_e32 v11, v10, v11, vcc_lo
	v_lshlrev_b32_e32 v11, 2, v11
	s_wait_dscnt 0x2
	v_pk_add_f32 v[0:1], v[0:1], v[6:7]
	s_wait_dscnt 0x0
	v_pk_add_f32 v[4:5], v[4:5], v[8:9]
	ds_bpermute_b32 v6, v11, v0
	ds_bpermute_b32 v7, v11, v1
	;; [unrolled: 1-line block ×4, first 2 shown]
	v_xor_b32_e32 v11, 2, v10
	s_delay_alu instid0(VALU_DEP_1) | instskip(SKIP_1) | instid1(VALU_DEP_1)
	v_cmp_gt_i32_e32 vcc_lo, 32, v11
	v_cndmask_b32_e32 v11, v10, v11, vcc_lo
	v_lshlrev_b32_e32 v11, 2, v11
	s_wait_dscnt 0x2
	v_pk_add_f32 v[0:1], v[0:1], v[6:7]
	s_wait_dscnt 0x0
	v_pk_add_f32 v[4:5], v[4:5], v[8:9]
	ds_bpermute_b32 v6, v11, v0
	ds_bpermute_b32 v7, v11, v1
	;; [unrolled: 1-line block ×4, first 2 shown]
	v_xor_b32_e32 v11, 1, v10
	s_delay_alu instid0(VALU_DEP_1) | instskip(SKIP_2) | instid1(VALU_DEP_2)
	v_cmp_gt_i32_e32 vcc_lo, 32, v11
	v_cndmask_b32_e32 v10, v10, v11, vcc_lo
	v_cmp_eq_u32_e32 vcc_lo, 31, v3
	v_lshlrev_b32_e32 v10, 2, v10
	s_wait_dscnt 0x2
	v_pk_add_f32 v[0:1], v[0:1], v[6:7]
	s_wait_dscnt 0x0
	v_pk_add_f32 v[6:7], v[4:5], v[8:9]
	ds_bpermute_b32 v4, v10, v0
	ds_bpermute_b32 v5, v10, v1
	;; [unrolled: 1-line block ×4, first 2 shown]
	s_and_b32 exec_lo, exec_lo, vcc_lo
	s_cbranch_execz .LBB3_10
; %bb.38:
	s_load_b64 s[0:1], s[0:1], 0x50
	s_wait_dscnt 0x2
	v_pk_add_f32 v[4:5], v[0:1], v[4:5]
	s_wait_dscnt 0x0
	v_pk_add_f32 v[0:1], v[6:7], v[8:9]
	v_lshlrev_b32_e32 v2, 2, v2
	s_cmp_eq_f32 s14, 0
	s_cbranch_scc0 .LBB3_40
; %bb.39:
	s_delay_alu instid0(VALU_DEP_1)
	v_ashrrev_i32_e32 v3, 31, v2
	v_pk_mul_f32 v[6:7], s[12:13], v[4:5] op_sel_hi:[0,1]
	v_pk_mul_f32 v[8:9], s[12:13], v[0:1] op_sel_hi:[0,1]
	s_mov_b32 s2, 0
	s_wait_kmcnt 0x0
	v_lshl_add_u64 v[10:11], v[2:3], 2, s[0:1]
	global_store_b128 v[10:11], v[6:9], off
.LBB3_40:
	s_and_not1_b32 vcc_lo, exec_lo, s2
	s_cbranch_vccnz .LBB3_10
; %bb.41:
	v_ashrrev_i32_e32 v3, 31, v2
	s_wait_kmcnt 0x0
	s_delay_alu instid0(VALU_DEP_1)
	v_lshl_add_u64 v[10:11], v[2:3], 2, s[0:1]
	v_pk_mul_f32 v[2:3], s[12:13], v[4:5] op_sel_hi:[0,1]
	v_pk_mul_f32 v[4:5], s[12:13], v[0:1] op_sel_hi:[0,1]
	global_load_b128 v[6:9], v[10:11], off
	s_wait_loadcnt 0x0
	v_pk_fma_f32 v[0:1], s[14:15], v[6:7], v[2:3] op_sel_hi:[0,1,1]
	v_pk_fma_f32 v[2:3], s[14:15], v[8:9], v[4:5] op_sel_hi:[0,1,1]
	global_store_b128 v[10:11], v[0:3], off
	s_sendmsg sendmsg(MSG_DEALLOC_VGPRS)
	s_endpgm
	.section	.rodata,"a",@progbits
	.p2align	6, 0x0
	.amdhsa_kernel _ZN9rocsparseL18bsrxmvn_4x4_kernelILj128ELj32EfiifffEEvT3_20rocsparse_direction_NS_24const_host_device_scalarIT1_EES1_PKS1_PKT2_SA_S7_PKT4_PKT5_S5_PT6_21rocsparse_index_base_b
		.amdhsa_group_segment_fixed_size 0
		.amdhsa_private_segment_fixed_size 0
		.amdhsa_kernarg_size 96
		.amdhsa_user_sgpr_count 2
		.amdhsa_user_sgpr_dispatch_ptr 0
		.amdhsa_user_sgpr_queue_ptr 0
		.amdhsa_user_sgpr_kernarg_segment_ptr 1
		.amdhsa_user_sgpr_dispatch_id 0
		.amdhsa_user_sgpr_kernarg_preload_length 0
		.amdhsa_user_sgpr_kernarg_preload_offset 0
		.amdhsa_user_sgpr_private_segment_size 0
		.amdhsa_wavefront_size32 1
		.amdhsa_uses_dynamic_stack 0
		.amdhsa_enable_private_segment 0
		.amdhsa_system_sgpr_workgroup_id_x 1
		.amdhsa_system_sgpr_workgroup_id_y 0
		.amdhsa_system_sgpr_workgroup_id_z 0
		.amdhsa_system_sgpr_workgroup_info 0
		.amdhsa_system_vgpr_workitem_id 0
		.amdhsa_next_free_vgpr 73
		.amdhsa_next_free_sgpr 18
		.amdhsa_named_barrier_count 0
		.amdhsa_reserve_vcc 1
		.amdhsa_float_round_mode_32 0
		.amdhsa_float_round_mode_16_64 0
		.amdhsa_float_denorm_mode_32 3
		.amdhsa_float_denorm_mode_16_64 3
		.amdhsa_fp16_overflow 0
		.amdhsa_memory_ordered 1
		.amdhsa_forward_progress 1
		.amdhsa_inst_pref_size 31
		.amdhsa_round_robin_scheduling 0
		.amdhsa_exception_fp_ieee_invalid_op 0
		.amdhsa_exception_fp_denorm_src 0
		.amdhsa_exception_fp_ieee_div_zero 0
		.amdhsa_exception_fp_ieee_overflow 0
		.amdhsa_exception_fp_ieee_underflow 0
		.amdhsa_exception_fp_ieee_inexact 0
		.amdhsa_exception_int_div_zero 0
	.end_amdhsa_kernel
	.section	.text._ZN9rocsparseL18bsrxmvn_4x4_kernelILj128ELj32EfiifffEEvT3_20rocsparse_direction_NS_24const_host_device_scalarIT1_EES1_PKS1_PKT2_SA_S7_PKT4_PKT5_S5_PT6_21rocsparse_index_base_b,"axG",@progbits,_ZN9rocsparseL18bsrxmvn_4x4_kernelILj128ELj32EfiifffEEvT3_20rocsparse_direction_NS_24const_host_device_scalarIT1_EES1_PKS1_PKT2_SA_S7_PKT4_PKT5_S5_PT6_21rocsparse_index_base_b,comdat
.Lfunc_end3:
	.size	_ZN9rocsparseL18bsrxmvn_4x4_kernelILj128ELj32EfiifffEEvT3_20rocsparse_direction_NS_24const_host_device_scalarIT1_EES1_PKS1_PKT2_SA_S7_PKT4_PKT5_S5_PT6_21rocsparse_index_base_b, .Lfunc_end3-_ZN9rocsparseL18bsrxmvn_4x4_kernelILj128ELj32EfiifffEEvT3_20rocsparse_direction_NS_24const_host_device_scalarIT1_EES1_PKS1_PKT2_SA_S7_PKT4_PKT5_S5_PT6_21rocsparse_index_base_b
                                        ; -- End function
	.set _ZN9rocsparseL18bsrxmvn_4x4_kernelILj128ELj32EfiifffEEvT3_20rocsparse_direction_NS_24const_host_device_scalarIT1_EES1_PKS1_PKT2_SA_S7_PKT4_PKT5_S5_PT6_21rocsparse_index_base_b.num_vgpr, 73
	.set _ZN9rocsparseL18bsrxmvn_4x4_kernelILj128ELj32EfiifffEEvT3_20rocsparse_direction_NS_24const_host_device_scalarIT1_EES1_PKS1_PKT2_SA_S7_PKT4_PKT5_S5_PT6_21rocsparse_index_base_b.num_agpr, 0
	.set _ZN9rocsparseL18bsrxmvn_4x4_kernelILj128ELj32EfiifffEEvT3_20rocsparse_direction_NS_24const_host_device_scalarIT1_EES1_PKS1_PKT2_SA_S7_PKT4_PKT5_S5_PT6_21rocsparse_index_base_b.numbered_sgpr, 18
	.set _ZN9rocsparseL18bsrxmvn_4x4_kernelILj128ELj32EfiifffEEvT3_20rocsparse_direction_NS_24const_host_device_scalarIT1_EES1_PKS1_PKT2_SA_S7_PKT4_PKT5_S5_PT6_21rocsparse_index_base_b.num_named_barrier, 0
	.set _ZN9rocsparseL18bsrxmvn_4x4_kernelILj128ELj32EfiifffEEvT3_20rocsparse_direction_NS_24const_host_device_scalarIT1_EES1_PKS1_PKT2_SA_S7_PKT4_PKT5_S5_PT6_21rocsparse_index_base_b.private_seg_size, 0
	.set _ZN9rocsparseL18bsrxmvn_4x4_kernelILj128ELj32EfiifffEEvT3_20rocsparse_direction_NS_24const_host_device_scalarIT1_EES1_PKS1_PKT2_SA_S7_PKT4_PKT5_S5_PT6_21rocsparse_index_base_b.uses_vcc, 1
	.set _ZN9rocsparseL18bsrxmvn_4x4_kernelILj128ELj32EfiifffEEvT3_20rocsparse_direction_NS_24const_host_device_scalarIT1_EES1_PKS1_PKT2_SA_S7_PKT4_PKT5_S5_PT6_21rocsparse_index_base_b.uses_flat_scratch, 0
	.set _ZN9rocsparseL18bsrxmvn_4x4_kernelILj128ELj32EfiifffEEvT3_20rocsparse_direction_NS_24const_host_device_scalarIT1_EES1_PKS1_PKT2_SA_S7_PKT4_PKT5_S5_PT6_21rocsparse_index_base_b.has_dyn_sized_stack, 0
	.set _ZN9rocsparseL18bsrxmvn_4x4_kernelILj128ELj32EfiifffEEvT3_20rocsparse_direction_NS_24const_host_device_scalarIT1_EES1_PKS1_PKT2_SA_S7_PKT4_PKT5_S5_PT6_21rocsparse_index_base_b.has_recursion, 0
	.set _ZN9rocsparseL18bsrxmvn_4x4_kernelILj128ELj32EfiifffEEvT3_20rocsparse_direction_NS_24const_host_device_scalarIT1_EES1_PKS1_PKT2_SA_S7_PKT4_PKT5_S5_PT6_21rocsparse_index_base_b.has_indirect_call, 0
	.section	.AMDGPU.csdata,"",@progbits
; Kernel info:
; codeLenInByte = 3888
; TotalNumSgprs: 20
; NumVgprs: 73
; ScratchSize: 0
; MemoryBound: 1
; FloatMode: 240
; IeeeMode: 1
; LDSByteSize: 0 bytes/workgroup (compile time only)
; SGPRBlocks: 0
; VGPRBlocks: 4
; NumSGPRsForWavesPerEU: 20
; NumVGPRsForWavesPerEU: 73
; NamedBarCnt: 0
; Occupancy: 12
; WaveLimiterHint : 1
; COMPUTE_PGM_RSRC2:SCRATCH_EN: 0
; COMPUTE_PGM_RSRC2:USER_SGPR: 2
; COMPUTE_PGM_RSRC2:TRAP_HANDLER: 0
; COMPUTE_PGM_RSRC2:TGID_X_EN: 1
; COMPUTE_PGM_RSRC2:TGID_Y_EN: 0
; COMPUTE_PGM_RSRC2:TGID_Z_EN: 0
; COMPUTE_PGM_RSRC2:TIDIG_COMP_CNT: 0
	.section	.text._ZN9rocsparseL18bsrxmvn_4x4_kernelILj128ELj64EfiifffEEvT3_20rocsparse_direction_NS_24const_host_device_scalarIT1_EES1_PKS1_PKT2_SA_S7_PKT4_PKT5_S5_PT6_21rocsparse_index_base_b,"axG",@progbits,_ZN9rocsparseL18bsrxmvn_4x4_kernelILj128ELj64EfiifffEEvT3_20rocsparse_direction_NS_24const_host_device_scalarIT1_EES1_PKS1_PKT2_SA_S7_PKT4_PKT5_S5_PT6_21rocsparse_index_base_b,comdat
	.globl	_ZN9rocsparseL18bsrxmvn_4x4_kernelILj128ELj64EfiifffEEvT3_20rocsparse_direction_NS_24const_host_device_scalarIT1_EES1_PKS1_PKT2_SA_S7_PKT4_PKT5_S5_PT6_21rocsparse_index_base_b ; -- Begin function _ZN9rocsparseL18bsrxmvn_4x4_kernelILj128ELj64EfiifffEEvT3_20rocsparse_direction_NS_24const_host_device_scalarIT1_EES1_PKS1_PKT2_SA_S7_PKT4_PKT5_S5_PT6_21rocsparse_index_base_b
	.p2align	8
	.type	_ZN9rocsparseL18bsrxmvn_4x4_kernelILj128ELj64EfiifffEEvT3_20rocsparse_direction_NS_24const_host_device_scalarIT1_EES1_PKS1_PKT2_SA_S7_PKT4_PKT5_S5_PT6_21rocsparse_index_base_b,@function
_ZN9rocsparseL18bsrxmvn_4x4_kernelILj128ELj64EfiifffEEvT3_20rocsparse_direction_NS_24const_host_device_scalarIT1_EES1_PKS1_PKT2_SA_S7_PKT4_PKT5_S5_PT6_21rocsparse_index_base_b: ; @_ZN9rocsparseL18bsrxmvn_4x4_kernelILj128ELj64EfiifffEEvT3_20rocsparse_direction_NS_24const_host_device_scalarIT1_EES1_PKS1_PKT2_SA_S7_PKT4_PKT5_S5_PT6_21rocsparse_index_base_b
; %bb.0:
	s_clause 0x2
	s_load_b64 s[16:17], s[0:1], 0x58
	s_load_b64 s[12:13], s[0:1], 0x8
	;; [unrolled: 1-line block ×3, first 2 shown]
	s_wait_kmcnt 0x0
	s_bitcmp1_b32 s17, 0
	s_cselect_b32 s2, -1, 0
	s_delay_alu instid0(SALU_CYCLE_1)
	s_and_b32 vcc_lo, exec_lo, s2
	s_xor_b32 s2, s2, -1
	s_cbranch_vccnz .LBB4_2
; %bb.1:
	s_load_b32 s12, s[12:13], 0x0
.LBB4_2:
	s_and_not1_b32 vcc_lo, exec_lo, s2
	s_cbranch_vccnz .LBB4_4
; %bb.3:
	s_load_b32 s14, s[14:15], 0x0
.LBB4_4:
	s_wait_kmcnt 0x0
	s_cmp_neq_f32 s12, 0
	s_mov_b32 s6, 0
	s_cselect_b32 s2, -1, 0
	s_cmp_neq_f32 s14, 1.0
	s_cselect_b32 s3, -1, 0
	s_delay_alu instid0(SALU_CYCLE_1) | instskip(NEXT) | instid1(SALU_CYCLE_1)
	s_or_b32 s2, s2, s3
	s_and_not1_b32 vcc_lo, exec_lo, s2
	s_cbranch_vccnz .LBB4_10
; %bb.5:
	s_clause 0x1
	s_load_b64 s[4:5], s[0:1], 0x18
	s_load_b64 s[2:3], s[0:1], 0x0
	s_bfe_u32 s7, ttmp6, 0x4000c
	s_and_b32 s8, ttmp6, 15
	s_add_co_i32 s7, s7, 1
	s_getreg_b32 s9, hwreg(HW_REG_IB_STS2, 6, 4)
	s_mul_i32 s7, ttmp9, s7
	v_lshrrev_b32_e32 v1, 6, v0
	s_add_co_i32 s8, s8, s7
	s_cmp_eq_u32 s9, 0
	s_cselect_b32 s7, ttmp9, s8
	s_delay_alu instid0(VALU_DEP_1) | instid1(SALU_CYCLE_1)
	v_lshl_or_b32 v2, s7, 1, v1
	s_wait_kmcnt 0x0
	s_cmp_lg_u64 s[4:5], 0
	s_cbranch_scc0 .LBB4_11
; %bb.6:
	s_load_b32 s6, s[0:1], 0x10
	s_mov_b32 s7, 0
                                        ; implicit-def: $vgpr1
	s_wait_kmcnt 0x0
	v_cmp_gt_i32_e32 vcc_lo, s6, v2
	s_mov_b32 s6, 0
	s_and_saveexec_b32 s8, vcc_lo
	s_delay_alu instid0(SALU_CYCLE_1)
	s_xor_b32 s8, exec_lo, s8
	s_cbranch_execz .LBB4_8
; %bb.7:
	global_load_b32 v1, v2, s[4:5] scale_offset
	s_mov_b32 s6, exec_lo
	s_wait_loadcnt 0x0
	v_subrev_nc_u32_e32 v1, s16, v1
.LBB4_8:
	s_or_b32 exec_lo, exec_lo, s8
	s_delay_alu instid0(SALU_CYCLE_1)
	s_and_b32 vcc_lo, exec_lo, s7
	s_cbranch_vccz .LBB4_12
.LBB4_9:
	v_cmp_gt_i32_e32 vcc_lo, s2, v2
	s_and_not1_b32 s2, s6, exec_lo
	s_and_b32 s4, vcc_lo, exec_lo
	s_delay_alu instid0(SALU_CYCLE_1) | instskip(NEXT) | instid1(SALU_CYCLE_1)
	s_or_b32 s6, s2, s4
	s_and_saveexec_b32 s2, s6
	s_cbranch_execnz .LBB4_13
.LBB4_10:
	s_sendmsg sendmsg(MSG_DEALLOC_VGPRS)
	s_endpgm
.LBB4_11:
                                        ; implicit-def: $vgpr1
	s_cbranch_execnz .LBB4_9
.LBB4_12:
	s_delay_alu instid0(VALU_DEP_1)
	v_mov_b32_e32 v2, v1
	s_and_saveexec_b32 s2, s6
	s_cbranch_execz .LBB4_10
.LBB4_13:
	s_load_b256 s[4:11], s[0:1], 0x20
	s_wait_kmcnt 0x0
	s_cmp_eq_u64 s[6:7], 0
	global_load_b32 v12, v2, s[4:5] scale_offset
	s_cselect_b32 vcc_lo, -1, 0
	v_ashrrev_i32_e32 v3, 31, v2
	s_cmp_eq_u32 s3, 1
	s_delay_alu instid0(VALU_DEP_1) | instskip(SKIP_1) | instid1(VALU_DEP_2)
	v_lshlrev_b64_e32 v[4:5], 2, v[2:3]
	v_and_b32_e32 v3, 63, v0
	v_add_nc_u64_e32 v[6:7], s[4:5], v[4:5]
	v_add_nc_u64_e32 v[4:5], s[6:7], v[4:5]
	s_wait_xcnt 0x0
	s_load_b64 s[4:5], s[0:1], 0x40
	s_delay_alu instid0(VALU_DEP_2) | instskip(NEXT) | instid1(VALU_DEP_1)
	v_add_nc_u64_e32 v[6:7], 4, v[6:7]
	v_dual_cndmask_b32 v5, v5, v7 :: v_dual_cndmask_b32 v4, v4, v6
	global_load_b32 v6, v[4:5], off
	s_wait_loadcnt 0x1
	v_subrev_nc_u32_e32 v0, s16, v12
	s_delay_alu instid0(VALU_DEP_1) | instskip(NEXT) | instid1(VALU_DEP_1)
	v_add_nc_u32_e32 v0, v0, v3
	v_ashrrev_i32_e32 v1, 31, v0
	s_wait_xcnt 0x0
	s_delay_alu instid0(VALU_DEP_1) | instskip(NEXT) | instid1(VALU_DEP_1)
	v_lshlrev_b64_e32 v[4:5], 6, v[0:1]
	v_add_nc_u64_e32 v[4:5], s[10:11], v[4:5]
	s_wait_loadcnt 0x0
	v_subrev_nc_u32_e32 v1, s16, v6
	s_delay_alu instid0(VALU_DEP_1)
	v_cmp_lt_i32_e64 s2, v0, v1
	s_cbranch_scc1 .LBB4_25
; %bb.14:
	v_dual_mov_b32 v7, 0 :: v_dual_mov_b32 v6, 0
	v_dual_mov_b32 v9, 0 :: v_dual_mov_b32 v8, 0
	s_and_saveexec_b32 s3, s2
	s_cbranch_execz .LBB4_24
; %bb.15:
	v_add_nc_u32_e32 v6, v12, v3
	v_not_b32_e32 v7, v12
	v_mov_b64_e32 v[8:9], 0
	v_mov_b32_e32 v13, v0
	s_delay_alu instid0(VALU_DEP_4) | instskip(NEXT) | instid1(VALU_DEP_1)
	v_subrev_nc_u32_e32 v6, s16, v6
	v_add_max_i32_e64 v6, v6, 64, v1
	s_delay_alu instid0(VALU_DEP_1) | instskip(NEXT) | instid1(VALU_DEP_1)
	v_add3_u32 v6, s16, v6, v7
	v_sub_nc_u32_e32 v14, v6, v3
	v_mov_b64_e32 v[6:7], 0
	s_delay_alu instid0(VALU_DEP_2) | instskip(NEXT) | instid1(VALU_DEP_1)
	v_and_b32_e32 v10, 0xc0, v14
	v_cmp_ne_u32_e32 vcc_lo, 0xc0, v10
	v_mov_b64_e32 v[10:11], v[4:5]
	s_and_saveexec_b32 s6, vcc_lo
	s_cbranch_execz .LBB4_19
; %bb.16:
	v_lshrrev_b32_e32 v6, 6, v14
	v_mov_b64_e32 v[10:11], v[4:5]
	s_mov_b32 s7, 0
	s_delay_alu instid0(VALU_DEP_2) | instskip(NEXT) | instid1(VALU_DEP_1)
	v_dual_mov_b32 v6, 0 :: v_dual_add_nc_u32 v7, 1, v6
	v_dual_mov_b32 v13, v0 :: v_dual_bitop2_b32 v9, 3, v7 bitop3:0x40
	s_delay_alu instid0(VALU_DEP_2) | instskip(NEXT) | instid1(VALU_DEP_2)
	v_dual_mov_b32 v7, v6 :: v_dual_mov_b32 v8, v6
	v_dual_sub_nc_u32 v15, 0, v9 :: v_dual_mov_b32 v9, v6
.LBB4_17:                               ; =>This Inner Loop Header: Depth=1
	global_load_b32 v16, v13, s[8:9] scale_offset
	v_add_co_u32 v15, s10, v15, 1
	s_or_b32 s7, s10, s7
	s_wait_xcnt 0x0
	v_add_nc_u32_e32 v13, 64, v13
	s_wait_loadcnt 0x0
	v_subrev_nc_u32_e32 v16, s16, v16
	s_delay_alu instid0(VALU_DEP_1)
	v_lshlrev_b32_e32 v32, 2, v16
	s_clause 0x3
	global_load_b128 v[16:19], v[10:11], off offset:16
	global_load_b128 v[20:23], v[10:11], off
	global_load_b128 v[24:27], v[10:11], off offset:48
	global_load_b128 v[28:31], v[10:11], off offset:32
	s_wait_xcnt 0x0
	v_add_nc_u64_e32 v[10:11], 0x1000, v[10:11]
	s_wait_loadcnt 0x2
	v_dual_mov_b32 v36, v20 :: v_dual_ashrrev_i32 v33, 31, v32
	s_wait_loadcnt 0x0
	v_dual_mov_b32 v37, v16 :: v_dual_mov_b32 v38, v28
	v_dual_mov_b32 v39, v24 :: v_dual_mov_b32 v16, v21
	v_mov_b32_e32 v20, v22
	s_wait_kmcnt 0x0
	v_lshl_add_u64 v[32:33], v[32:33], 2, s[4:5]
	v_dual_mov_b32 v24, v29 :: v_dual_mov_b32 v21, v18
	v_dual_mov_b32 v28, v30 :: v_dual_mov_b32 v29, v26
	global_load_b128 v[32:35], v[32:33], off
	v_dual_mov_b32 v18, v23 :: v_dual_mov_b32 v26, v31
	s_wait_loadcnt 0x0
	v_pk_fma_f32 v[8:9], v[36:37], v[32:33], v[8:9] op_sel_hi:[1,0,1]
	v_pk_fma_f32 v[6:7], v[38:39], v[32:33], v[6:7] op_sel_hi:[1,0,1]
	s_delay_alu instid0(VALU_DEP_2) | instskip(NEXT) | instid1(VALU_DEP_2)
	v_pk_fma_f32 v[8:9], v[16:17], v[32:33], v[8:9] op_sel:[0,1,0]
	v_pk_fma_f32 v[6:7], v[24:25], v[32:33], v[6:7] op_sel:[0,1,0]
	v_mov_b32_e32 v16, v35
	s_delay_alu instid0(VALU_DEP_3) | instskip(NEXT) | instid1(VALU_DEP_3)
	v_pk_fma_f32 v[8:9], v[20:21], v[34:35], v[8:9] op_sel_hi:[1,0,1]
	v_pk_fma_f32 v[6:7], v[28:29], v[34:35], v[6:7] op_sel_hi:[1,0,1]
	s_delay_alu instid0(VALU_DEP_2) | instskip(NEXT) | instid1(VALU_DEP_2)
	v_pk_fma_f32 v[8:9], v[18:19], v[16:17], v[8:9] op_sel_hi:[1,0,1]
	v_pk_fma_f32 v[6:7], v[26:27], v[16:17], v[6:7] op_sel_hi:[1,0,1]
	s_and_not1_b32 exec_lo, exec_lo, s7
	s_cbranch_execnz .LBB4_17
; %bb.18:
	s_or_b32 exec_lo, exec_lo, s7
.LBB4_19:
	s_delay_alu instid0(SALU_CYCLE_1) | instskip(NEXT) | instid1(SALU_CYCLE_1)
	s_or_b32 exec_lo, exec_lo, s6
	s_mov_b32 s6, exec_lo
	v_cmpx_lt_u32_e32 0xbf, v14
	s_cbranch_execz .LBB4_23
; %bb.20:
	s_mov_b32 s7, 0
.LBB4_21:                               ; =>This Inner Loop Header: Depth=1
	s_clause 0x7
	global_load_b128 v[14:17], v[10:11], off
	global_load_b128 v[18:21], v[10:11], off offset:16
	global_load_b128 v[22:25], v[10:11], off offset:32
	;; [unrolled: 1-line block ×7, first 2 shown]
	s_clause 0x1
	global_load_b32 v68, v13, s[8:9] scale_offset
	global_load_b32 v70, v13, s[8:9] offset:256 scale_offset
	s_clause 0x1
	global_load_b128 v[46:49], v[10:11], off offset:8240
	global_load_b128 v[50:53], v[10:11], off offset:8224
	s_clause 0x1
	global_load_b32 v71, v13, s[8:9] offset:512 scale_offset
	global_load_b32 v72, v13, s[8:9] offset:768 scale_offset
	s_wait_loadcnt 0xc
	v_dual_mov_b32 v54, v14 :: v_dual_mov_b32 v55, v18
	v_dual_mov_b32 v18, v15 :: v_dual_mov_b32 v56, v16
	v_dual_mov_b32 v57, v20 :: v_dual_mov_b32 v20, v17
	s_wait_loadcnt 0x8
	v_dual_mov_b32 v62, v30 :: v_dual_mov_b32 v63, v34
	s_wait_loadcnt 0x5
	v_subrev_nc_u32_e32 v14, s16, v68
	s_wait_loadcnt 0x4
	v_subrev_nc_u32_e32 v15, s16, v70
	v_dual_mov_b32 v34, v31 :: v_dual_mov_b32 v64, v32
	v_dual_mov_b32 v65, v36 :: v_dual_mov_b32 v36, v33
	s_delay_alu instid0(VALU_DEP_3) | instskip(SKIP_2) | instid1(VALU_DEP_3)
	v_dual_lshlrev_b32 v14, 2, v14 :: v_dual_lshlrev_b32 v16, 2, v15
	v_dual_mov_b32 v58, v22 :: v_dual_mov_b32 v59, v26
	v_dual_mov_b32 v26, v23 :: v_dual_mov_b32 v60, v24
	v_dual_ashrrev_i32 v15, 31, v14 :: v_dual_ashrrev_i32 v17, 31, v16
	v_dual_mov_b32 v61, v28 :: v_dual_mov_b32 v28, v25
	v_dual_mov_b32 v66, v38 :: v_dual_mov_b32 v67, v42
	s_wait_kmcnt 0x0
	s_delay_alu instid0(VALU_DEP_3)
	v_lshl_add_u64 v[30:31], v[14:15], 2, s[4:5]
	v_lshl_add_u64 v[32:33], v[16:17], 2, s[4:5]
	s_clause 0x1
	global_load_b128 v[14:17], v[30:31], off
	global_load_b128 v[22:25], v[32:33], off
	v_dual_mov_b32 v42, v39 :: v_dual_mov_b32 v68, v40
	v_dual_mov_b32 v69, v44 :: v_dual_mov_b32 v44, v41
	global_load_b128 v[30:33], v[10:11], off offset:8208
	s_wait_loadcnt 0x2
	v_pk_fma_f32 v[8:9], v[54:55], v[14:15], v[8:9] op_sel_hi:[1,0,1]
	v_pk_fma_f32 v[38:39], v[58:59], v[14:15], v[6:7] op_sel_hi:[1,0,1]
	v_subrev_nc_u32_e32 v58, s16, v72
	s_delay_alu instid0(VALU_DEP_3) | instskip(NEXT) | instid1(VALU_DEP_3)
	v_pk_fma_f32 v[6:7], v[18:19], v[14:15], v[8:9] op_sel:[0,1,0]
	v_pk_fma_f32 v[14:15], v[26:27], v[14:15], v[38:39] op_sel:[0,1,0]
	s_delay_alu instid0(VALU_DEP_3) | instskip(NEXT) | instid1(VALU_DEP_3)
	v_dual_mov_b32 v38, v17 :: v_dual_lshlrev_b32 v58, 2, v58
	v_pk_fma_f32 v[18:19], v[56:57], v[16:17], v[6:7] op_sel_hi:[1,0,1]
	s_delay_alu instid0(VALU_DEP_3)
	v_pk_fma_f32 v[26:27], v[60:61], v[16:17], v[14:15] op_sel_hi:[1,0,1]
	s_clause 0x1
	global_load_b128 v[6:9], v[10:11], off offset:8192
	global_load_b128 v[14:17], v[10:11], off offset:12304
	v_add_nc_u32_e32 v13, 0x100, v13
	v_pk_fma_f32 v[40:41], v[20:21], v[38:39], v[18:19] op_sel_hi:[1,0,1]
	v_subrev_nc_u32_e32 v39, s16, v71
	v_ashrrev_i32_e32 v59, 31, v58
	global_load_b128 v[18:21], v[10:11], off offset:12288
	s_wait_loadcnt 0x4
	v_pk_fma_f32 v[56:57], v[62:63], v[22:23], v[40:41] op_sel_hi:[1,0,1]
	v_pk_fma_f32 v[54:55], v[28:29], v[38:39], v[26:27] op_sel_hi:[1,0,1]
	v_lshlrev_b32_e32 v38, 2, v39
	global_load_b128 v[26:29], v[10:11], off offset:12320
	v_lshl_add_u64 v[58:59], v[58:59], 2, s[4:5]
	v_pk_fma_f32 v[34:35], v[34:35], v[22:23], v[56:57] op_sel:[0,1,0]
	v_pk_fma_f32 v[60:61], v[66:67], v[22:23], v[54:55] op_sel_hi:[1,0,1]
	v_ashrrev_i32_e32 v39, 31, v38
	global_load_b128 v[54:57], v[10:11], off offset:12336
	s_wait_xcnt 0x0
	v_add_nc_u64_e32 v[10:11], 0x4000, v[10:11]
	v_pk_fma_f32 v[34:35], v[64:65], v[24:25], v[34:35] op_sel_hi:[1,0,1]
	v_pk_fma_f32 v[22:23], v[42:43], v[22:23], v[60:61] op_sel:[0,1,0]
	s_wait_loadcnt 0x5
	v_mov_b32_e32 v43, v30
	global_load_b128 v[58:61], v[58:59], off
	v_pk_fma_f32 v[22:23], v[68:69], v[24:25], v[22:23] op_sel_hi:[1,0,1]
	v_mov_b32_e32 v24, v25
	v_lshl_add_u64 v[38:39], v[38:39], 2, s[4:5]
	s_delay_alu instid0(VALU_DEP_2)
	v_pk_fma_f32 v[22:23], v[44:45], v[24:25], v[22:23] op_sel_hi:[1,0,1]
	global_load_b128 v[38:41], v[38:39], off
	s_wait_loadcnt 0x6
	v_dual_mov_b32 v42, v6 :: v_dual_mov_b32 v30, v7
	v_pk_fma_f32 v[6:7], v[36:37], v[24:25], v[34:35] op_sel_hi:[1,0,1]
	v_dual_mov_b32 v34, v50 :: v_dual_mov_b32 v35, v46
	v_dual_mov_b32 v46, v51 :: v_dual_mov_b32 v24, v8
	;; [unrolled: 1-line block ×4, first 2 shown]
	v_mov_b32_e32 v48, v53
	v_cmp_ge_i32_e32 vcc_lo, v13, v1
	s_or_b32 s7, vcc_lo, s7
	s_wait_loadcnt 0x0
	v_pk_fma_f32 v[6:7], v[42:43], v[38:39], v[6:7] op_sel_hi:[1,0,1]
	v_pk_fma_f32 v[22:23], v[34:35], v[38:39], v[22:23] op_sel_hi:[1,0,1]
	s_delay_alu instid0(VALU_DEP_2) | instskip(NEXT) | instid1(VALU_DEP_2)
	v_pk_fma_f32 v[6:7], v[30:31], v[38:39], v[6:7] op_sel:[0,1,0]
	v_pk_fma_f32 v[22:23], v[46:47], v[38:39], v[22:23] op_sel:[0,1,0]
	v_dual_mov_b32 v30, v18 :: v_dual_mov_b32 v18, v41
	v_mov_b32_e32 v31, v14
	s_delay_alu instid0(VALU_DEP_4) | instskip(NEXT) | instid1(VALU_DEP_4)
	v_pk_fma_f32 v[6:7], v[24:25], v[40:41], v[6:7] op_sel_hi:[1,0,1]
	v_pk_fma_f32 v[8:9], v[8:9], v[40:41], v[22:23] op_sel_hi:[1,0,1]
	v_dual_mov_b32 v22, v26 :: v_dual_mov_b32 v23, v54
	v_mov_b32_e32 v14, v19
	s_delay_alu instid0(VALU_DEP_4) | instskip(NEXT) | instid1(VALU_DEP_4)
	v_pk_fma_f32 v[6:7], v[32:33], v[18:19], v[6:7] op_sel_hi:[1,0,1]
	v_pk_fma_f32 v[8:9], v[48:49], v[18:19], v[8:9] op_sel_hi:[1,0,1]
	;; [unrolled: 5-line block ×3, first 2 shown]
	v_dual_mov_b32 v22, v28 :: v_dual_mov_b32 v23, v56
	v_dual_mov_b32 v16, v21 :: v_dual_mov_b32 v56, v29
	s_delay_alu instid0(VALU_DEP_4) | instskip(NEXT) | instid1(VALU_DEP_4)
	v_pk_fma_f32 v[6:7], v[14:15], v[58:59], v[6:7] op_sel:[0,1,0]
	v_pk_fma_f32 v[8:9], v[54:55], v[58:59], v[8:9] op_sel:[0,1,0]
	v_mov_b32_e32 v14, v61
	s_delay_alu instid0(VALU_DEP_3) | instskip(NEXT) | instid1(VALU_DEP_3)
	v_pk_fma_f32 v[6:7], v[18:19], v[60:61], v[6:7] op_sel_hi:[1,0,1]
	v_pk_fma_f32 v[18:19], v[22:23], v[60:61], v[8:9] op_sel_hi:[1,0,1]
	s_delay_alu instid0(VALU_DEP_2) | instskip(NEXT) | instid1(VALU_DEP_2)
	v_pk_fma_f32 v[8:9], v[16:17], v[14:15], v[6:7] op_sel_hi:[1,0,1]
	v_pk_fma_f32 v[6:7], v[56:57], v[14:15], v[18:19] op_sel_hi:[1,0,1]
	s_and_not1_b32 exec_lo, exec_lo, s7
	s_cbranch_execnz .LBB4_21
; %bb.22:
	s_or_b32 exec_lo, exec_lo, s7
.LBB4_23:
	s_delay_alu instid0(SALU_CYCLE_1)
	s_or_b32 exec_lo, exec_lo, s6
.LBB4_24:
	s_delay_alu instid0(SALU_CYCLE_1)
	s_or_b32 exec_lo, exec_lo, s3
	s_cbranch_execz .LBB4_26
	s_branch .LBB4_37
.LBB4_25:
                                        ; implicit-def: $vgpr7
                                        ; implicit-def: $vgpr9
.LBB4_26:
	v_dual_mov_b32 v7, 0 :: v_dual_mov_b32 v6, 0
	v_dual_mov_b32 v9, 0 :: v_dual_mov_b32 v8, 0
	s_and_saveexec_b32 s3, s2
	s_cbranch_execz .LBB4_36
; %bb.27:
	v_add_nc_u32_e32 v6, v12, v3
	v_not_b32_e32 v7, v12
	v_mov_b64_e32 v[8:9], 0
	s_mov_b32 s2, exec_lo
	s_delay_alu instid0(VALU_DEP_3) | instskip(NEXT) | instid1(VALU_DEP_1)
	v_subrev_nc_u32_e32 v6, s16, v6
	v_add_max_i32_e64 v6, v6, 64, v1
	s_delay_alu instid0(VALU_DEP_1) | instskip(NEXT) | instid1(VALU_DEP_1)
	v_add3_u32 v6, s16, v6, v7
	v_sub_nc_u32_e32 v10, v6, v3
	v_mov_b64_e32 v[6:7], 0
	s_delay_alu instid0(VALU_DEP_2) | instskip(NEXT) | instid1(VALU_DEP_1)
	v_and_b32_e32 v11, 0xc0, v10
	v_cmpx_ne_u32_e32 0xc0, v11
	s_cbranch_execz .LBB4_31
; %bb.28:
	v_lshrrev_b32_e32 v6, 6, v10
	s_mov_b32 s6, 0
	s_delay_alu instid0(VALU_DEP_1) | instskip(NEXT) | instid1(VALU_DEP_1)
	v_dual_mov_b32 v6, 0 :: v_dual_add_nc_u32 v7, 1, v6
	v_dual_mov_b32 v7, v6 :: v_dual_bitop2_b32 v9, 3, v7 bitop3:0x40
	s_delay_alu instid0(VALU_DEP_1)
	v_dual_mov_b32 v8, v6 :: v_dual_sub_nc_u32 v11, 0, v9
	v_mov_b32_e32 v9, v6
.LBB4_29:                               ; =>This Inner Loop Header: Depth=1
	global_load_b32 v12, v0, s[8:9] scale_offset
	s_wait_xcnt 0x0
	v_add_nc_u32_e32 v0, 64, v0
	v_add_co_u32 v11, s7, v11, 1
	s_or_b32 s6, s7, s6
	s_wait_loadcnt 0x0
	v_subrev_nc_u32_e32 v12, s16, v12
	s_delay_alu instid0(VALU_DEP_1) | instskip(NEXT) | instid1(VALU_DEP_1)
	v_lshlrev_b32_e32 v12, 2, v12
	v_ashrrev_i32_e32 v13, 31, v12
	s_wait_kmcnt 0x0
	s_delay_alu instid0(VALU_DEP_1)
	v_lshl_add_u64 v[32:33], v[12:13], 2, s[4:5]
	s_clause 0x1
	global_load_b128 v[12:15], v[4:5], off offset:16
	global_load_b128 v[16:19], v[4:5], off
	global_load_b128 v[20:23], v[32:33], off
	s_clause 0x1
	global_load_b128 v[24:27], v[4:5], off offset:32
	global_load_b128 v[28:31], v[4:5], off offset:48
	s_wait_xcnt 0x0
	v_add_nc_u64_e32 v[4:5], 0x1000, v[4:5]
	s_wait_loadcnt 0x2
	v_pk_fma_f32 v[8:9], v[16:17], v[20:21], v[8:9] op_sel_hi:[1,0,1]
	v_pk_fma_f32 v[6:7], v[18:19], v[20:21], v[6:7] op_sel_hi:[1,0,1]
	s_delay_alu instid0(VALU_DEP_2) | instskip(NEXT) | instid1(VALU_DEP_2)
	v_pk_fma_f32 v[8:9], v[12:13], v[20:21], v[8:9] op_sel:[0,1,0]
	v_pk_fma_f32 v[6:7], v[14:15], v[20:21], v[6:7] op_sel:[0,1,0]
	v_mov_b32_e32 v12, v23
	s_wait_loadcnt 0x1
	s_delay_alu instid0(VALU_DEP_3) | instskip(NEXT) | instid1(VALU_DEP_3)
	v_pk_fma_f32 v[8:9], v[24:25], v[22:23], v[8:9] op_sel_hi:[1,0,1]
	v_pk_fma_f32 v[6:7], v[26:27], v[22:23], v[6:7] op_sel_hi:[1,0,1]
	s_wait_loadcnt 0x0
	s_delay_alu instid0(VALU_DEP_2) | instskip(NEXT) | instid1(VALU_DEP_2)
	v_pk_fma_f32 v[8:9], v[28:29], v[12:13], v[8:9] op_sel_hi:[1,0,1]
	v_pk_fma_f32 v[6:7], v[30:31], v[12:13], v[6:7] op_sel_hi:[1,0,1]
	s_and_not1_b32 exec_lo, exec_lo, s6
	s_cbranch_execnz .LBB4_29
; %bb.30:
	s_or_b32 exec_lo, exec_lo, s6
.LBB4_31:
	s_delay_alu instid0(SALU_CYCLE_1) | instskip(NEXT) | instid1(SALU_CYCLE_1)
	s_or_b32 exec_lo, exec_lo, s2
	s_mov_b32 s2, exec_lo
	v_cmpx_lt_u32_e32 0xbf, v10
	s_cbranch_execz .LBB4_35
; %bb.32:
	s_mov_b32 s6, 0
.LBB4_33:                               ; =>This Inner Loop Header: Depth=1
	s_clause 0x2
	global_load_b32 v38, v0, s[8:9] scale_offset
	global_load_b32 v39, v0, s[8:9] offset:256 scale_offset
	global_load_b32 v40, v0, s[8:9] offset:512 scale_offset
	s_clause 0x6
	global_load_b128 v[10:13], v[4:5], off offset:48
	global_load_b128 v[14:17], v[4:5], off offset:32
	;; [unrolled: 1-line block ×3, first 2 shown]
	global_load_b128 v[22:25], v[4:5], off
	global_load_b128 v[26:29], v[4:5], off offset:4128
	global_load_b128 v[30:33], v[4:5], off offset:4112
	;; [unrolled: 1-line block ×3, first 2 shown]
	global_load_b32 v62, v0, s[8:9] offset:768 scale_offset
	s_wait_xcnt 0x0
	v_add_nc_u32_e32 v0, 0x100, v0
	s_delay_alu instid0(VALU_DEP_1)
	v_cmp_ge_i32_e32 vcc_lo, v0, v1
	s_or_b32 s6, vcc_lo, s6
	s_wait_loadcnt 0xa
	v_subrev_nc_u32_e32 v38, s16, v38
	s_wait_loadcnt 0x9
	v_subrev_nc_u32_e32 v39, s16, v39
	;; [unrolled: 2-line block ×3, first 2 shown]
	s_delay_alu instid0(VALU_DEP_2) | instskip(NEXT) | instid1(VALU_DEP_1)
	v_dual_lshlrev_b32 v38, 2, v38 :: v_dual_lshlrev_b32 v40, 2, v39
	v_dual_ashrrev_i32 v39, 31, v38 :: v_dual_ashrrev_i32 v41, 31, v40
	s_wait_kmcnt 0x0
	s_delay_alu instid0(VALU_DEP_1) | instskip(NEXT) | instid1(VALU_DEP_2)
	v_lshl_add_u64 v[58:59], v[38:39], 2, s[4:5]
	v_lshl_add_u64 v[60:61], v[40:41], 2, s[4:5]
	s_clause 0x1
	global_load_b128 v[38:41], v[58:59], off
	global_load_b128 v[42:45], v[60:61], off
	s_clause 0x2
	global_load_b128 v[46:49], v[4:5], off offset:4144
	global_load_b128 v[50:53], v[4:5], off offset:8240
	;; [unrolled: 1-line block ×3, first 2 shown]
	s_wait_xcnt 0x4
	v_lshlrev_b32_e32 v58, 2, v63
	s_delay_alu instid0(VALU_DEP_1)
	v_ashrrev_i32_e32 v59, 31, v58
	s_wait_loadcnt 0x4
	v_pk_fma_f32 v[22:23], v[22:23], v[38:39], v[8:9] op_sel_hi:[1,0,1]
	v_pk_fma_f32 v[24:25], v[24:25], v[38:39], v[6:7] op_sel_hi:[1,0,1]
	global_load_b128 v[6:9], v[4:5], off offset:8208
	v_pk_fma_f32 v[22:23], v[18:19], v[38:39], v[22:23] op_sel:[0,1,0]
	v_pk_fma_f32 v[24:25], v[20:21], v[38:39], v[24:25] op_sel:[0,1,0]
	v_lshl_add_u64 v[38:39], v[58:59], 2, s[4:5]
	global_load_b128 v[18:21], v[4:5], off offset:8192
	v_subrev_nc_u32_e32 v58, s16, v62
	v_pk_fma_f32 v[22:23], v[14:15], v[40:41], v[22:23] op_sel_hi:[1,0,1]
	v_pk_fma_f32 v[24:25], v[16:17], v[40:41], v[24:25] op_sel_hi:[1,0,1]
	global_load_b128 v[14:17], v[38:39], off
	s_wait_xcnt 0x0
	v_dual_mov_b32 v40, v41 :: v_dual_lshlrev_b32 v38, 2, v58
	s_delay_alu instid0(VALU_DEP_1) | instskip(NEXT) | instid1(VALU_DEP_2)
	v_pk_fma_f32 v[58:59], v[10:11], v[40:41], v[22:23] op_sel_hi:[1,0,1]
	v_ashrrev_i32_e32 v39, 31, v38
	v_pk_fma_f32 v[40:41], v[12:13], v[40:41], v[24:25] op_sel_hi:[1,0,1]
	s_clause 0x1
	global_load_b128 v[10:13], v[4:5], off offset:12304
	global_load_b128 v[22:25], v[4:5], off offset:12288
	s_wait_loadcnt 0x8
	v_pk_fma_f32 v[58:59], v[34:35], v[42:43], v[58:59] op_sel_hi:[1,0,1]
	v_lshl_add_u64 v[38:39], v[38:39], 2, s[4:5]
	v_pk_fma_f32 v[40:41], v[36:37], v[42:43], v[40:41] op_sel_hi:[1,0,1]
	global_load_b128 v[34:37], v[38:39], off
	s_wait_xcnt 0x0
	v_pk_fma_f32 v[38:39], v[30:31], v[42:43], v[58:59] op_sel:[0,1,0]
	v_pk_fma_f32 v[40:41], v[32:33], v[42:43], v[40:41] op_sel:[0,1,0]
	global_load_b128 v[30:33], v[4:5], off offset:12320
	v_mov_b32_e32 v42, v45
	v_pk_fma_f32 v[38:39], v[26:27], v[44:45], v[38:39] op_sel_hi:[1,0,1]
	v_pk_fma_f32 v[40:41], v[28:29], v[44:45], v[40:41] op_sel_hi:[1,0,1]
	global_load_b128 v[26:29], v[4:5], off offset:12336
	s_wait_xcnt 0x0
	v_add_nc_u64_e32 v[4:5], 0x4000, v[4:5]
	s_wait_loadcnt 0xa
	v_pk_fma_f32 v[38:39], v[46:47], v[42:43], v[38:39] op_sel_hi:[1,0,1]
	v_pk_fma_f32 v[40:41], v[48:49], v[42:43], v[40:41] op_sel_hi:[1,0,1]
	s_wait_loadcnt 0x5
	s_delay_alu instid0(VALU_DEP_2) | instskip(NEXT) | instid1(VALU_DEP_2)
	v_pk_fma_f32 v[18:19], v[18:19], v[14:15], v[38:39] op_sel_hi:[1,0,1]
	v_pk_fma_f32 v[20:21], v[20:21], v[14:15], v[40:41] op_sel_hi:[1,0,1]
	s_delay_alu instid0(VALU_DEP_2) | instskip(NEXT) | instid1(VALU_DEP_2)
	v_pk_fma_f32 v[6:7], v[6:7], v[14:15], v[18:19] op_sel:[0,1,0]
	v_pk_fma_f32 v[8:9], v[8:9], v[14:15], v[20:21] op_sel:[0,1,0]
	v_mov_b32_e32 v14, v17
	s_delay_alu instid0(VALU_DEP_3) | instskip(NEXT) | instid1(VALU_DEP_3)
	v_pk_fma_f32 v[6:7], v[54:55], v[16:17], v[6:7] op_sel_hi:[1,0,1]
	v_pk_fma_f32 v[8:9], v[56:57], v[16:17], v[8:9] op_sel_hi:[1,0,1]
	s_delay_alu instid0(VALU_DEP_2) | instskip(SKIP_1) | instid1(VALU_DEP_1)
	v_pk_fma_f32 v[6:7], v[50:51], v[14:15], v[6:7] op_sel_hi:[1,0,1]
	s_wait_loadcnt 0x2
	v_pk_fma_f32 v[6:7], v[22:23], v[34:35], v[6:7] op_sel_hi:[1,0,1]
	s_delay_alu instid0(VALU_DEP_1) | instskip(SKIP_3) | instid1(VALU_DEP_3)
	v_pk_fma_f32 v[6:7], v[10:11], v[34:35], v[6:7] op_sel:[0,1,0]
	v_mov_b32_e32 v10, v37
	v_pk_fma_f32 v[8:9], v[52:53], v[14:15], v[8:9] op_sel_hi:[1,0,1]
	s_wait_loadcnt 0x1
	v_pk_fma_f32 v[6:7], v[30:31], v[36:37], v[6:7] op_sel_hi:[1,0,1]
	s_delay_alu instid0(VALU_DEP_2) | instskip(NEXT) | instid1(VALU_DEP_1)
	v_pk_fma_f32 v[8:9], v[24:25], v[34:35], v[8:9] op_sel_hi:[1,0,1]
	v_pk_fma_f32 v[8:9], v[12:13], v[34:35], v[8:9] op_sel:[0,1,0]
	s_delay_alu instid0(VALU_DEP_1) | instskip(SKIP_2) | instid1(VALU_DEP_2)
	v_pk_fma_f32 v[12:13], v[32:33], v[36:37], v[8:9] op_sel_hi:[1,0,1]
	s_wait_loadcnt 0x0
	v_pk_fma_f32 v[8:9], v[26:27], v[10:11], v[6:7] op_sel_hi:[1,0,1]
	v_pk_fma_f32 v[6:7], v[28:29], v[10:11], v[12:13] op_sel_hi:[1,0,1]
	s_and_not1_b32 exec_lo, exec_lo, s6
	s_cbranch_execnz .LBB4_33
; %bb.34:
	s_or_b32 exec_lo, exec_lo, s6
.LBB4_35:
	s_delay_alu instid0(SALU_CYCLE_1)
	s_or_b32 exec_lo, exec_lo, s2
.LBB4_36:
	s_delay_alu instid0(SALU_CYCLE_1)
	s_or_b32 exec_lo, exec_lo, s3
.LBB4_37:
	v_mbcnt_lo_u32_b32 v10, -1, 0
	s_mov_b32 s2, -1
	s_delay_alu instid0(VALU_DEP_1) | instskip(SKIP_1) | instid1(VALU_DEP_1)
	v_xor_b32_e32 v11, 16, v10
	v_or_b32_e32 v0, 32, v10
	v_cmp_gt_i32_e32 vcc_lo, 32, v0
	v_cndmask_b32_e32 v0, v10, v0, vcc_lo
	s_delay_alu instid0(VALU_DEP_4) | instskip(SKIP_1) | instid1(VALU_DEP_1)
	v_cmp_gt_i32_e32 vcc_lo, 32, v11
	v_cndmask_b32_e32 v11, v10, v11, vcc_lo
	v_dual_lshlrev_b32 v11, 2, v11 :: v_dual_lshlrev_b32 v5, 2, v0
	ds_bpermute_b32 v0, v5, v8
	ds_bpermute_b32 v1, v5, v9
	;; [unrolled: 1-line block ×4, first 2 shown]
	s_wait_dscnt 0x2
	v_pk_add_f32 v[0:1], v[8:9], v[0:1]
	s_wait_dscnt 0x0
	v_pk_add_f32 v[4:5], v[6:7], v[4:5]
	ds_bpermute_b32 v6, v11, v0
	ds_bpermute_b32 v7, v11, v1
	ds_bpermute_b32 v8, v11, v4
	ds_bpermute_b32 v9, v11, v5
	v_xor_b32_e32 v11, 8, v10
	s_delay_alu instid0(VALU_DEP_1) | instskip(SKIP_1) | instid1(VALU_DEP_1)
	v_cmp_gt_i32_e32 vcc_lo, 32, v11
	v_cndmask_b32_e32 v11, v10, v11, vcc_lo
	v_lshlrev_b32_e32 v11, 2, v11
	s_wait_dscnt 0x2
	v_pk_add_f32 v[0:1], v[0:1], v[6:7]
	s_wait_dscnt 0x0
	v_pk_add_f32 v[4:5], v[4:5], v[8:9]
	ds_bpermute_b32 v6, v11, v0
	ds_bpermute_b32 v7, v11, v1
	ds_bpermute_b32 v8, v11, v4
	ds_bpermute_b32 v9, v11, v5
	v_xor_b32_e32 v11, 4, v10
	s_delay_alu instid0(VALU_DEP_1) | instskip(SKIP_1) | instid1(VALU_DEP_1)
	v_cmp_gt_i32_e32 vcc_lo, 32, v11
	v_cndmask_b32_e32 v11, v10, v11, vcc_lo
	v_lshlrev_b32_e32 v11, 2, v11
	;; [unrolled: 13-line block ×3, first 2 shown]
	s_wait_dscnt 0x2
	v_pk_add_f32 v[0:1], v[0:1], v[6:7]
	s_wait_dscnt 0x0
	v_pk_add_f32 v[4:5], v[4:5], v[8:9]
	ds_bpermute_b32 v6, v11, v0
	ds_bpermute_b32 v7, v11, v1
	;; [unrolled: 1-line block ×4, first 2 shown]
	v_xor_b32_e32 v11, 1, v10
	s_delay_alu instid0(VALU_DEP_1) | instskip(SKIP_2) | instid1(VALU_DEP_2)
	v_cmp_gt_i32_e32 vcc_lo, 32, v11
	v_cndmask_b32_e32 v10, v10, v11, vcc_lo
	v_cmp_eq_u32_e32 vcc_lo, 63, v3
	v_lshlrev_b32_e32 v10, 2, v10
	s_wait_dscnt 0x2
	v_pk_add_f32 v[0:1], v[0:1], v[6:7]
	s_wait_dscnt 0x0
	v_pk_add_f32 v[6:7], v[4:5], v[8:9]
	ds_bpermute_b32 v4, v10, v0
	ds_bpermute_b32 v5, v10, v1
	;; [unrolled: 1-line block ×4, first 2 shown]
	s_and_b32 exec_lo, exec_lo, vcc_lo
	s_cbranch_execz .LBB4_10
; %bb.38:
	s_load_b64 s[0:1], s[0:1], 0x50
	s_wait_dscnt 0x2
	v_pk_add_f32 v[4:5], v[0:1], v[4:5]
	s_wait_dscnt 0x0
	v_pk_add_f32 v[0:1], v[6:7], v[8:9]
	v_lshlrev_b32_e32 v2, 2, v2
	s_cmp_eq_f32 s14, 0
	s_cbranch_scc0 .LBB4_40
; %bb.39:
	s_delay_alu instid0(VALU_DEP_1)
	v_ashrrev_i32_e32 v3, 31, v2
	v_pk_mul_f32 v[6:7], s[12:13], v[4:5] op_sel_hi:[0,1]
	v_pk_mul_f32 v[8:9], s[12:13], v[0:1] op_sel_hi:[0,1]
	s_mov_b32 s2, 0
	s_wait_kmcnt 0x0
	v_lshl_add_u64 v[10:11], v[2:3], 2, s[0:1]
	global_store_b128 v[10:11], v[6:9], off
.LBB4_40:
	s_and_not1_b32 vcc_lo, exec_lo, s2
	s_cbranch_vccnz .LBB4_10
; %bb.41:
	v_ashrrev_i32_e32 v3, 31, v2
	s_wait_kmcnt 0x0
	s_delay_alu instid0(VALU_DEP_1)
	v_lshl_add_u64 v[10:11], v[2:3], 2, s[0:1]
	v_pk_mul_f32 v[2:3], s[12:13], v[4:5] op_sel_hi:[0,1]
	v_pk_mul_f32 v[4:5], s[12:13], v[0:1] op_sel_hi:[0,1]
	global_load_b128 v[6:9], v[10:11], off
	s_wait_loadcnt 0x0
	v_pk_fma_f32 v[0:1], s[14:15], v[6:7], v[2:3] op_sel_hi:[0,1,1]
	v_pk_fma_f32 v[2:3], s[14:15], v[8:9], v[4:5] op_sel_hi:[0,1,1]
	global_store_b128 v[10:11], v[0:3], off
	s_sendmsg sendmsg(MSG_DEALLOC_VGPRS)
	s_endpgm
	.section	.rodata,"a",@progbits
	.p2align	6, 0x0
	.amdhsa_kernel _ZN9rocsparseL18bsrxmvn_4x4_kernelILj128ELj64EfiifffEEvT3_20rocsparse_direction_NS_24const_host_device_scalarIT1_EES1_PKS1_PKT2_SA_S7_PKT4_PKT5_S5_PT6_21rocsparse_index_base_b
		.amdhsa_group_segment_fixed_size 0
		.amdhsa_private_segment_fixed_size 0
		.amdhsa_kernarg_size 96
		.amdhsa_user_sgpr_count 2
		.amdhsa_user_sgpr_dispatch_ptr 0
		.amdhsa_user_sgpr_queue_ptr 0
		.amdhsa_user_sgpr_kernarg_segment_ptr 1
		.amdhsa_user_sgpr_dispatch_id 0
		.amdhsa_user_sgpr_kernarg_preload_length 0
		.amdhsa_user_sgpr_kernarg_preload_offset 0
		.amdhsa_user_sgpr_private_segment_size 0
		.amdhsa_wavefront_size32 1
		.amdhsa_uses_dynamic_stack 0
		.amdhsa_enable_private_segment 0
		.amdhsa_system_sgpr_workgroup_id_x 1
		.amdhsa_system_sgpr_workgroup_id_y 0
		.amdhsa_system_sgpr_workgroup_id_z 0
		.amdhsa_system_sgpr_workgroup_info 0
		.amdhsa_system_vgpr_workitem_id 0
		.amdhsa_next_free_vgpr 73
		.amdhsa_next_free_sgpr 18
		.amdhsa_named_barrier_count 0
		.amdhsa_reserve_vcc 1
		.amdhsa_float_round_mode_32 0
		.amdhsa_float_round_mode_16_64 0
		.amdhsa_float_denorm_mode_32 3
		.amdhsa_float_denorm_mode_16_64 3
		.amdhsa_fp16_overflow 0
		.amdhsa_memory_ordered 1
		.amdhsa_forward_progress 1
		.amdhsa_inst_pref_size 31
		.amdhsa_round_robin_scheduling 0
		.amdhsa_exception_fp_ieee_invalid_op 0
		.amdhsa_exception_fp_denorm_src 0
		.amdhsa_exception_fp_ieee_div_zero 0
		.amdhsa_exception_fp_ieee_overflow 0
		.amdhsa_exception_fp_ieee_underflow 0
		.amdhsa_exception_fp_ieee_inexact 0
		.amdhsa_exception_int_div_zero 0
	.end_amdhsa_kernel
	.section	.text._ZN9rocsparseL18bsrxmvn_4x4_kernelILj128ELj64EfiifffEEvT3_20rocsparse_direction_NS_24const_host_device_scalarIT1_EES1_PKS1_PKT2_SA_S7_PKT4_PKT5_S5_PT6_21rocsparse_index_base_b,"axG",@progbits,_ZN9rocsparseL18bsrxmvn_4x4_kernelILj128ELj64EfiifffEEvT3_20rocsparse_direction_NS_24const_host_device_scalarIT1_EES1_PKS1_PKT2_SA_S7_PKT4_PKT5_S5_PT6_21rocsparse_index_base_b,comdat
.Lfunc_end4:
	.size	_ZN9rocsparseL18bsrxmvn_4x4_kernelILj128ELj64EfiifffEEvT3_20rocsparse_direction_NS_24const_host_device_scalarIT1_EES1_PKS1_PKT2_SA_S7_PKT4_PKT5_S5_PT6_21rocsparse_index_base_b, .Lfunc_end4-_ZN9rocsparseL18bsrxmvn_4x4_kernelILj128ELj64EfiifffEEvT3_20rocsparse_direction_NS_24const_host_device_scalarIT1_EES1_PKS1_PKT2_SA_S7_PKT4_PKT5_S5_PT6_21rocsparse_index_base_b
                                        ; -- End function
	.set _ZN9rocsparseL18bsrxmvn_4x4_kernelILj128ELj64EfiifffEEvT3_20rocsparse_direction_NS_24const_host_device_scalarIT1_EES1_PKS1_PKT2_SA_S7_PKT4_PKT5_S5_PT6_21rocsparse_index_base_b.num_vgpr, 73
	.set _ZN9rocsparseL18bsrxmvn_4x4_kernelILj128ELj64EfiifffEEvT3_20rocsparse_direction_NS_24const_host_device_scalarIT1_EES1_PKS1_PKT2_SA_S7_PKT4_PKT5_S5_PT6_21rocsparse_index_base_b.num_agpr, 0
	.set _ZN9rocsparseL18bsrxmvn_4x4_kernelILj128ELj64EfiifffEEvT3_20rocsparse_direction_NS_24const_host_device_scalarIT1_EES1_PKS1_PKT2_SA_S7_PKT4_PKT5_S5_PT6_21rocsparse_index_base_b.numbered_sgpr, 18
	.set _ZN9rocsparseL18bsrxmvn_4x4_kernelILj128ELj64EfiifffEEvT3_20rocsparse_direction_NS_24const_host_device_scalarIT1_EES1_PKS1_PKT2_SA_S7_PKT4_PKT5_S5_PT6_21rocsparse_index_base_b.num_named_barrier, 0
	.set _ZN9rocsparseL18bsrxmvn_4x4_kernelILj128ELj64EfiifffEEvT3_20rocsparse_direction_NS_24const_host_device_scalarIT1_EES1_PKS1_PKT2_SA_S7_PKT4_PKT5_S5_PT6_21rocsparse_index_base_b.private_seg_size, 0
	.set _ZN9rocsparseL18bsrxmvn_4x4_kernelILj128ELj64EfiifffEEvT3_20rocsparse_direction_NS_24const_host_device_scalarIT1_EES1_PKS1_PKT2_SA_S7_PKT4_PKT5_S5_PT6_21rocsparse_index_base_b.uses_vcc, 1
	.set _ZN9rocsparseL18bsrxmvn_4x4_kernelILj128ELj64EfiifffEEvT3_20rocsparse_direction_NS_24const_host_device_scalarIT1_EES1_PKS1_PKT2_SA_S7_PKT4_PKT5_S5_PT6_21rocsparse_index_base_b.uses_flat_scratch, 0
	.set _ZN9rocsparseL18bsrxmvn_4x4_kernelILj128ELj64EfiifffEEvT3_20rocsparse_direction_NS_24const_host_device_scalarIT1_EES1_PKS1_PKT2_SA_S7_PKT4_PKT5_S5_PT6_21rocsparse_index_base_b.has_dyn_sized_stack, 0
	.set _ZN9rocsparseL18bsrxmvn_4x4_kernelILj128ELj64EfiifffEEvT3_20rocsparse_direction_NS_24const_host_device_scalarIT1_EES1_PKS1_PKT2_SA_S7_PKT4_PKT5_S5_PT6_21rocsparse_index_base_b.has_recursion, 0
	.set _ZN9rocsparseL18bsrxmvn_4x4_kernelILj128ELj64EfiifffEEvT3_20rocsparse_direction_NS_24const_host_device_scalarIT1_EES1_PKS1_PKT2_SA_S7_PKT4_PKT5_S5_PT6_21rocsparse_index_base_b.has_indirect_call, 0
	.section	.AMDGPU.csdata,"",@progbits
; Kernel info:
; codeLenInByte = 3964
; TotalNumSgprs: 20
; NumVgprs: 73
; ScratchSize: 0
; MemoryBound: 1
; FloatMode: 240
; IeeeMode: 1
; LDSByteSize: 0 bytes/workgroup (compile time only)
; SGPRBlocks: 0
; VGPRBlocks: 4
; NumSGPRsForWavesPerEU: 20
; NumVGPRsForWavesPerEU: 73
; NamedBarCnt: 0
; Occupancy: 12
; WaveLimiterHint : 1
; COMPUTE_PGM_RSRC2:SCRATCH_EN: 0
; COMPUTE_PGM_RSRC2:USER_SGPR: 2
; COMPUTE_PGM_RSRC2:TRAP_HANDLER: 0
; COMPUTE_PGM_RSRC2:TGID_X_EN: 1
; COMPUTE_PGM_RSRC2:TGID_Y_EN: 0
; COMPUTE_PGM_RSRC2:TGID_Z_EN: 0
; COMPUTE_PGM_RSRC2:TIDIG_COMP_CNT: 0
	.section	.text._ZN9rocsparseL18bsrxmvn_4x4_kernelILj128ELj4EdiidddEEvT3_20rocsparse_direction_NS_24const_host_device_scalarIT1_EES1_PKS1_PKT2_SA_S7_PKT4_PKT5_S5_PT6_21rocsparse_index_base_b,"axG",@progbits,_ZN9rocsparseL18bsrxmvn_4x4_kernelILj128ELj4EdiidddEEvT3_20rocsparse_direction_NS_24const_host_device_scalarIT1_EES1_PKS1_PKT2_SA_S7_PKT4_PKT5_S5_PT6_21rocsparse_index_base_b,comdat
	.globl	_ZN9rocsparseL18bsrxmvn_4x4_kernelILj128ELj4EdiidddEEvT3_20rocsparse_direction_NS_24const_host_device_scalarIT1_EES1_PKS1_PKT2_SA_S7_PKT4_PKT5_S5_PT6_21rocsparse_index_base_b ; -- Begin function _ZN9rocsparseL18bsrxmvn_4x4_kernelILj128ELj4EdiidddEEvT3_20rocsparse_direction_NS_24const_host_device_scalarIT1_EES1_PKS1_PKT2_SA_S7_PKT4_PKT5_S5_PT6_21rocsparse_index_base_b
	.p2align	8
	.type	_ZN9rocsparseL18bsrxmvn_4x4_kernelILj128ELj4EdiidddEEvT3_20rocsparse_direction_NS_24const_host_device_scalarIT1_EES1_PKS1_PKT2_SA_S7_PKT4_PKT5_S5_PT6_21rocsparse_index_base_b,@function
_ZN9rocsparseL18bsrxmvn_4x4_kernelILj128ELj4EdiidddEEvT3_20rocsparse_direction_NS_24const_host_device_scalarIT1_EES1_PKS1_PKT2_SA_S7_PKT4_PKT5_S5_PT6_21rocsparse_index_base_b: ; @_ZN9rocsparseL18bsrxmvn_4x4_kernelILj128ELj4EdiidddEEvT3_20rocsparse_direction_NS_24const_host_device_scalarIT1_EES1_PKS1_PKT2_SA_S7_PKT4_PKT5_S5_PT6_21rocsparse_index_base_b
; %bb.0:
	s_clause 0x2
	s_load_b64 s[12:13], s[0:1], 0x58
	s_load_b64 s[4:5], s[0:1], 0x8
	;; [unrolled: 1-line block ×3, first 2 shown]
	s_wait_kmcnt 0x0
	s_bitcmp1_b32 s13, 0
	v_mov_b64_e32 v[2:3], s[4:5]
	s_cselect_b32 s6, -1, 0
	s_delay_alu instid0(SALU_CYCLE_1)
	s_and_b32 vcc_lo, exec_lo, s6
	s_xor_b32 s6, s6, -1
	s_cbranch_vccnz .LBB5_2
; %bb.1:
	v_mov_b32_e32 v1, 0
	flat_load_b64 v[2:3], v1, s[4:5]
.LBB5_2:
	v_mov_b64_e32 v[8:9], s[2:3]
	s_and_not1_b32 vcc_lo, exec_lo, s6
	s_cbranch_vccnz .LBB5_4
; %bb.3:
	s_wait_xcnt 0x0
	v_mov_b32_e32 v1, 0
	flat_load_b64 v[8:9], v1, s[2:3]
.LBB5_4:
	s_wait_loadcnt_dscnt 0x0
	v_cmp_neq_f64_e32 vcc_lo, 0, v[2:3]
	s_delay_alu instid0(VALU_DEP_2) | instskip(SKIP_1) | instid1(SALU_CYCLE_1)
	v_cmp_neq_f64_e64 s2, 1.0, v[8:9]
	s_or_b32 s2, vcc_lo, s2
	s_and_saveexec_b32 s3, s2
	s_cbranch_execz .LBB5_10
; %bb.5:
	s_clause 0x1
	s_load_b64 s[4:5], s[0:1], 0x18
	s_load_b64 s[2:3], s[0:1], 0x0
	s_bfe_u32 s6, ttmp6, 0x4000c
	s_and_b32 s7, ttmp6, 15
	s_add_co_i32 s6, s6, 1
	s_getreg_b32 s8, hwreg(HW_REG_IB_STS2, 6, 4)
	s_mul_i32 s6, ttmp9, s6
	v_lshrrev_b32_e32 v1, 2, v0
	s_add_co_i32 s7, s7, s6
	s_cmp_eq_u32 s8, 0
	s_cselect_b32 s6, ttmp9, s7
	s_delay_alu instid0(VALU_DEP_1) | instid1(SALU_CYCLE_1)
	v_lshl_or_b32 v10, s6, 5, v1
	s_mov_b32 s6, 0
	s_wait_kmcnt 0x0
	s_cmp_lg_u64 s[4:5], 0
	s_cbranch_scc0 .LBB5_11
; %bb.6:
	s_load_b32 s6, s[0:1], 0x10
	s_mov_b32 s7, 0
                                        ; implicit-def: $vgpr1
	s_wait_kmcnt 0x0
	v_cmp_gt_i32_e32 vcc_lo, s6, v10
	s_mov_b32 s6, 0
	s_and_saveexec_b32 s8, vcc_lo
	s_delay_alu instid0(SALU_CYCLE_1)
	s_xor_b32 s8, exec_lo, s8
	s_cbranch_execz .LBB5_8
; %bb.7:
	global_load_b32 v1, v10, s[4:5] scale_offset
	s_mov_b32 s6, exec_lo
	s_wait_loadcnt 0x0
	v_subrev_nc_u32_e32 v1, s12, v1
.LBB5_8:
	s_or_b32 exec_lo, exec_lo, s8
	s_delay_alu instid0(SALU_CYCLE_1)
	s_and_b32 vcc_lo, exec_lo, s7
	s_cbranch_vccz .LBB5_12
.LBB5_9:
	v_cmp_gt_i32_e32 vcc_lo, s2, v10
	s_and_not1_b32 s2, s6, exec_lo
	s_and_b32 s4, vcc_lo, exec_lo
	s_delay_alu instid0(SALU_CYCLE_1) | instskip(NEXT) | instid1(SALU_CYCLE_1)
	s_or_b32 s6, s2, s4
	s_and_b32 exec_lo, exec_lo, s6
	s_cbranch_execnz .LBB5_13
.LBB5_10:
	s_sendmsg sendmsg(MSG_DEALLOC_VGPRS)
	s_endpgm
.LBB5_11:
                                        ; implicit-def: $vgpr1
	s_cbranch_execnz .LBB5_9
.LBB5_12:
	s_delay_alu instid0(VALU_DEP_1)
	v_mov_b32_e32 v10, v1
	s_and_b32 exec_lo, exec_lo, s6
	s_cbranch_execz .LBB5_10
.LBB5_13:
	s_load_b256 s[4:11], s[0:1], 0x20
	s_wait_kmcnt 0x0
	s_cmp_eq_u64 s[6:7], 0
	global_load_b32 v20, v10, s[4:5] scale_offset
	s_cselect_b32 vcc_lo, -1, 0
	v_ashrrev_i32_e32 v11, 31, v10
	s_cmp_eq_u32 s3, 1
	s_delay_alu instid0(VALU_DEP_1) | instskip(SKIP_1) | instid1(VALU_DEP_2)
	v_lshlrev_b64_e32 v[4:5], 2, v[10:11]
	v_and_b32_e32 v11, 3, v0
	v_add_nc_u64_e32 v[6:7], s[4:5], v[4:5]
	v_add_nc_u64_e32 v[4:5], s[6:7], v[4:5]
	s_wait_xcnt 0x0
	s_load_b64 s[4:5], s[0:1], 0x40
	s_delay_alu instid0(VALU_DEP_2) | instskip(NEXT) | instid1(VALU_DEP_1)
	v_add_nc_u64_e32 v[6:7], 4, v[6:7]
	v_dual_cndmask_b32 v5, v5, v7 :: v_dual_cndmask_b32 v4, v4, v6
	global_load_b32 v6, v[4:5], off
	s_wait_loadcnt 0x1
	v_subrev_nc_u32_e32 v0, s12, v20
	s_wait_xcnt 0x0
	s_delay_alu instid0(VALU_DEP_1) | instskip(NEXT) | instid1(VALU_DEP_1)
	v_add_nc_u32_e32 v4, v0, v11
	v_ashrrev_i32_e32 v5, 31, v4
	s_delay_alu instid0(VALU_DEP_1) | instskip(SKIP_2) | instid1(VALU_DEP_2)
	v_lshlrev_b64_e32 v[0:1], 7, v[4:5]
	s_wait_loadcnt 0x0
	v_subrev_nc_u32_e32 v5, s12, v6
	v_add_nc_u64_e32 v[6:7], s[10:11], v[0:1]
	s_delay_alu instid0(VALU_DEP_2)
	v_cmp_lt_i32_e64 s2, v4, v5
	s_cbranch_scc1 .LBB5_25
; %bb.14:
	v_mov_b64_e32 v[0:1], 0
	v_mov_b64_e32 v[14:15], 0
	;; [unrolled: 1-line block ×4, first 2 shown]
	s_and_saveexec_b32 s3, s2
	s_cbranch_execz .LBB5_24
; %bb.15:
	v_add_nc_u32_e32 v0, v20, v11
	v_not_b32_e32 v1, v20
	v_mov_b64_e32 v[12:13], 0
	v_mov_b64_e32 v[16:17], 0
	;; [unrolled: 1-line block ×3, first 2 shown]
	v_subrev_nc_u32_e32 v0, s12, v0
	v_mov_b32_e32 v21, v4
	s_delay_alu instid0(VALU_DEP_2) | instskip(NEXT) | instid1(VALU_DEP_1)
	v_add_max_i32_e64 v0, v0, 4, v5
	v_add3_u32 v0, s12, v0, v1
	s_delay_alu instid0(VALU_DEP_1) | instskip(SKIP_1) | instid1(VALU_DEP_2)
	v_sub_nc_u32_e32 v22, v0, v11
	v_mov_b64_e32 v[0:1], 0
	v_and_b32_e32 v18, 12, v22
	s_delay_alu instid0(VALU_DEP_1)
	v_cmp_ne_u32_e32 vcc_lo, 12, v18
	v_mov_b64_e32 v[18:19], v[6:7]
	s_and_saveexec_b32 s6, vcc_lo
	s_cbranch_execz .LBB5_19
; %bb.16:
	v_lshrrev_b32_e32 v0, 2, v22
	v_mov_b64_e32 v[18:19], v[6:7]
	v_mov_b64_e32 v[14:15], 0
	;; [unrolled: 1-line block ×3, first 2 shown]
	s_mov_b32 s7, 0
	v_add_nc_u32_e32 v12, 1, v0
	v_mov_b64_e32 v[0:1], 0
	s_delay_alu instid0(VALU_DEP_2) | instskip(SKIP_1) | instid1(VALU_DEP_2)
	v_and_b32_e32 v21, 3, v12
	v_mov_b64_e32 v[12:13], 0
	v_dual_sub_nc_u32 v23, 0, v21 :: v_dual_mov_b32 v21, v4
.LBB5_17:                               ; =>This Inner Loop Header: Depth=1
	global_load_b32 v40, v21, s[8:9] scale_offset
	s_clause 0x3
	global_load_b128 v[24:27], v[18:19], off offset:48
	global_load_b128 v[28:31], v[18:19], off offset:32
	;; [unrolled: 1-line block ×3, first 2 shown]
	global_load_b128 v[36:39], v[18:19], off
	v_add_co_u32 v23, s10, v23, 1
	s_or_b32 s7, s10, s7
	s_wait_xcnt 0x4
	v_add_nc_u32_e32 v21, 4, v21
	global_load_b128 v[48:51], v[18:19], off offset:80
	s_wait_loadcnt 0x5
	v_subrev_nc_u32_e32 v44, s12, v40
	global_load_b128 v[40:43], v[18:19], off offset:112
	v_lshlrev_b32_e32 v52, 2, v44
	global_load_b128 v[44:47], v[18:19], off offset:96
	v_ashrrev_i32_e32 v53, 31, v52
	s_wait_kmcnt 0x0
	s_delay_alu instid0(VALU_DEP_1)
	v_lshl_add_u64 v[64:65], v[52:53], 3, s[4:5]
	global_load_b128 v[52:55], v[18:19], off offset:64
	s_clause 0x1
	global_load_b128 v[56:59], v[64:65], off
	global_load_b128 v[60:63], v[64:65], off offset:16
	s_wait_xcnt 0x2
	v_add_nc_u64_e32 v[18:19], 0x200, v[18:19]
	s_wait_loadcnt 0x1
	v_fmac_f64_e32 v[12:13], v[36:37], v[56:57]
	v_fmac_f64_e32 v[16:17], v[28:29], v[56:57]
	;; [unrolled: 1-line block ×4, first 2 shown]
	s_delay_alu instid0(VALU_DEP_4) | instskip(NEXT) | instid1(VALU_DEP_4)
	v_fmac_f64_e32 v[12:13], v[38:39], v[58:59]
	v_fmac_f64_e32 v[16:17], v[30:31], v[58:59]
	s_delay_alu instid0(VALU_DEP_4) | instskip(NEXT) | instid1(VALU_DEP_4)
	v_fmac_f64_e32 v[14:15], v[54:55], v[58:59]
	v_fmac_f64_e32 v[0:1], v[46:47], v[58:59]
	s_wait_loadcnt 0x0
	s_delay_alu instid0(VALU_DEP_4) | instskip(NEXT) | instid1(VALU_DEP_4)
	v_fmac_f64_e32 v[12:13], v[32:33], v[60:61]
	v_fmac_f64_e32 v[16:17], v[24:25], v[60:61]
	s_delay_alu instid0(VALU_DEP_4) | instskip(NEXT) | instid1(VALU_DEP_4)
	v_fmac_f64_e32 v[14:15], v[48:49], v[60:61]
	v_fmac_f64_e32 v[0:1], v[40:41], v[60:61]
	s_delay_alu instid0(VALU_DEP_4) | instskip(NEXT) | instid1(VALU_DEP_4)
	v_fmac_f64_e32 v[12:13], v[34:35], v[62:63]
	v_fmac_f64_e32 v[16:17], v[26:27], v[62:63]
	s_delay_alu instid0(VALU_DEP_4) | instskip(NEXT) | instid1(VALU_DEP_4)
	v_fmac_f64_e32 v[14:15], v[50:51], v[62:63]
	v_fmac_f64_e32 v[0:1], v[42:43], v[62:63]
	s_and_not1_b32 exec_lo, exec_lo, s7
	s_cbranch_execnz .LBB5_17
; %bb.18:
	s_or_b32 exec_lo, exec_lo, s7
.LBB5_19:
	s_delay_alu instid0(SALU_CYCLE_1) | instskip(NEXT) | instid1(SALU_CYCLE_1)
	s_or_b32 exec_lo, exec_lo, s6
	s_mov_b32 s6, exec_lo
	v_cmpx_lt_u32_e32 11, v22
	s_cbranch_execz .LBB5_23
; %bb.20:
	s_mov_b32 s7, 0
.LBB5_21:                               ; =>This Inner Loop Header: Depth=1
	s_clause 0x1
	global_load_b32 v122, v21, s[8:9] scale_offset
	global_load_b32 v123, v21, s[8:9] offset:16 scale_offset
	s_clause 0xf
	global_load_b128 v[22:25], v[18:19], off offset:48
	global_load_b128 v[26:29], v[18:19], off offset:32
	;; [unrolled: 1-line block ×3, first 2 shown]
	global_load_b128 v[34:37], v[18:19], off
	global_load_b128 v[38:41], v[18:19], off offset:112
	global_load_b128 v[42:45], v[18:19], off offset:96
	;; [unrolled: 1-line block ×12, first 2 shown]
	s_clause 0x1
	global_load_b32 v134, v21, s[8:9] offset:32 scale_offset
	global_load_b32 v135, v21, s[8:9] offset:48 scale_offset
	s_clause 0x8
	global_load_b128 v[86:89], v[18:19], off offset:1072
	global_load_b128 v[90:93], v[18:19], off offset:1056
	;; [unrolled: 1-line block ×9, first 2 shown]
	s_wait_xcnt 0x9
	v_add_nc_u32_e32 v21, 16, v21
	s_delay_alu instid0(VALU_DEP_1)
	v_cmp_ge_i32_e32 vcc_lo, v21, v5
	s_or_b32 s7, vcc_lo, s7
	s_wait_loadcnt 0x1c
	v_subrev_nc_u32_e32 v122, s12, v122
	s_wait_loadcnt 0x1b
	v_subrev_nc_u32_e32 v123, s12, v123
	s_delay_alu instid0(VALU_DEP_1) | instskip(NEXT) | instid1(VALU_DEP_1)
	v_dual_lshlrev_b32 v122, 2, v122 :: v_dual_lshlrev_b32 v124, 2, v123
	v_dual_ashrrev_i32 v123, 31, v122 :: v_dual_ashrrev_i32 v125, 31, v124
	s_wait_kmcnt 0x0
	s_delay_alu instid0(VALU_DEP_1) | instskip(NEXT) | instid1(VALU_DEP_2)
	v_lshl_add_u64 v[130:131], v[122:123], 3, s[4:5]
	v_lshl_add_u64 v[132:133], v[124:125], 3, s[4:5]
	s_clause 0x1
	global_load_b128 v[122:125], v[130:131], off
	global_load_b128 v[126:129], v[130:131], off offset:16
	s_wait_loadcnt 0xc
	s_wait_xcnt 0x0
	v_subrev_nc_u32_e32 v130, s12, v134
	s_delay_alu instid0(VALU_DEP_1) | instskip(NEXT) | instid1(VALU_DEP_1)
	v_lshlrev_b32_e32 v130, 2, v130
	v_ashrrev_i32_e32 v131, 31, v130
	s_delay_alu instid0(VALU_DEP_1)
	v_lshl_add_u64 v[130:131], v[130:131], 3, s[4:5]
	s_wait_loadcnt 0x1
	v_fmac_f64_e32 v[12:13], v[34:35], v[122:123]
	v_fmac_f64_e32 v[14:15], v[50:51], v[122:123]
	;; [unrolled: 1-line block ×4, first 2 shown]
	s_delay_alu instid0(VALU_DEP_4)
	v_fmac_f64_e32 v[12:13], v[36:37], v[124:125]
	global_load_b128 v[34:37], v[132:133], off
	v_fmac_f64_e32 v[14:15], v[52:53], v[124:125]
	global_load_b128 v[50:53], v[132:133], off offset:16
	v_fmac_f64_e32 v[16:17], v[28:29], v[124:125]
	global_load_b128 v[26:29], v[18:19], off offset:1568
	v_fmac_f64_e32 v[0:1], v[44:45], v[124:125]
	s_clause 0x1
	global_load_b128 v[42:45], v[18:19], off offset:1552
	global_load_b128 v[122:125], v[18:19], off offset:1536
	s_wait_loadcnt 0x5
	v_fmac_f64_e32 v[12:13], v[30:31], v[126:127]
	v_fmac_f64_e32 v[14:15], v[46:47], v[126:127]
	;; [unrolled: 1-line block ×4, first 2 shown]
	v_subrev_nc_u32_e32 v126, s12, v135
	s_delay_alu instid0(VALU_DEP_1) | instskip(NEXT) | instid1(VALU_DEP_1)
	v_lshlrev_b32_e32 v126, 2, v126
	v_ashrrev_i32_e32 v127, 31, v126
	s_delay_alu instid0(VALU_DEP_1)
	v_lshl_add_u64 v[134:135], v[126:127], 3, s[4:5]
	v_fmac_f64_e32 v[12:13], v[32:33], v[128:129]
	global_load_b128 v[30:33], v[130:131], off
	v_fmac_f64_e32 v[14:15], v[48:49], v[128:129]
	global_load_b128 v[46:49], v[18:19], off offset:1632
	v_fmac_f64_e32 v[16:17], v[24:25], v[128:129]
	global_load_b128 v[22:25], v[130:131], off offset:16
	;; [unrolled: 2-line block ×3, first 2 shown]
	global_load_b128 v[126:129], v[134:135], off
	s_wait_loadcnt 0x9
	v_fmac_f64_e32 v[12:13], v[66:67], v[34:35]
	v_fmac_f64_e32 v[16:17], v[58:59], v[34:35]
	;; [unrolled: 1-line block ×4, first 2 shown]
	s_delay_alu instid0(VALU_DEP_4)
	v_fmac_f64_e32 v[12:13], v[68:69], v[36:37]
	global_load_b128 v[66:69], v[18:19], off offset:1648
	v_fmac_f64_e32 v[16:17], v[60:61], v[36:37]
	global_load_b128 v[58:61], v[18:19], off offset:1616
	global_load_b128 v[130:133], v[134:135], off offset:16
	v_fmac_f64_e32 v[14:15], v[84:85], v[36:37]
	v_fmac_f64_e32 v[0:1], v[76:77], v[36:37]
	s_wait_xcnt 0x1
	v_add_nc_u64_e32 v[18:19], 0x800, v[18:19]
	s_wait_loadcnt 0xb
	v_fmac_f64_e32 v[12:13], v[62:63], v[50:51]
	v_fmac_f64_e32 v[16:17], v[54:55], v[50:51]
	;; [unrolled: 1-line block ×4, first 2 shown]
	s_delay_alu instid0(VALU_DEP_4) | instskip(NEXT) | instid1(VALU_DEP_4)
	v_fmac_f64_e32 v[12:13], v[64:65], v[52:53]
	v_fmac_f64_e32 v[16:17], v[56:57], v[52:53]
	s_delay_alu instid0(VALU_DEP_4) | instskip(NEXT) | instid1(VALU_DEP_4)
	v_fmac_f64_e32 v[14:15], v[80:81], v[52:53]
	v_fmac_f64_e32 v[0:1], v[72:73], v[52:53]
	s_wait_loadcnt 0x7
	s_delay_alu instid0(VALU_DEP_4) | instskip(NEXT) | instid1(VALU_DEP_4)
	v_fmac_f64_e32 v[12:13], v[98:99], v[30:31]
	v_fmac_f64_e32 v[16:17], v[90:91], v[30:31]
	s_delay_alu instid0(VALU_DEP_4) | instskip(NEXT) | instid1(VALU_DEP_4)
	v_fmac_f64_e32 v[14:15], v[114:115], v[30:31]
	v_fmac_f64_e32 v[0:1], v[106:107], v[30:31]
	s_delay_alu instid0(VALU_DEP_4) | instskip(NEXT) | instid1(VALU_DEP_4)
	v_fmac_f64_e32 v[12:13], v[100:101], v[32:33]
	v_fmac_f64_e32 v[16:17], v[92:93], v[32:33]
	s_delay_alu instid0(VALU_DEP_4) | instskip(NEXT) | instid1(VALU_DEP_4)
	v_fmac_f64_e32 v[14:15], v[116:117], v[32:33]
	v_fmac_f64_e32 v[0:1], v[108:109], v[32:33]
	s_wait_loadcnt 0x5
	s_delay_alu instid0(VALU_DEP_4) | instskip(NEXT) | instid1(VALU_DEP_4)
	v_fmac_f64_e32 v[12:13], v[94:95], v[22:23]
	v_fmac_f64_e32 v[16:17], v[86:87], v[22:23]
	s_delay_alu instid0(VALU_DEP_4) | instskip(NEXT) | instid1(VALU_DEP_4)
	v_fmac_f64_e32 v[14:15], v[110:111], v[22:23]
	v_fmac_f64_e32 v[0:1], v[102:103], v[22:23]
	;; [unrolled: 13-line block ×4, first 2 shown]
	s_delay_alu instid0(VALU_DEP_4) | instskip(NEXT) | instid1(VALU_DEP_4)
	v_fmac_f64_e32 v[12:13], v[44:45], v[132:133]
	v_fmac_f64_e32 v[16:17], v[120:121], v[132:133]
	s_delay_alu instid0(VALU_DEP_4) | instskip(NEXT) | instid1(VALU_DEP_4)
	v_fmac_f64_e32 v[14:15], v[60:61], v[132:133]
	v_fmac_f64_e32 v[0:1], v[68:69], v[132:133]
	s_and_not1_b32 exec_lo, exec_lo, s7
	s_cbranch_execnz .LBB5_21
; %bb.22:
	s_or_b32 exec_lo, exec_lo, s7
.LBB5_23:
	s_delay_alu instid0(SALU_CYCLE_1)
	s_or_b32 exec_lo, exec_lo, s6
.LBB5_24:
	s_delay_alu instid0(SALU_CYCLE_1)
	s_or_b32 exec_lo, exec_lo, s3
	s_cbranch_execz .LBB5_26
	s_branch .LBB5_37
.LBB5_25:
                                        ; implicit-def: $vgpr0_vgpr1
                                        ; implicit-def: $vgpr14_vgpr15
                                        ; implicit-def: $vgpr16_vgpr17
                                        ; implicit-def: $vgpr12_vgpr13
.LBB5_26:
	v_mov_b64_e32 v[0:1], 0
	v_mov_b64_e32 v[14:15], 0
	;; [unrolled: 1-line block ×4, first 2 shown]
	s_and_saveexec_b32 s3, s2
	s_cbranch_execz .LBB5_36
; %bb.27:
	v_add_nc_u32_e32 v0, v20, v11
	v_not_b32_e32 v1, v20
	v_mov_b64_e32 v[12:13], 0
	v_mov_b64_e32 v[16:17], 0
	;; [unrolled: 1-line block ×3, first 2 shown]
	v_subrev_nc_u32_e32 v0, s12, v0
	s_mov_b32 s2, exec_lo
	s_delay_alu instid0(VALU_DEP_1) | instskip(NEXT) | instid1(VALU_DEP_1)
	v_add_max_i32_e64 v0, v0, 4, v5
	v_add3_u32 v0, s12, v0, v1
	s_delay_alu instid0(VALU_DEP_1) | instskip(SKIP_1) | instid1(VALU_DEP_2)
	v_sub_nc_u32_e32 v18, v0, v11
	v_mov_b64_e32 v[0:1], 0
	v_and_b32_e32 v19, 12, v18
	s_delay_alu instid0(VALU_DEP_1)
	v_cmpx_ne_u32_e32 12, v19
	s_cbranch_execz .LBB5_31
; %bb.28:
	v_lshrrev_b32_e32 v0, 2, v18
	v_mov_b64_e32 v[14:15], 0
	v_mov_b64_e32 v[16:17], 0
	;; [unrolled: 1-line block ×3, first 2 shown]
	s_mov_b32 s6, 0
	v_add_nc_u32_e32 v0, 1, v0
	s_delay_alu instid0(VALU_DEP_1) | instskip(SKIP_1) | instid1(VALU_DEP_2)
	v_and_b32_e32 v19, 3, v0
	v_mov_b64_e32 v[0:1], 0
	v_sub_nc_u32_e32 v19, 0, v19
.LBB5_29:                               ; =>This Inner Loop Header: Depth=1
	global_load_b32 v20, v4, s[8:9] scale_offset
	s_wait_xcnt 0x0
	v_add_nc_u32_e32 v4, 4, v4
	v_add_co_u32 v19, s7, v19, 1
	s_or_b32 s6, s7, s6
	s_wait_loadcnt 0x0
	v_subrev_nc_u32_e32 v20, s12, v20
	s_delay_alu instid0(VALU_DEP_1) | instskip(SKIP_3) | instid1(VALU_DEP_1)
	v_lshlrev_b32_e32 v24, 2, v20
	global_load_b128 v[20:23], v[6:7], off offset:16
	v_ashrrev_i32_e32 v25, 31, v24
	s_wait_kmcnt 0x0
	v_lshl_add_u64 v[60:61], v[24:25], 3, s[4:5]
	global_load_b128 v[24:27], v[6:7], off
	s_clause 0x1
	global_load_b128 v[28:31], v[60:61], off
	global_load_b128 v[32:35], v[60:61], off offset:16
	s_clause 0x5
	global_load_b128 v[36:39], v[6:7], off offset:32
	global_load_b128 v[40:43], v[6:7], off offset:48
	;; [unrolled: 1-line block ×6, first 2 shown]
	s_wait_xcnt 0x0
	v_add_nc_u64_e32 v[6:7], 0x200, v[6:7]
	s_wait_loadcnt 0x7
	v_fmac_f64_e32 v[12:13], v[24:25], v[28:29]
	v_fmac_f64_e32 v[16:17], v[26:27], v[28:29]
	;; [unrolled: 1-line block ×4, first 2 shown]
	s_wait_loadcnt 0x5
	s_delay_alu instid0(VALU_DEP_4) | instskip(NEXT) | instid1(VALU_DEP_4)
	v_fmac_f64_e32 v[12:13], v[36:37], v[30:31]
	v_fmac_f64_e32 v[16:17], v[38:39], v[30:31]
	s_wait_loadcnt 0x4
	s_delay_alu instid0(VALU_DEP_4) | instskip(NEXT) | instid1(VALU_DEP_4)
	v_fmac_f64_e32 v[14:15], v[40:41], v[30:31]
	v_fmac_f64_e32 v[0:1], v[42:43], v[30:31]
	;; [unrolled: 4-line block ×6, first 2 shown]
	s_and_not1_b32 exec_lo, exec_lo, s6
	s_cbranch_execnz .LBB5_29
; %bb.30:
	s_or_b32 exec_lo, exec_lo, s6
.LBB5_31:
	s_delay_alu instid0(SALU_CYCLE_1) | instskip(NEXT) | instid1(SALU_CYCLE_1)
	s_or_b32 exec_lo, exec_lo, s2
	s_mov_b32 s2, exec_lo
	v_cmpx_lt_u32_e32 11, v18
	s_cbranch_execz .LBB5_35
; %bb.32:
	s_mov_b32 s6, 0
.LBB5_33:                               ; =>This Inner Loop Header: Depth=1
	s_clause 0x2
	global_load_b32 v30, v4, s[8:9] scale_offset
	global_load_b32 v72, v4, s[8:9] offset:16 scale_offset
	global_load_b32 v100, v4, s[8:9] offset:32 scale_offset
	s_clause 0x2
	global_load_b128 v[18:21], v[6:7], off offset:32
	global_load_b128 v[22:25], v[6:7], off offset:16
	global_load_b128 v[26:29], v[6:7], off
	global_load_b32 v112, v4, s[8:9] offset:48 scale_offset
	s_wait_xcnt 0x0
	v_add_nc_u32_e32 v4, 16, v4
	s_delay_alu instid0(VALU_DEP_1) | instskip(SKIP_3) | instid1(VALU_DEP_1)
	v_cmp_ge_i32_e32 vcc_lo, v4, v5
	s_or_b32 s6, vcc_lo, s6
	s_wait_loadcnt 0x6
	v_subrev_nc_u32_e32 v30, s12, v30
	v_lshlrev_b32_e32 v30, 2, v30
	s_delay_alu instid0(VALU_DEP_1) | instskip(SKIP_1) | instid1(VALU_DEP_1)
	v_ashrrev_i32_e32 v31, 31, v30
	s_wait_kmcnt 0x0
	v_lshl_add_u64 v[70:71], v[30:31], 3, s[4:5]
	global_load_b128 v[30:33], v[70:71], off
	s_clause 0x5
	global_load_b128 v[34:37], v[6:7], off offset:48
	global_load_b128 v[38:41], v[6:7], off offset:112
	;; [unrolled: 1-line block ×7, first 2 shown]
	s_clause 0x1
	global_load_b128 v[62:65], v[6:7], off offset:528
	global_load_b128 v[66:69], v[6:7], off offset:512
	s_wait_loadcnt 0xf
	s_wait_xcnt 0x2
	v_subrev_nc_u32_e32 v70, s12, v72
	s_delay_alu instid0(VALU_DEP_1) | instskip(NEXT) | instid1(VALU_DEP_1)
	v_lshlrev_b32_e32 v70, 2, v70
	v_ashrrev_i32_e32 v71, 31, v70
	s_delay_alu instid0(VALU_DEP_1)
	v_lshl_add_u64 v[98:99], v[70:71], 3, s[4:5]
	global_load_b128 v[70:73], v[98:99], off
	s_clause 0x2
	global_load_b128 v[74:77], v[6:7], off offset:560
	global_load_b128 v[78:81], v[6:7], off offset:592
	;; [unrolled: 1-line block ×4, first 2 shown]
	s_clause 0x1
	global_load_b128 v[90:93], v[6:7], off offset:608
	global_load_b128 v[94:97], v[6:7], off offset:624
	s_wait_loadcnt 0x15
	s_wait_xcnt 0x2
	v_subrev_nc_u32_e32 v98, s12, v100
	s_delay_alu instid0(VALU_DEP_1) | instskip(SKIP_2) | instid1(VALU_DEP_1)
	v_lshlrev_b32_e32 v102, 2, v98
	global_load_b128 v[98:101], v[6:7], off offset:1040
	v_ashrrev_i32_e32 v103, 31, v102
	v_lshl_add_u64 v[110:111], v[102:103], 3, s[4:5]
	global_load_b128 v[102:105], v[6:7], off offset:1024
	global_load_b128 v[106:109], v[110:111], off
	s_wait_loadcnt 0x13
	v_fmac_f64_e32 v[12:13], v[26:27], v[30:31]
	v_fmac_f64_e32 v[16:17], v[28:29], v[30:31]
	global_load_b128 v[26:29], v[6:7], off offset:1056
	v_fmac_f64_e32 v[14:15], v[22:23], v[30:31]
	v_fmac_f64_e32 v[0:1], v[24:25], v[30:31]
	global_load_b128 v[22:25], v[6:7], off offset:1072
	;; [unrolled: 3-line block ×3, first 2 shown]
	s_wait_loadcnt 0x15
	v_fmac_f64_e32 v[14:15], v[34:35], v[32:33]
	v_fmac_f64_e32 v[0:1], v[36:37], v[32:33]
	global_load_b128 v[30:33], v[6:7], off offset:1104
	global_load_b128 v[34:37], v[110:111], off offset:16
	s_wait_loadcnt 0x11
	v_fmac_f64_e32 v[12:13], v[50:51], v[58:59]
	v_fmac_f64_e32 v[16:17], v[52:53], v[58:59]
	global_load_b128 v[50:53], v[6:7], off offset:1120
	v_fmac_f64_e32 v[14:15], v[46:47], v[58:59]
	v_fmac_f64_e32 v[0:1], v[48:49], v[58:59]
	global_load_b128 v[46:49], v[6:7], off offset:1136
	v_subrev_nc_u32_e32 v58, s12, v112
	s_delay_alu instid0(VALU_DEP_1) | instskip(NEXT) | instid1(VALU_DEP_1)
	v_lshlrev_b32_e32 v58, 2, v58
	v_ashrrev_i32_e32 v59, 31, v58
	s_wait_xcnt 0x2
	s_delay_alu instid0(VALU_DEP_1)
	v_lshl_add_u64 v[110:111], v[58:59], 3, s[4:5]
	v_fmac_f64_e32 v[12:13], v[42:43], v[60:61]
	v_fmac_f64_e32 v[16:17], v[44:45], v[60:61]
	global_load_b128 v[42:45], v[6:7], off offset:1552
	v_fmac_f64_e32 v[14:15], v[38:39], v[60:61]
	v_fmac_f64_e32 v[0:1], v[40:41], v[60:61]
	global_load_b128 v[38:41], v[6:7], off offset:1536
	global_load_b128 v[58:61], v[110:111], off
	s_wait_loadcnt 0x13
	v_fmac_f64_e32 v[12:13], v[66:67], v[70:71]
	v_fmac_f64_e32 v[16:17], v[68:69], v[70:71]
	global_load_b128 v[66:69], v[6:7], off offset:1568
	v_fmac_f64_e32 v[14:15], v[62:63], v[70:71]
	v_fmac_f64_e32 v[0:1], v[64:65], v[70:71]
	global_load_b128 v[62:65], v[6:7], off offset:1584
	;; [unrolled: 3-line block ×3, first 2 shown]
	s_wait_loadcnt 0x15
	v_fmac_f64_e32 v[14:15], v[74:75], v[72:73]
	v_fmac_f64_e32 v[0:1], v[76:77], v[72:73]
	global_load_b128 v[70:73], v[6:7], off offset:1616
	global_load_b128 v[74:77], v[110:111], off offset:16
	s_wait_loadcnt 0x14
	v_fmac_f64_e32 v[12:13], v[82:83], v[86:87]
	v_fmac_f64_e32 v[16:17], v[84:85], v[86:87]
	global_load_b128 v[82:85], v[6:7], off offset:1632
	v_fmac_f64_e32 v[14:15], v[78:79], v[86:87]
	v_fmac_f64_e32 v[0:1], v[80:81], v[86:87]
	global_load_b128 v[78:81], v[6:7], off offset:1648
	s_wait_xcnt 0x0
	v_add_nc_u64_e32 v[6:7], 0x800, v[6:7]
	s_wait_loadcnt 0x15
	v_fmac_f64_e32 v[12:13], v[90:91], v[88:89]
	v_fmac_f64_e32 v[16:17], v[92:93], v[88:89]
	s_wait_loadcnt 0x14
	v_fmac_f64_e32 v[14:15], v[94:95], v[88:89]
	v_fmac_f64_e32 v[0:1], v[96:97], v[88:89]
	s_wait_loadcnt 0x11
	s_delay_alu instid0(VALU_DEP_4) | instskip(NEXT) | instid1(VALU_DEP_4)
	v_fmac_f64_e32 v[12:13], v[102:103], v[106:107]
	v_fmac_f64_e32 v[16:17], v[104:105], v[106:107]
	s_delay_alu instid0(VALU_DEP_4) | instskip(NEXT) | instid1(VALU_DEP_4)
	v_fmac_f64_e32 v[14:15], v[98:99], v[106:107]
	v_fmac_f64_e32 v[0:1], v[100:101], v[106:107]
	s_wait_loadcnt 0x10
	s_delay_alu instid0(VALU_DEP_4) | instskip(NEXT) | instid1(VALU_DEP_4)
	v_fmac_f64_e32 v[12:13], v[26:27], v[108:109]
	v_fmac_f64_e32 v[16:17], v[28:29], v[108:109]
	s_wait_loadcnt 0xf
	s_delay_alu instid0(VALU_DEP_4) | instskip(NEXT) | instid1(VALU_DEP_4)
	v_fmac_f64_e32 v[14:15], v[22:23], v[108:109]
	v_fmac_f64_e32 v[0:1], v[24:25], v[108:109]
	s_wait_loadcnt 0xc
	s_delay_alu instid0(VALU_DEP_4) | instskip(NEXT) | instid1(VALU_DEP_4)
	v_fmac_f64_e32 v[12:13], v[18:19], v[34:35]
	v_fmac_f64_e32 v[16:17], v[20:21], v[34:35]
	s_delay_alu instid0(VALU_DEP_4) | instskip(NEXT) | instid1(VALU_DEP_4)
	v_fmac_f64_e32 v[14:15], v[30:31], v[34:35]
	v_fmac_f64_e32 v[0:1], v[32:33], v[34:35]
	s_wait_loadcnt 0xb
	s_delay_alu instid0(VALU_DEP_4) | instskip(NEXT) | instid1(VALU_DEP_4)
	v_fmac_f64_e32 v[12:13], v[50:51], v[36:37]
	v_fmac_f64_e32 v[16:17], v[52:53], v[36:37]
	s_wait_loadcnt 0xa
	s_delay_alu instid0(VALU_DEP_4) | instskip(NEXT) | instid1(VALU_DEP_4)
	;; [unrolled: 15-line block ×4, first 2 shown]
	v_fmac_f64_e32 v[14:15], v[78:79], v[76:77]
	v_fmac_f64_e32 v[0:1], v[80:81], v[76:77]
	s_and_not1_b32 exec_lo, exec_lo, s6
	s_cbranch_execnz .LBB5_33
; %bb.34:
	s_or_b32 exec_lo, exec_lo, s6
.LBB5_35:
	s_delay_alu instid0(SALU_CYCLE_1)
	s_or_b32 exec_lo, exec_lo, s2
.LBB5_36:
	s_delay_alu instid0(SALU_CYCLE_1)
	s_or_b32 exec_lo, exec_lo, s3
.LBB5_37:
	v_mbcnt_lo_u32_b32 v22, -1, 0
	s_delay_alu instid0(VALU_DEP_1) | instskip(NEXT) | instid1(VALU_DEP_1)
	v_xor_b32_e32 v4, 2, v22
	v_cmp_gt_i32_e32 vcc_lo, 32, v4
	v_cndmask_b32_e32 v4, v22, v4, vcc_lo
	s_delay_alu instid0(VALU_DEP_1)
	v_lshlrev_b32_e32 v21, 2, v4
	ds_bpermute_b32 v4, v21, v12
	ds_bpermute_b32 v5, v21, v13
	;; [unrolled: 1-line block ×4, first 2 shown]
	s_wait_dscnt 0x2
	v_add_f64_e32 v[12:13], v[12:13], v[4:5]
	s_wait_dscnt 0x0
	v_add_f64_e32 v[4:5], v[14:15], v[18:19]
	ds_bpermute_b32 v6, v21, v16
	ds_bpermute_b32 v7, v21, v17
	;; [unrolled: 1-line block ×4, first 2 shown]
	v_xor_b32_e32 v14, 1, v22
	s_delay_alu instid0(VALU_DEP_1) | instskip(SKIP_2) | instid1(VALU_DEP_2)
	v_cmp_gt_i32_e32 vcc_lo, 32, v14
	v_cndmask_b32_e32 v14, v22, v14, vcc_lo
	v_cmp_eq_u32_e32 vcc_lo, 3, v11
	v_lshlrev_b32_e32 v15, 2, v14
	s_wait_dscnt 0x2
	v_add_f64_e32 v[6:7], v[16:17], v[6:7]
	s_wait_dscnt 0x0
	v_add_f64_e32 v[0:1], v[0:1], v[20:21]
	ds_bpermute_b32 v20, v15, v12
	ds_bpermute_b32 v21, v15, v13
	;; [unrolled: 1-line block ×8, first 2 shown]
	s_and_b32 exec_lo, exec_lo, vcc_lo
	s_cbranch_execz .LBB5_10
; %bb.38:
	s_wait_dscnt 0x6
	v_dual_add_f64 v[12:13], v[12:13], v[20:21] :: v_dual_lshlrev_b32 v10, 2, v10
	s_wait_dscnt 0x2
	v_add_f64_e32 v[6:7], v[6:7], v[18:19]
	v_add_f64_e32 v[16:17], v[4:5], v[16:17]
	s_wait_dscnt 0x0
	v_add_f64_e32 v[14:15], v[0:1], v[14:15]
	s_load_b64 s[0:1], s[0:1], 0x50
	s_mov_b32 s2, exec_lo
	s_delay_alu instid0(VALU_DEP_4) | instskip(NEXT) | instid1(VALU_DEP_4)
	v_mul_f64_e32 v[4:5], v[2:3], v[12:13]
	v_mul_f64_e32 v[6:7], v[2:3], v[6:7]
	s_delay_alu instid0(VALU_DEP_4) | instskip(NEXT) | instid1(VALU_DEP_4)
	v_mul_f64_e32 v[0:1], v[2:3], v[16:17]
	v_mul_f64_e32 v[2:3], v[2:3], v[14:15]
	v_cmpx_eq_f64_e32 0, v[8:9]
	s_xor_b32 s2, exec_lo, s2
	s_cbranch_execz .LBB5_40
; %bb.39:
	v_ashrrev_i32_e32 v11, 31, v10
	s_wait_kmcnt 0x0
	s_delay_alu instid0(VALU_DEP_1)
	v_lshl_add_u64 v[8:9], v[10:11], 3, s[0:1]
                                        ; implicit-def: $vgpr10
	s_clause 0x1
	global_store_b128 v[8:9], v[4:7], off
	global_store_b128 v[8:9], v[0:3], off offset:16
                                        ; implicit-def: $vgpr8_vgpr9
                                        ; implicit-def: $vgpr4_vgpr5
                                        ; implicit-def: $vgpr0_vgpr1
.LBB5_40:
	s_wait_xcnt 0x0
	s_and_not1_saveexec_b32 s2, s2
	s_cbranch_execz .LBB5_10
; %bb.41:
	v_ashrrev_i32_e32 v11, 31, v10
	s_wait_kmcnt 0x0
	s_delay_alu instid0(VALU_DEP_1)
	v_lshl_add_u64 v[18:19], v[10:11], 3, s[0:1]
	s_clause 0x1
	global_load_b128 v[10:13], v[18:19], off
	global_load_b128 v[14:17], v[18:19], off offset:16
	s_wait_loadcnt 0x1
	v_fmac_f64_e32 v[4:5], v[8:9], v[10:11]
	v_fmac_f64_e32 v[6:7], v[8:9], v[12:13]
	s_wait_loadcnt 0x0
	v_fmac_f64_e32 v[0:1], v[8:9], v[14:15]
	v_fmac_f64_e32 v[2:3], v[8:9], v[16:17]
	s_clause 0x1
	global_store_b128 v[18:19], v[4:7], off
	global_store_b128 v[18:19], v[0:3], off offset:16
	s_sendmsg sendmsg(MSG_DEALLOC_VGPRS)
	s_endpgm
	.section	.rodata,"a",@progbits
	.p2align	6, 0x0
	.amdhsa_kernel _ZN9rocsparseL18bsrxmvn_4x4_kernelILj128ELj4EdiidddEEvT3_20rocsparse_direction_NS_24const_host_device_scalarIT1_EES1_PKS1_PKT2_SA_S7_PKT4_PKT5_S5_PT6_21rocsparse_index_base_b
		.amdhsa_group_segment_fixed_size 0
		.amdhsa_private_segment_fixed_size 0
		.amdhsa_kernarg_size 96
		.amdhsa_user_sgpr_count 2
		.amdhsa_user_sgpr_dispatch_ptr 0
		.amdhsa_user_sgpr_queue_ptr 0
		.amdhsa_user_sgpr_kernarg_segment_ptr 1
		.amdhsa_user_sgpr_dispatch_id 0
		.amdhsa_user_sgpr_kernarg_preload_length 0
		.amdhsa_user_sgpr_kernarg_preload_offset 0
		.amdhsa_user_sgpr_private_segment_size 0
		.amdhsa_wavefront_size32 1
		.amdhsa_uses_dynamic_stack 0
		.amdhsa_enable_private_segment 0
		.amdhsa_system_sgpr_workgroup_id_x 1
		.amdhsa_system_sgpr_workgroup_id_y 0
		.amdhsa_system_sgpr_workgroup_id_z 0
		.amdhsa_system_sgpr_workgroup_info 0
		.amdhsa_system_vgpr_workitem_id 0
		.amdhsa_next_free_vgpr 136
		.amdhsa_next_free_sgpr 14
		.amdhsa_named_barrier_count 0
		.amdhsa_reserve_vcc 1
		.amdhsa_float_round_mode_32 0
		.amdhsa_float_round_mode_16_64 0
		.amdhsa_float_denorm_mode_32 3
		.amdhsa_float_denorm_mode_16_64 3
		.amdhsa_fp16_overflow 0
		.amdhsa_memory_ordered 1
		.amdhsa_forward_progress 1
		.amdhsa_inst_pref_size 34
		.amdhsa_round_robin_scheduling 0
		.amdhsa_exception_fp_ieee_invalid_op 0
		.amdhsa_exception_fp_denorm_src 0
		.amdhsa_exception_fp_ieee_div_zero 0
		.amdhsa_exception_fp_ieee_overflow 0
		.amdhsa_exception_fp_ieee_underflow 0
		.amdhsa_exception_fp_ieee_inexact 0
		.amdhsa_exception_int_div_zero 0
	.end_amdhsa_kernel
	.section	.text._ZN9rocsparseL18bsrxmvn_4x4_kernelILj128ELj4EdiidddEEvT3_20rocsparse_direction_NS_24const_host_device_scalarIT1_EES1_PKS1_PKT2_SA_S7_PKT4_PKT5_S5_PT6_21rocsparse_index_base_b,"axG",@progbits,_ZN9rocsparseL18bsrxmvn_4x4_kernelILj128ELj4EdiidddEEvT3_20rocsparse_direction_NS_24const_host_device_scalarIT1_EES1_PKS1_PKT2_SA_S7_PKT4_PKT5_S5_PT6_21rocsparse_index_base_b,comdat
.Lfunc_end5:
	.size	_ZN9rocsparseL18bsrxmvn_4x4_kernelILj128ELj4EdiidddEEvT3_20rocsparse_direction_NS_24const_host_device_scalarIT1_EES1_PKS1_PKT2_SA_S7_PKT4_PKT5_S5_PT6_21rocsparse_index_base_b, .Lfunc_end5-_ZN9rocsparseL18bsrxmvn_4x4_kernelILj128ELj4EdiidddEEvT3_20rocsparse_direction_NS_24const_host_device_scalarIT1_EES1_PKS1_PKT2_SA_S7_PKT4_PKT5_S5_PT6_21rocsparse_index_base_b
                                        ; -- End function
	.set _ZN9rocsparseL18bsrxmvn_4x4_kernelILj128ELj4EdiidddEEvT3_20rocsparse_direction_NS_24const_host_device_scalarIT1_EES1_PKS1_PKT2_SA_S7_PKT4_PKT5_S5_PT6_21rocsparse_index_base_b.num_vgpr, 136
	.set _ZN9rocsparseL18bsrxmvn_4x4_kernelILj128ELj4EdiidddEEvT3_20rocsparse_direction_NS_24const_host_device_scalarIT1_EES1_PKS1_PKT2_SA_S7_PKT4_PKT5_S5_PT6_21rocsparse_index_base_b.num_agpr, 0
	.set _ZN9rocsparseL18bsrxmvn_4x4_kernelILj128ELj4EdiidddEEvT3_20rocsparse_direction_NS_24const_host_device_scalarIT1_EES1_PKS1_PKT2_SA_S7_PKT4_PKT5_S5_PT6_21rocsparse_index_base_b.numbered_sgpr, 14
	.set _ZN9rocsparseL18bsrxmvn_4x4_kernelILj128ELj4EdiidddEEvT3_20rocsparse_direction_NS_24const_host_device_scalarIT1_EES1_PKS1_PKT2_SA_S7_PKT4_PKT5_S5_PT6_21rocsparse_index_base_b.num_named_barrier, 0
	.set _ZN9rocsparseL18bsrxmvn_4x4_kernelILj128ELj4EdiidddEEvT3_20rocsparse_direction_NS_24const_host_device_scalarIT1_EES1_PKS1_PKT2_SA_S7_PKT4_PKT5_S5_PT6_21rocsparse_index_base_b.private_seg_size, 0
	.set _ZN9rocsparseL18bsrxmvn_4x4_kernelILj128ELj4EdiidddEEvT3_20rocsparse_direction_NS_24const_host_device_scalarIT1_EES1_PKS1_PKT2_SA_S7_PKT4_PKT5_S5_PT6_21rocsparse_index_base_b.uses_vcc, 1
	.set _ZN9rocsparseL18bsrxmvn_4x4_kernelILj128ELj4EdiidddEEvT3_20rocsparse_direction_NS_24const_host_device_scalarIT1_EES1_PKS1_PKT2_SA_S7_PKT4_PKT5_S5_PT6_21rocsparse_index_base_b.uses_flat_scratch, 0
	.set _ZN9rocsparseL18bsrxmvn_4x4_kernelILj128ELj4EdiidddEEvT3_20rocsparse_direction_NS_24const_host_device_scalarIT1_EES1_PKS1_PKT2_SA_S7_PKT4_PKT5_S5_PT6_21rocsparse_index_base_b.has_dyn_sized_stack, 0
	.set _ZN9rocsparseL18bsrxmvn_4x4_kernelILj128ELj4EdiidddEEvT3_20rocsparse_direction_NS_24const_host_device_scalarIT1_EES1_PKS1_PKT2_SA_S7_PKT4_PKT5_S5_PT6_21rocsparse_index_base_b.has_recursion, 0
	.set _ZN9rocsparseL18bsrxmvn_4x4_kernelILj128ELj4EdiidddEEvT3_20rocsparse_direction_NS_24const_host_device_scalarIT1_EES1_PKS1_PKT2_SA_S7_PKT4_PKT5_S5_PT6_21rocsparse_index_base_b.has_indirect_call, 0
	.section	.AMDGPU.csdata,"",@progbits
; Kernel info:
; codeLenInByte = 4256
; TotalNumSgprs: 16
; NumVgprs: 136
; ScratchSize: 0
; MemoryBound: 1
; FloatMode: 240
; IeeeMode: 1
; LDSByteSize: 0 bytes/workgroup (compile time only)
; SGPRBlocks: 0
; VGPRBlocks: 8
; NumSGPRsForWavesPerEU: 16
; NumVGPRsForWavesPerEU: 136
; NamedBarCnt: 0
; Occupancy: 7
; WaveLimiterHint : 1
; COMPUTE_PGM_RSRC2:SCRATCH_EN: 0
; COMPUTE_PGM_RSRC2:USER_SGPR: 2
; COMPUTE_PGM_RSRC2:TRAP_HANDLER: 0
; COMPUTE_PGM_RSRC2:TGID_X_EN: 1
; COMPUTE_PGM_RSRC2:TGID_Y_EN: 0
; COMPUTE_PGM_RSRC2:TGID_Z_EN: 0
; COMPUTE_PGM_RSRC2:TIDIG_COMP_CNT: 0
	.section	.text._ZN9rocsparseL18bsrxmvn_4x4_kernelILj128ELj8EdiidddEEvT3_20rocsparse_direction_NS_24const_host_device_scalarIT1_EES1_PKS1_PKT2_SA_S7_PKT4_PKT5_S5_PT6_21rocsparse_index_base_b,"axG",@progbits,_ZN9rocsparseL18bsrxmvn_4x4_kernelILj128ELj8EdiidddEEvT3_20rocsparse_direction_NS_24const_host_device_scalarIT1_EES1_PKS1_PKT2_SA_S7_PKT4_PKT5_S5_PT6_21rocsparse_index_base_b,comdat
	.globl	_ZN9rocsparseL18bsrxmvn_4x4_kernelILj128ELj8EdiidddEEvT3_20rocsparse_direction_NS_24const_host_device_scalarIT1_EES1_PKS1_PKT2_SA_S7_PKT4_PKT5_S5_PT6_21rocsparse_index_base_b ; -- Begin function _ZN9rocsparseL18bsrxmvn_4x4_kernelILj128ELj8EdiidddEEvT3_20rocsparse_direction_NS_24const_host_device_scalarIT1_EES1_PKS1_PKT2_SA_S7_PKT4_PKT5_S5_PT6_21rocsparse_index_base_b
	.p2align	8
	.type	_ZN9rocsparseL18bsrxmvn_4x4_kernelILj128ELj8EdiidddEEvT3_20rocsparse_direction_NS_24const_host_device_scalarIT1_EES1_PKS1_PKT2_SA_S7_PKT4_PKT5_S5_PT6_21rocsparse_index_base_b,@function
_ZN9rocsparseL18bsrxmvn_4x4_kernelILj128ELj8EdiidddEEvT3_20rocsparse_direction_NS_24const_host_device_scalarIT1_EES1_PKS1_PKT2_SA_S7_PKT4_PKT5_S5_PT6_21rocsparse_index_base_b: ; @_ZN9rocsparseL18bsrxmvn_4x4_kernelILj128ELj8EdiidddEEvT3_20rocsparse_direction_NS_24const_host_device_scalarIT1_EES1_PKS1_PKT2_SA_S7_PKT4_PKT5_S5_PT6_21rocsparse_index_base_b
; %bb.0:
	s_clause 0x2
	s_load_b64 s[12:13], s[0:1], 0x58
	s_load_b64 s[4:5], s[0:1], 0x8
	s_load_b64 s[2:3], s[0:1], 0x48
	s_wait_kmcnt 0x0
	s_bitcmp1_b32 s13, 0
	v_mov_b64_e32 v[2:3], s[4:5]
	s_cselect_b32 s6, -1, 0
	s_delay_alu instid0(SALU_CYCLE_1)
	s_and_b32 vcc_lo, exec_lo, s6
	s_xor_b32 s6, s6, -1
	s_cbranch_vccnz .LBB6_2
; %bb.1:
	v_mov_b32_e32 v1, 0
	flat_load_b64 v[2:3], v1, s[4:5]
.LBB6_2:
	v_mov_b64_e32 v[8:9], s[2:3]
	s_and_not1_b32 vcc_lo, exec_lo, s6
	s_cbranch_vccnz .LBB6_4
; %bb.3:
	s_wait_xcnt 0x0
	v_mov_b32_e32 v1, 0
	flat_load_b64 v[8:9], v1, s[2:3]
.LBB6_4:
	s_wait_loadcnt_dscnt 0x0
	v_cmp_neq_f64_e32 vcc_lo, 0, v[2:3]
	s_delay_alu instid0(VALU_DEP_2) | instskip(SKIP_1) | instid1(SALU_CYCLE_1)
	v_cmp_neq_f64_e64 s2, 1.0, v[8:9]
	s_or_b32 s2, vcc_lo, s2
	s_and_saveexec_b32 s3, s2
	s_cbranch_execz .LBB6_10
; %bb.5:
	s_clause 0x1
	s_load_b64 s[4:5], s[0:1], 0x18
	s_load_b64 s[2:3], s[0:1], 0x0
	s_bfe_u32 s6, ttmp6, 0x4000c
	s_and_b32 s7, ttmp6, 15
	s_add_co_i32 s6, s6, 1
	s_getreg_b32 s8, hwreg(HW_REG_IB_STS2, 6, 4)
	s_mul_i32 s6, ttmp9, s6
	v_lshrrev_b32_e32 v1, 3, v0
	s_add_co_i32 s7, s7, s6
	s_cmp_eq_u32 s8, 0
	s_cselect_b32 s6, ttmp9, s7
	s_delay_alu instid0(VALU_DEP_1) | instid1(SALU_CYCLE_1)
	v_lshl_or_b32 v10, s6, 4, v1
	s_mov_b32 s6, 0
	s_wait_kmcnt 0x0
	s_cmp_lg_u64 s[4:5], 0
	s_cbranch_scc0 .LBB6_11
; %bb.6:
	s_load_b32 s6, s[0:1], 0x10
	s_mov_b32 s7, 0
                                        ; implicit-def: $vgpr1
	s_wait_kmcnt 0x0
	v_cmp_gt_i32_e32 vcc_lo, s6, v10
	s_mov_b32 s6, 0
	s_and_saveexec_b32 s8, vcc_lo
	s_delay_alu instid0(SALU_CYCLE_1)
	s_xor_b32 s8, exec_lo, s8
	s_cbranch_execz .LBB6_8
; %bb.7:
	global_load_b32 v1, v10, s[4:5] scale_offset
	s_mov_b32 s6, exec_lo
	s_wait_loadcnt 0x0
	v_subrev_nc_u32_e32 v1, s12, v1
.LBB6_8:
	s_or_b32 exec_lo, exec_lo, s8
	s_delay_alu instid0(SALU_CYCLE_1)
	s_and_b32 vcc_lo, exec_lo, s7
	s_cbranch_vccz .LBB6_12
.LBB6_9:
	v_cmp_gt_i32_e32 vcc_lo, s2, v10
	s_and_not1_b32 s2, s6, exec_lo
	s_and_b32 s4, vcc_lo, exec_lo
	s_delay_alu instid0(SALU_CYCLE_1) | instskip(NEXT) | instid1(SALU_CYCLE_1)
	s_or_b32 s6, s2, s4
	s_and_b32 exec_lo, exec_lo, s6
	s_cbranch_execnz .LBB6_13
.LBB6_10:
	s_sendmsg sendmsg(MSG_DEALLOC_VGPRS)
	s_endpgm
.LBB6_11:
                                        ; implicit-def: $vgpr1
	s_cbranch_execnz .LBB6_9
.LBB6_12:
	s_delay_alu instid0(VALU_DEP_1)
	v_mov_b32_e32 v10, v1
	s_and_b32 exec_lo, exec_lo, s6
	s_cbranch_execz .LBB6_10
.LBB6_13:
	s_load_b256 s[4:11], s[0:1], 0x20
	s_wait_kmcnt 0x0
	s_cmp_eq_u64 s[6:7], 0
	global_load_b32 v20, v10, s[4:5] scale_offset
	s_cselect_b32 vcc_lo, -1, 0
	v_ashrrev_i32_e32 v11, 31, v10
	s_cmp_eq_u32 s3, 1
	s_delay_alu instid0(VALU_DEP_1) | instskip(SKIP_1) | instid1(VALU_DEP_2)
	v_lshlrev_b64_e32 v[4:5], 2, v[10:11]
	v_and_b32_e32 v11, 7, v0
	v_add_nc_u64_e32 v[6:7], s[4:5], v[4:5]
	v_add_nc_u64_e32 v[4:5], s[6:7], v[4:5]
	s_wait_xcnt 0x0
	s_load_b64 s[4:5], s[0:1], 0x40
	s_delay_alu instid0(VALU_DEP_2) | instskip(NEXT) | instid1(VALU_DEP_1)
	v_add_nc_u64_e32 v[6:7], 4, v[6:7]
	v_dual_cndmask_b32 v5, v5, v7 :: v_dual_cndmask_b32 v4, v4, v6
	global_load_b32 v4, v[4:5], off
	s_wait_loadcnt 0x1
	v_subrev_nc_u32_e32 v0, s12, v20
	s_delay_alu instid0(VALU_DEP_1) | instskip(NEXT) | instid1(VALU_DEP_1)
	v_add_nc_u32_e32 v14, v0, v11
	v_ashrrev_i32_e32 v15, 31, v14
	s_delay_alu instid0(VALU_DEP_1) | instskip(NEXT) | instid1(VALU_DEP_1)
	v_lshlrev_b64_e32 v[0:1], 7, v[14:15]
	v_add_nc_u64_e32 v[16:17], s[10:11], v[0:1]
	s_wait_loadcnt 0x0
	v_subrev_nc_u32_e32 v15, s12, v4
	s_delay_alu instid0(VALU_DEP_1)
	v_cmp_lt_i32_e64 s2, v14, v15
	s_cbranch_scc1 .LBB6_25
; %bb.14:
	v_mov_b64_e32 v[0:1], 0
	v_mov_b64_e32 v[6:7], 0
	;; [unrolled: 1-line block ×4, first 2 shown]
	s_and_saveexec_b32 s3, s2
	s_cbranch_execz .LBB6_24
; %bb.15:
	v_add_nc_u32_e32 v0, v20, v11
	v_not_b32_e32 v1, v20
	v_mov_b64_e32 v[4:5], 0
	v_mov_b64_e32 v[12:13], 0
	;; [unrolled: 1-line block ×3, first 2 shown]
	v_subrev_nc_u32_e32 v0, s12, v0
	v_mov_b32_e32 v21, v14
	s_delay_alu instid0(VALU_DEP_2) | instskip(NEXT) | instid1(VALU_DEP_1)
	v_add_max_i32_e64 v0, v0, 8, v15
	v_add3_u32 v0, s12, v0, v1
	s_delay_alu instid0(VALU_DEP_1) | instskip(SKIP_1) | instid1(VALU_DEP_2)
	v_sub_nc_u32_e32 v22, v0, v11
	v_mov_b64_e32 v[0:1], 0
	v_and_b32_e32 v18, 24, v22
	s_delay_alu instid0(VALU_DEP_1)
	v_cmp_ne_u32_e32 vcc_lo, 24, v18
	v_mov_b64_e32 v[18:19], v[16:17]
	s_and_saveexec_b32 s6, vcc_lo
	s_cbranch_execz .LBB6_19
; %bb.16:
	v_lshrrev_b32_e32 v0, 3, v22
	v_mov_b64_e32 v[18:19], v[16:17]
	v_mov_b64_e32 v[6:7], 0
	;; [unrolled: 1-line block ×3, first 2 shown]
	s_mov_b32 s7, 0
	v_add_nc_u32_e32 v4, 1, v0
	v_mov_b64_e32 v[0:1], 0
	s_delay_alu instid0(VALU_DEP_2) | instskip(SKIP_1) | instid1(VALU_DEP_2)
	v_and_b32_e32 v21, 3, v4
	v_mov_b64_e32 v[4:5], 0
	v_dual_sub_nc_u32 v23, 0, v21 :: v_dual_mov_b32 v21, v14
.LBB6_17:                               ; =>This Inner Loop Header: Depth=1
	global_load_b32 v40, v21, s[8:9] scale_offset
	s_clause 0x3
	global_load_b128 v[24:27], v[18:19], off offset:48
	global_load_b128 v[28:31], v[18:19], off offset:32
	global_load_b128 v[32:35], v[18:19], off offset:16
	global_load_b128 v[36:39], v[18:19], off
	v_add_co_u32 v23, s10, v23, 1
	s_or_b32 s7, s10, s7
	s_wait_xcnt 0x4
	v_add_nc_u32_e32 v21, 8, v21
	global_load_b128 v[48:51], v[18:19], off offset:80
	s_wait_loadcnt 0x5
	v_subrev_nc_u32_e32 v44, s12, v40
	global_load_b128 v[40:43], v[18:19], off offset:112
	v_lshlrev_b32_e32 v52, 2, v44
	global_load_b128 v[44:47], v[18:19], off offset:96
	v_ashrrev_i32_e32 v53, 31, v52
	s_wait_kmcnt 0x0
	s_delay_alu instid0(VALU_DEP_1)
	v_lshl_add_u64 v[64:65], v[52:53], 3, s[4:5]
	global_load_b128 v[52:55], v[18:19], off offset:64
	s_clause 0x1
	global_load_b128 v[56:59], v[64:65], off
	global_load_b128 v[60:63], v[64:65], off offset:16
	s_wait_xcnt 0x2
	v_add_nc_u64_e32 v[18:19], 0x400, v[18:19]
	s_wait_loadcnt 0x1
	v_fmac_f64_e32 v[4:5], v[36:37], v[56:57]
	v_fmac_f64_e32 v[12:13], v[28:29], v[56:57]
	v_fmac_f64_e32 v[6:7], v[52:53], v[56:57]
	v_fmac_f64_e32 v[0:1], v[44:45], v[56:57]
	s_delay_alu instid0(VALU_DEP_4) | instskip(NEXT) | instid1(VALU_DEP_4)
	v_fmac_f64_e32 v[4:5], v[38:39], v[58:59]
	v_fmac_f64_e32 v[12:13], v[30:31], v[58:59]
	s_delay_alu instid0(VALU_DEP_4) | instskip(NEXT) | instid1(VALU_DEP_4)
	v_fmac_f64_e32 v[6:7], v[54:55], v[58:59]
	v_fmac_f64_e32 v[0:1], v[46:47], v[58:59]
	s_wait_loadcnt 0x0
	s_delay_alu instid0(VALU_DEP_4) | instskip(NEXT) | instid1(VALU_DEP_4)
	v_fmac_f64_e32 v[4:5], v[32:33], v[60:61]
	v_fmac_f64_e32 v[12:13], v[24:25], v[60:61]
	s_delay_alu instid0(VALU_DEP_4) | instskip(NEXT) | instid1(VALU_DEP_4)
	v_fmac_f64_e32 v[6:7], v[48:49], v[60:61]
	v_fmac_f64_e32 v[0:1], v[40:41], v[60:61]
	;; [unrolled: 3-line block ×4, first 2 shown]
	s_and_not1_b32 exec_lo, exec_lo, s7
	s_cbranch_execnz .LBB6_17
; %bb.18:
	s_or_b32 exec_lo, exec_lo, s7
.LBB6_19:
	s_delay_alu instid0(SALU_CYCLE_1) | instskip(NEXT) | instid1(SALU_CYCLE_1)
	s_or_b32 exec_lo, exec_lo, s6
	s_mov_b32 s6, exec_lo
	v_cmpx_lt_u32_e32 23, v22
	s_cbranch_execz .LBB6_23
; %bb.20:
	s_mov_b32 s7, 0
.LBB6_21:                               ; =>This Inner Loop Header: Depth=1
	s_clause 0x1
	global_load_b32 v122, v21, s[8:9] scale_offset
	global_load_b32 v123, v21, s[8:9] offset:32 scale_offset
	s_clause 0xf
	global_load_b128 v[22:25], v[18:19], off offset:48
	global_load_b128 v[26:29], v[18:19], off offset:32
	;; [unrolled: 1-line block ×3, first 2 shown]
	global_load_b128 v[34:37], v[18:19], off
	global_load_b128 v[38:41], v[18:19], off offset:112
	global_load_b128 v[42:45], v[18:19], off offset:96
	;; [unrolled: 1-line block ×12, first 2 shown]
	s_clause 0x1
	global_load_b32 v134, v21, s[8:9] offset:64 scale_offset
	global_load_b32 v135, v21, s[8:9] offset:96 scale_offset
	s_clause 0x8
	global_load_b128 v[86:89], v[18:19], off offset:2096
	global_load_b128 v[90:93], v[18:19], off offset:2080
	;; [unrolled: 1-line block ×9, first 2 shown]
	s_wait_xcnt 0x9
	v_add_nc_u32_e32 v21, 32, v21
	s_delay_alu instid0(VALU_DEP_1)
	v_cmp_ge_i32_e32 vcc_lo, v21, v15
	s_or_b32 s7, vcc_lo, s7
	s_wait_loadcnt 0x1c
	v_subrev_nc_u32_e32 v122, s12, v122
	s_wait_loadcnt 0x1b
	v_subrev_nc_u32_e32 v123, s12, v123
	s_delay_alu instid0(VALU_DEP_1) | instskip(NEXT) | instid1(VALU_DEP_1)
	v_dual_lshlrev_b32 v122, 2, v122 :: v_dual_lshlrev_b32 v124, 2, v123
	v_dual_ashrrev_i32 v123, 31, v122 :: v_dual_ashrrev_i32 v125, 31, v124
	s_wait_kmcnt 0x0
	s_delay_alu instid0(VALU_DEP_1) | instskip(NEXT) | instid1(VALU_DEP_2)
	v_lshl_add_u64 v[130:131], v[122:123], 3, s[4:5]
	v_lshl_add_u64 v[132:133], v[124:125], 3, s[4:5]
	s_clause 0x1
	global_load_b128 v[122:125], v[130:131], off
	global_load_b128 v[126:129], v[130:131], off offset:16
	s_wait_loadcnt 0xc
	s_wait_xcnt 0x0
	v_subrev_nc_u32_e32 v130, s12, v134
	s_delay_alu instid0(VALU_DEP_1) | instskip(NEXT) | instid1(VALU_DEP_1)
	v_lshlrev_b32_e32 v130, 2, v130
	v_ashrrev_i32_e32 v131, 31, v130
	s_delay_alu instid0(VALU_DEP_1)
	v_lshl_add_u64 v[130:131], v[130:131], 3, s[4:5]
	s_wait_loadcnt 0x1
	v_fmac_f64_e32 v[4:5], v[34:35], v[122:123]
	v_fmac_f64_e32 v[6:7], v[50:51], v[122:123]
	;; [unrolled: 1-line block ×4, first 2 shown]
	s_delay_alu instid0(VALU_DEP_4)
	v_fmac_f64_e32 v[4:5], v[36:37], v[124:125]
	global_load_b128 v[34:37], v[132:133], off
	v_fmac_f64_e32 v[6:7], v[52:53], v[124:125]
	global_load_b128 v[50:53], v[132:133], off offset:16
	v_fmac_f64_e32 v[12:13], v[28:29], v[124:125]
	global_load_b128 v[26:29], v[18:19], off offset:3104
	v_fmac_f64_e32 v[0:1], v[44:45], v[124:125]
	s_clause 0x1
	global_load_b128 v[42:45], v[18:19], off offset:3088
	global_load_b128 v[122:125], v[18:19], off offset:3072
	s_wait_loadcnt 0x5
	v_fmac_f64_e32 v[4:5], v[30:31], v[126:127]
	v_fmac_f64_e32 v[6:7], v[46:47], v[126:127]
	;; [unrolled: 1-line block ×4, first 2 shown]
	v_subrev_nc_u32_e32 v126, s12, v135
	s_delay_alu instid0(VALU_DEP_1) | instskip(NEXT) | instid1(VALU_DEP_1)
	v_lshlrev_b32_e32 v126, 2, v126
	v_ashrrev_i32_e32 v127, 31, v126
	s_delay_alu instid0(VALU_DEP_1)
	v_lshl_add_u64 v[134:135], v[126:127], 3, s[4:5]
	v_fmac_f64_e32 v[4:5], v[32:33], v[128:129]
	global_load_b128 v[30:33], v[130:131], off
	v_fmac_f64_e32 v[6:7], v[48:49], v[128:129]
	global_load_b128 v[46:49], v[18:19], off offset:3168
	v_fmac_f64_e32 v[12:13], v[24:25], v[128:129]
	global_load_b128 v[22:25], v[130:131], off offset:16
	;; [unrolled: 2-line block ×3, first 2 shown]
	global_load_b128 v[126:129], v[134:135], off
	s_wait_loadcnt 0x9
	v_fmac_f64_e32 v[4:5], v[66:67], v[34:35]
	v_fmac_f64_e32 v[12:13], v[58:59], v[34:35]
	v_fmac_f64_e32 v[6:7], v[82:83], v[34:35]
	v_fmac_f64_e32 v[0:1], v[74:75], v[34:35]
	s_delay_alu instid0(VALU_DEP_4)
	v_fmac_f64_e32 v[4:5], v[68:69], v[36:37]
	global_load_b128 v[66:69], v[18:19], off offset:3184
	v_fmac_f64_e32 v[12:13], v[60:61], v[36:37]
	global_load_b128 v[58:61], v[18:19], off offset:3152
	global_load_b128 v[130:133], v[134:135], off offset:16
	v_fmac_f64_e32 v[6:7], v[84:85], v[36:37]
	v_fmac_f64_e32 v[0:1], v[76:77], v[36:37]
	s_wait_xcnt 0x1
	v_add_nc_u64_e32 v[18:19], 0x1000, v[18:19]
	s_wait_loadcnt 0xb
	v_fmac_f64_e32 v[4:5], v[62:63], v[50:51]
	v_fmac_f64_e32 v[12:13], v[54:55], v[50:51]
	;; [unrolled: 1-line block ×4, first 2 shown]
	s_delay_alu instid0(VALU_DEP_4) | instskip(NEXT) | instid1(VALU_DEP_4)
	v_fmac_f64_e32 v[4:5], v[64:65], v[52:53]
	v_fmac_f64_e32 v[12:13], v[56:57], v[52:53]
	s_delay_alu instid0(VALU_DEP_4) | instskip(NEXT) | instid1(VALU_DEP_4)
	v_fmac_f64_e32 v[6:7], v[80:81], v[52:53]
	v_fmac_f64_e32 v[0:1], v[72:73], v[52:53]
	s_wait_loadcnt 0x7
	s_delay_alu instid0(VALU_DEP_4) | instskip(NEXT) | instid1(VALU_DEP_4)
	v_fmac_f64_e32 v[4:5], v[98:99], v[30:31]
	v_fmac_f64_e32 v[12:13], v[90:91], v[30:31]
	s_delay_alu instid0(VALU_DEP_4) | instskip(NEXT) | instid1(VALU_DEP_4)
	v_fmac_f64_e32 v[6:7], v[114:115], v[30:31]
	v_fmac_f64_e32 v[0:1], v[106:107], v[30:31]
	s_delay_alu instid0(VALU_DEP_4) | instskip(NEXT) | instid1(VALU_DEP_4)
	v_fmac_f64_e32 v[4:5], v[100:101], v[32:33]
	v_fmac_f64_e32 v[12:13], v[92:93], v[32:33]
	s_delay_alu instid0(VALU_DEP_4) | instskip(NEXT) | instid1(VALU_DEP_4)
	v_fmac_f64_e32 v[6:7], v[116:117], v[32:33]
	v_fmac_f64_e32 v[0:1], v[108:109], v[32:33]
	s_wait_loadcnt 0x5
	s_delay_alu instid0(VALU_DEP_4) | instskip(NEXT) | instid1(VALU_DEP_4)
	v_fmac_f64_e32 v[4:5], v[94:95], v[22:23]
	v_fmac_f64_e32 v[12:13], v[86:87], v[22:23]
	s_delay_alu instid0(VALU_DEP_4) | instskip(NEXT) | instid1(VALU_DEP_4)
	v_fmac_f64_e32 v[6:7], v[110:111], v[22:23]
	v_fmac_f64_e32 v[0:1], v[102:103], v[22:23]
	;; [unrolled: 13-line block ×4, first 2 shown]
	s_delay_alu instid0(VALU_DEP_4) | instskip(NEXT) | instid1(VALU_DEP_4)
	v_fmac_f64_e32 v[4:5], v[44:45], v[132:133]
	v_fmac_f64_e32 v[12:13], v[120:121], v[132:133]
	s_delay_alu instid0(VALU_DEP_4) | instskip(NEXT) | instid1(VALU_DEP_4)
	v_fmac_f64_e32 v[6:7], v[60:61], v[132:133]
	v_fmac_f64_e32 v[0:1], v[68:69], v[132:133]
	s_and_not1_b32 exec_lo, exec_lo, s7
	s_cbranch_execnz .LBB6_21
; %bb.22:
	s_or_b32 exec_lo, exec_lo, s7
.LBB6_23:
	s_delay_alu instid0(SALU_CYCLE_1)
	s_or_b32 exec_lo, exec_lo, s6
.LBB6_24:
	s_delay_alu instid0(SALU_CYCLE_1)
	s_or_b32 exec_lo, exec_lo, s3
	s_cbranch_execz .LBB6_26
	s_branch .LBB6_37
.LBB6_25:
                                        ; implicit-def: $vgpr0_vgpr1
                                        ; implicit-def: $vgpr6_vgpr7
                                        ; implicit-def: $vgpr12_vgpr13
                                        ; implicit-def: $vgpr4_vgpr5
.LBB6_26:
	v_mov_b64_e32 v[0:1], 0
	v_mov_b64_e32 v[6:7], 0
	;; [unrolled: 1-line block ×4, first 2 shown]
	s_and_saveexec_b32 s3, s2
	s_cbranch_execz .LBB6_36
; %bb.27:
	v_add_nc_u32_e32 v0, v20, v11
	v_not_b32_e32 v1, v20
	v_mov_b64_e32 v[4:5], 0
	v_mov_b64_e32 v[12:13], 0
	;; [unrolled: 1-line block ×3, first 2 shown]
	v_subrev_nc_u32_e32 v0, s12, v0
	s_mov_b32 s2, exec_lo
	s_delay_alu instid0(VALU_DEP_1) | instskip(NEXT) | instid1(VALU_DEP_1)
	v_add_max_i32_e64 v0, v0, 8, v15
	v_add3_u32 v0, s12, v0, v1
	s_delay_alu instid0(VALU_DEP_1) | instskip(SKIP_1) | instid1(VALU_DEP_2)
	v_sub_nc_u32_e32 v18, v0, v11
	v_mov_b64_e32 v[0:1], 0
	v_and_b32_e32 v19, 24, v18
	s_delay_alu instid0(VALU_DEP_1)
	v_cmpx_ne_u32_e32 24, v19
	s_cbranch_execz .LBB6_31
; %bb.28:
	v_lshrrev_b32_e32 v0, 3, v18
	v_mov_b64_e32 v[6:7], 0
	v_mov_b64_e32 v[12:13], 0
	;; [unrolled: 1-line block ×3, first 2 shown]
	s_mov_b32 s6, 0
	v_add_nc_u32_e32 v0, 1, v0
	s_delay_alu instid0(VALU_DEP_1) | instskip(SKIP_1) | instid1(VALU_DEP_2)
	v_and_b32_e32 v19, 3, v0
	v_mov_b64_e32 v[0:1], 0
	v_sub_nc_u32_e32 v19, 0, v19
.LBB6_29:                               ; =>This Inner Loop Header: Depth=1
	global_load_b32 v20, v14, s[8:9] scale_offset
	v_add_co_u32 v19, s7, v19, 1
	s_or_b32 s6, s7, s6
	s_wait_xcnt 0x0
	v_add_nc_u32_e32 v14, 8, v14
	s_wait_loadcnt 0x0
	v_subrev_nc_u32_e32 v20, s12, v20
	s_delay_alu instid0(VALU_DEP_1) | instskip(SKIP_3) | instid1(VALU_DEP_1)
	v_lshlrev_b32_e32 v24, 2, v20
	global_load_b128 v[20:23], v[16:17], off offset:16
	v_ashrrev_i32_e32 v25, 31, v24
	s_wait_kmcnt 0x0
	v_lshl_add_u64 v[60:61], v[24:25], 3, s[4:5]
	global_load_b128 v[24:27], v[16:17], off
	s_clause 0x1
	global_load_b128 v[28:31], v[60:61], off
	global_load_b128 v[32:35], v[60:61], off offset:16
	s_clause 0x5
	global_load_b128 v[36:39], v[16:17], off offset:32
	global_load_b128 v[40:43], v[16:17], off offset:48
	global_load_b128 v[44:47], v[16:17], off offset:64
	global_load_b128 v[48:51], v[16:17], off offset:80
	global_load_b128 v[52:55], v[16:17], off offset:96
	global_load_b128 v[56:59], v[16:17], off offset:112
	s_wait_xcnt 0x0
	v_add_nc_u64_e32 v[16:17], 0x400, v[16:17]
	s_wait_loadcnt 0x7
	v_fmac_f64_e32 v[4:5], v[24:25], v[28:29]
	v_fmac_f64_e32 v[12:13], v[26:27], v[28:29]
	v_fmac_f64_e32 v[6:7], v[20:21], v[28:29]
	v_fmac_f64_e32 v[0:1], v[22:23], v[28:29]
	s_wait_loadcnt 0x5
	s_delay_alu instid0(VALU_DEP_4) | instskip(NEXT) | instid1(VALU_DEP_4)
	v_fmac_f64_e32 v[4:5], v[36:37], v[30:31]
	v_fmac_f64_e32 v[12:13], v[38:39], v[30:31]
	s_wait_loadcnt 0x4
	s_delay_alu instid0(VALU_DEP_4) | instskip(NEXT) | instid1(VALU_DEP_4)
	v_fmac_f64_e32 v[6:7], v[40:41], v[30:31]
	v_fmac_f64_e32 v[0:1], v[42:43], v[30:31]
	;; [unrolled: 4-line block ×6, first 2 shown]
	s_and_not1_b32 exec_lo, exec_lo, s6
	s_cbranch_execnz .LBB6_29
; %bb.30:
	s_or_b32 exec_lo, exec_lo, s6
.LBB6_31:
	s_delay_alu instid0(SALU_CYCLE_1) | instskip(NEXT) | instid1(SALU_CYCLE_1)
	s_or_b32 exec_lo, exec_lo, s2
	s_mov_b32 s2, exec_lo
	v_cmpx_lt_u32_e32 23, v18
	s_cbranch_execz .LBB6_35
; %bb.32:
	s_mov_b32 s6, 0
.LBB6_33:                               ; =>This Inner Loop Header: Depth=1
	s_clause 0x2
	global_load_b32 v30, v14, s[8:9] scale_offset
	global_load_b32 v72, v14, s[8:9] offset:32 scale_offset
	global_load_b32 v100, v14, s[8:9] offset:64 scale_offset
	s_clause 0x2
	global_load_b128 v[18:21], v[16:17], off offset:32
	global_load_b128 v[22:25], v[16:17], off offset:16
	global_load_b128 v[26:29], v[16:17], off
	global_load_b32 v112, v14, s[8:9] offset:96 scale_offset
	s_wait_xcnt 0x0
	v_add_nc_u32_e32 v14, 32, v14
	s_delay_alu instid0(VALU_DEP_1) | instskip(SKIP_3) | instid1(VALU_DEP_1)
	v_cmp_ge_i32_e32 vcc_lo, v14, v15
	s_or_b32 s6, vcc_lo, s6
	s_wait_loadcnt 0x6
	v_subrev_nc_u32_e32 v30, s12, v30
	v_lshlrev_b32_e32 v30, 2, v30
	s_delay_alu instid0(VALU_DEP_1) | instskip(SKIP_1) | instid1(VALU_DEP_1)
	v_ashrrev_i32_e32 v31, 31, v30
	s_wait_kmcnt 0x0
	v_lshl_add_u64 v[70:71], v[30:31], 3, s[4:5]
	global_load_b128 v[30:33], v[70:71], off
	s_clause 0x5
	global_load_b128 v[34:37], v[16:17], off offset:48
	global_load_b128 v[38:41], v[16:17], off offset:112
	;; [unrolled: 1-line block ×7, first 2 shown]
	s_clause 0x1
	global_load_b128 v[62:65], v[16:17], off offset:1040
	global_load_b128 v[66:69], v[16:17], off offset:1024
	s_wait_loadcnt 0xf
	s_wait_xcnt 0x2
	v_subrev_nc_u32_e32 v70, s12, v72
	s_delay_alu instid0(VALU_DEP_1) | instskip(NEXT) | instid1(VALU_DEP_1)
	v_lshlrev_b32_e32 v70, 2, v70
	v_ashrrev_i32_e32 v71, 31, v70
	s_delay_alu instid0(VALU_DEP_1)
	v_lshl_add_u64 v[98:99], v[70:71], 3, s[4:5]
	global_load_b128 v[70:73], v[98:99], off
	s_clause 0x2
	global_load_b128 v[74:77], v[16:17], off offset:1072
	global_load_b128 v[78:81], v[16:17], off offset:1104
	;; [unrolled: 1-line block ×4, first 2 shown]
	s_clause 0x1
	global_load_b128 v[90:93], v[16:17], off offset:1120
	global_load_b128 v[94:97], v[16:17], off offset:1136
	s_wait_loadcnt 0x15
	s_wait_xcnt 0x2
	v_subrev_nc_u32_e32 v98, s12, v100
	s_delay_alu instid0(VALU_DEP_1) | instskip(SKIP_2) | instid1(VALU_DEP_1)
	v_lshlrev_b32_e32 v102, 2, v98
	global_load_b128 v[98:101], v[16:17], off offset:2064
	v_ashrrev_i32_e32 v103, 31, v102
	v_lshl_add_u64 v[110:111], v[102:103], 3, s[4:5]
	global_load_b128 v[102:105], v[16:17], off offset:2048
	global_load_b128 v[106:109], v[110:111], off
	s_wait_loadcnt 0x13
	v_fmac_f64_e32 v[4:5], v[26:27], v[30:31]
	v_fmac_f64_e32 v[12:13], v[28:29], v[30:31]
	global_load_b128 v[26:29], v[16:17], off offset:2080
	v_fmac_f64_e32 v[6:7], v[22:23], v[30:31]
	v_fmac_f64_e32 v[0:1], v[24:25], v[30:31]
	global_load_b128 v[22:25], v[16:17], off offset:2096
	;; [unrolled: 3-line block ×3, first 2 shown]
	s_wait_loadcnt 0x15
	v_fmac_f64_e32 v[6:7], v[34:35], v[32:33]
	v_fmac_f64_e32 v[0:1], v[36:37], v[32:33]
	global_load_b128 v[30:33], v[16:17], off offset:2128
	global_load_b128 v[34:37], v[110:111], off offset:16
	s_wait_loadcnt 0x11
	v_fmac_f64_e32 v[4:5], v[50:51], v[58:59]
	v_fmac_f64_e32 v[12:13], v[52:53], v[58:59]
	global_load_b128 v[50:53], v[16:17], off offset:2144
	v_fmac_f64_e32 v[6:7], v[46:47], v[58:59]
	v_fmac_f64_e32 v[0:1], v[48:49], v[58:59]
	global_load_b128 v[46:49], v[16:17], off offset:2160
	v_subrev_nc_u32_e32 v58, s12, v112
	s_delay_alu instid0(VALU_DEP_1) | instskip(NEXT) | instid1(VALU_DEP_1)
	v_lshlrev_b32_e32 v58, 2, v58
	v_ashrrev_i32_e32 v59, 31, v58
	s_wait_xcnt 0x2
	s_delay_alu instid0(VALU_DEP_1)
	v_lshl_add_u64 v[110:111], v[58:59], 3, s[4:5]
	v_fmac_f64_e32 v[4:5], v[42:43], v[60:61]
	v_fmac_f64_e32 v[12:13], v[44:45], v[60:61]
	global_load_b128 v[42:45], v[16:17], off offset:3088
	v_fmac_f64_e32 v[6:7], v[38:39], v[60:61]
	v_fmac_f64_e32 v[0:1], v[40:41], v[60:61]
	global_load_b128 v[38:41], v[16:17], off offset:3072
	global_load_b128 v[58:61], v[110:111], off
	s_wait_loadcnt 0x13
	v_fmac_f64_e32 v[4:5], v[66:67], v[70:71]
	v_fmac_f64_e32 v[12:13], v[68:69], v[70:71]
	global_load_b128 v[66:69], v[16:17], off offset:3104
	v_fmac_f64_e32 v[6:7], v[62:63], v[70:71]
	v_fmac_f64_e32 v[0:1], v[64:65], v[70:71]
	global_load_b128 v[62:65], v[16:17], off offset:3120
	;; [unrolled: 3-line block ×3, first 2 shown]
	s_wait_loadcnt 0x15
	v_fmac_f64_e32 v[6:7], v[74:75], v[72:73]
	v_fmac_f64_e32 v[0:1], v[76:77], v[72:73]
	global_load_b128 v[70:73], v[16:17], off offset:3152
	global_load_b128 v[74:77], v[110:111], off offset:16
	s_wait_loadcnt 0x14
	v_fmac_f64_e32 v[4:5], v[82:83], v[86:87]
	v_fmac_f64_e32 v[12:13], v[84:85], v[86:87]
	global_load_b128 v[82:85], v[16:17], off offset:3168
	v_fmac_f64_e32 v[6:7], v[78:79], v[86:87]
	v_fmac_f64_e32 v[0:1], v[80:81], v[86:87]
	global_load_b128 v[78:81], v[16:17], off offset:3184
	s_wait_xcnt 0x0
	v_add_nc_u64_e32 v[16:17], 0x1000, v[16:17]
	s_wait_loadcnt 0x15
	v_fmac_f64_e32 v[4:5], v[90:91], v[88:89]
	v_fmac_f64_e32 v[12:13], v[92:93], v[88:89]
	s_wait_loadcnt 0x14
	v_fmac_f64_e32 v[6:7], v[94:95], v[88:89]
	v_fmac_f64_e32 v[0:1], v[96:97], v[88:89]
	s_wait_loadcnt 0x11
	s_delay_alu instid0(VALU_DEP_4) | instskip(NEXT) | instid1(VALU_DEP_4)
	v_fmac_f64_e32 v[4:5], v[102:103], v[106:107]
	v_fmac_f64_e32 v[12:13], v[104:105], v[106:107]
	s_delay_alu instid0(VALU_DEP_4) | instskip(NEXT) | instid1(VALU_DEP_4)
	v_fmac_f64_e32 v[6:7], v[98:99], v[106:107]
	v_fmac_f64_e32 v[0:1], v[100:101], v[106:107]
	s_wait_loadcnt 0x10
	s_delay_alu instid0(VALU_DEP_4) | instskip(NEXT) | instid1(VALU_DEP_4)
	v_fmac_f64_e32 v[4:5], v[26:27], v[108:109]
	v_fmac_f64_e32 v[12:13], v[28:29], v[108:109]
	s_wait_loadcnt 0xf
	s_delay_alu instid0(VALU_DEP_4) | instskip(NEXT) | instid1(VALU_DEP_4)
	v_fmac_f64_e32 v[6:7], v[22:23], v[108:109]
	v_fmac_f64_e32 v[0:1], v[24:25], v[108:109]
	s_wait_loadcnt 0xc
	s_delay_alu instid0(VALU_DEP_4) | instskip(NEXT) | instid1(VALU_DEP_4)
	v_fmac_f64_e32 v[4:5], v[18:19], v[34:35]
	v_fmac_f64_e32 v[12:13], v[20:21], v[34:35]
	s_delay_alu instid0(VALU_DEP_4) | instskip(NEXT) | instid1(VALU_DEP_4)
	v_fmac_f64_e32 v[6:7], v[30:31], v[34:35]
	v_fmac_f64_e32 v[0:1], v[32:33], v[34:35]
	s_wait_loadcnt 0xb
	s_delay_alu instid0(VALU_DEP_4) | instskip(NEXT) | instid1(VALU_DEP_4)
	v_fmac_f64_e32 v[4:5], v[50:51], v[36:37]
	v_fmac_f64_e32 v[12:13], v[52:53], v[36:37]
	s_wait_loadcnt 0xa
	s_delay_alu instid0(VALU_DEP_4) | instskip(NEXT) | instid1(VALU_DEP_4)
	;; [unrolled: 15-line block ×4, first 2 shown]
	v_fmac_f64_e32 v[6:7], v[78:79], v[76:77]
	v_fmac_f64_e32 v[0:1], v[80:81], v[76:77]
	s_and_not1_b32 exec_lo, exec_lo, s6
	s_cbranch_execnz .LBB6_33
; %bb.34:
	s_or_b32 exec_lo, exec_lo, s6
.LBB6_35:
	s_delay_alu instid0(SALU_CYCLE_1)
	s_or_b32 exec_lo, exec_lo, s2
.LBB6_36:
	s_delay_alu instid0(SALU_CYCLE_1)
	s_or_b32 exec_lo, exec_lo, s3
.LBB6_37:
	v_mbcnt_lo_u32_b32 v24, -1, 0
	s_delay_alu instid0(VALU_DEP_1) | instskip(NEXT) | instid1(VALU_DEP_1)
	v_xor_b32_e32 v14, 4, v24
	v_cmp_gt_i32_e32 vcc_lo, 32, v14
	v_cndmask_b32_e32 v14, v24, v14, vcc_lo
	s_delay_alu instid0(VALU_DEP_1)
	v_lshlrev_b32_e32 v21, 2, v14
	ds_bpermute_b32 v14, v21, v4
	ds_bpermute_b32 v15, v21, v5
	;; [unrolled: 1-line block ×4, first 2 shown]
	s_wait_dscnt 0x2
	v_add_f64_e32 v[4:5], v[4:5], v[14:15]
	s_wait_dscnt 0x0
	v_add_f64_e32 v[14:15], v[12:13], v[16:17]
	ds_bpermute_b32 v18, v21, v6
	ds_bpermute_b32 v19, v21, v7
	;; [unrolled: 1-line block ×4, first 2 shown]
	s_wait_dscnt 0x2
	v_add_f64_e32 v[16:17], v[6:7], v[18:19]
	s_wait_dscnt 0x0
	v_add_f64_e32 v[18:19], v[0:1], v[20:21]
	v_xor_b32_e32 v0, 2, v24
	s_delay_alu instid0(VALU_DEP_1) | instskip(SKIP_1) | instid1(VALU_DEP_1)
	v_cmp_gt_i32_e32 vcc_lo, 32, v0
	v_cndmask_b32_e32 v0, v24, v0, vcc_lo
	v_lshlrev_b32_e32 v12, 2, v0
	ds_bpermute_b32 v6, v12, v14
	ds_bpermute_b32 v7, v12, v15
	;; [unrolled: 1-line block ×6, first 2 shown]
	s_wait_dscnt 0x4
	v_dual_add_f64 v[6:7], v[14:15], v[6:7] :: v_dual_bitop2_b32 v14, 1, v24 bitop3:0x14
	s_delay_alu instid0(VALU_DEP_1) | instskip(SKIP_2) | instid1(VALU_DEP_2)
	v_cmp_gt_i32_e32 vcc_lo, 32, v14
	v_cndmask_b32_e32 v14, v24, v14, vcc_lo
	v_cmp_eq_u32_e32 vcc_lo, 7, v11
	v_lshlrev_b32_e32 v15, 2, v14
	ds_bpermute_b32 v22, v12, v18
	ds_bpermute_b32 v23, v12, v19
	s_wait_dscnt 0x4
	v_add_f64_e32 v[12:13], v[4:5], v[0:1]
	s_wait_dscnt 0x2
	v_add_f64_e32 v[0:1], v[16:17], v[20:21]
	;; [unrolled: 2-line block ×3, first 2 shown]
	ds_bpermute_b32 v18, v15, v6
	ds_bpermute_b32 v19, v15, v7
	;; [unrolled: 1-line block ×8, first 2 shown]
	s_and_b32 exec_lo, exec_lo, vcc_lo
	s_cbranch_execz .LBB6_10
; %bb.38:
	s_wait_dscnt 0x4
	v_dual_add_f64 v[12:13], v[12:13], v[20:21] :: v_dual_lshlrev_b32 v10, 2, v10
	v_add_f64_e32 v[6:7], v[6:7], v[18:19]
	s_wait_dscnt 0x2
	v_add_f64_e32 v[0:1], v[0:1], v[16:17]
	s_wait_dscnt 0x0
	v_add_f64_e32 v[14:15], v[4:5], v[14:15]
	s_load_b64 s[0:1], s[0:1], 0x50
	s_mov_b32 s2, exec_lo
	s_delay_alu instid0(VALU_DEP_4) | instskip(NEXT) | instid1(VALU_DEP_4)
	v_mul_f64_e32 v[4:5], v[2:3], v[12:13]
	v_mul_f64_e32 v[6:7], v[2:3], v[6:7]
	s_delay_alu instid0(VALU_DEP_4) | instskip(NEXT) | instid1(VALU_DEP_4)
	v_mul_f64_e32 v[0:1], v[2:3], v[0:1]
	v_mul_f64_e32 v[2:3], v[2:3], v[14:15]
	v_cmpx_eq_f64_e32 0, v[8:9]
	s_xor_b32 s2, exec_lo, s2
	s_cbranch_execz .LBB6_40
; %bb.39:
	v_ashrrev_i32_e32 v11, 31, v10
	s_wait_kmcnt 0x0
	s_delay_alu instid0(VALU_DEP_1)
	v_lshl_add_u64 v[8:9], v[10:11], 3, s[0:1]
                                        ; implicit-def: $vgpr10
	s_clause 0x1
	global_store_b128 v[8:9], v[4:7], off
	global_store_b128 v[8:9], v[0:3], off offset:16
                                        ; implicit-def: $vgpr8_vgpr9
                                        ; implicit-def: $vgpr4_vgpr5
                                        ; implicit-def: $vgpr0_vgpr1
.LBB6_40:
	s_wait_xcnt 0x0
	s_and_not1_saveexec_b32 s2, s2
	s_cbranch_execz .LBB6_10
; %bb.41:
	v_ashrrev_i32_e32 v11, 31, v10
	s_wait_kmcnt 0x0
	s_delay_alu instid0(VALU_DEP_1)
	v_lshl_add_u64 v[18:19], v[10:11], 3, s[0:1]
	s_clause 0x1
	global_load_b128 v[10:13], v[18:19], off
	global_load_b128 v[14:17], v[18:19], off offset:16
	s_wait_loadcnt 0x1
	v_fmac_f64_e32 v[4:5], v[8:9], v[10:11]
	v_fmac_f64_e32 v[6:7], v[8:9], v[12:13]
	s_wait_loadcnt 0x0
	v_fmac_f64_e32 v[0:1], v[8:9], v[14:15]
	v_fmac_f64_e32 v[2:3], v[8:9], v[16:17]
	s_clause 0x1
	global_store_b128 v[18:19], v[4:7], off
	global_store_b128 v[18:19], v[0:3], off offset:16
	s_sendmsg sendmsg(MSG_DEALLOC_VGPRS)
	s_endpgm
	.section	.rodata,"a",@progbits
	.p2align	6, 0x0
	.amdhsa_kernel _ZN9rocsparseL18bsrxmvn_4x4_kernelILj128ELj8EdiidddEEvT3_20rocsparse_direction_NS_24const_host_device_scalarIT1_EES1_PKS1_PKT2_SA_S7_PKT4_PKT5_S5_PT6_21rocsparse_index_base_b
		.amdhsa_group_segment_fixed_size 0
		.amdhsa_private_segment_fixed_size 0
		.amdhsa_kernarg_size 96
		.amdhsa_user_sgpr_count 2
		.amdhsa_user_sgpr_dispatch_ptr 0
		.amdhsa_user_sgpr_queue_ptr 0
		.amdhsa_user_sgpr_kernarg_segment_ptr 1
		.amdhsa_user_sgpr_dispatch_id 0
		.amdhsa_user_sgpr_kernarg_preload_length 0
		.amdhsa_user_sgpr_kernarg_preload_offset 0
		.amdhsa_user_sgpr_private_segment_size 0
		.amdhsa_wavefront_size32 1
		.amdhsa_uses_dynamic_stack 0
		.amdhsa_enable_private_segment 0
		.amdhsa_system_sgpr_workgroup_id_x 1
		.amdhsa_system_sgpr_workgroup_id_y 0
		.amdhsa_system_sgpr_workgroup_id_z 0
		.amdhsa_system_sgpr_workgroup_info 0
		.amdhsa_system_vgpr_workitem_id 0
		.amdhsa_next_free_vgpr 136
		.amdhsa_next_free_sgpr 14
		.amdhsa_named_barrier_count 0
		.amdhsa_reserve_vcc 1
		.amdhsa_float_round_mode_32 0
		.amdhsa_float_round_mode_16_64 0
		.amdhsa_float_denorm_mode_32 3
		.amdhsa_float_denorm_mode_16_64 3
		.amdhsa_fp16_overflow 0
		.amdhsa_memory_ordered 1
		.amdhsa_forward_progress 1
		.amdhsa_inst_pref_size 35
		.amdhsa_round_robin_scheduling 0
		.amdhsa_exception_fp_ieee_invalid_op 0
		.amdhsa_exception_fp_denorm_src 0
		.amdhsa_exception_fp_ieee_div_zero 0
		.amdhsa_exception_fp_ieee_overflow 0
		.amdhsa_exception_fp_ieee_underflow 0
		.amdhsa_exception_fp_ieee_inexact 0
		.amdhsa_exception_int_div_zero 0
	.end_amdhsa_kernel
	.section	.text._ZN9rocsparseL18bsrxmvn_4x4_kernelILj128ELj8EdiidddEEvT3_20rocsparse_direction_NS_24const_host_device_scalarIT1_EES1_PKS1_PKT2_SA_S7_PKT4_PKT5_S5_PT6_21rocsparse_index_base_b,"axG",@progbits,_ZN9rocsparseL18bsrxmvn_4x4_kernelILj128ELj8EdiidddEEvT3_20rocsparse_direction_NS_24const_host_device_scalarIT1_EES1_PKS1_PKT2_SA_S7_PKT4_PKT5_S5_PT6_21rocsparse_index_base_b,comdat
.Lfunc_end6:
	.size	_ZN9rocsparseL18bsrxmvn_4x4_kernelILj128ELj8EdiidddEEvT3_20rocsparse_direction_NS_24const_host_device_scalarIT1_EES1_PKS1_PKT2_SA_S7_PKT4_PKT5_S5_PT6_21rocsparse_index_base_b, .Lfunc_end6-_ZN9rocsparseL18bsrxmvn_4x4_kernelILj128ELj8EdiidddEEvT3_20rocsparse_direction_NS_24const_host_device_scalarIT1_EES1_PKS1_PKT2_SA_S7_PKT4_PKT5_S5_PT6_21rocsparse_index_base_b
                                        ; -- End function
	.set _ZN9rocsparseL18bsrxmvn_4x4_kernelILj128ELj8EdiidddEEvT3_20rocsparse_direction_NS_24const_host_device_scalarIT1_EES1_PKS1_PKT2_SA_S7_PKT4_PKT5_S5_PT6_21rocsparse_index_base_b.num_vgpr, 136
	.set _ZN9rocsparseL18bsrxmvn_4x4_kernelILj128ELj8EdiidddEEvT3_20rocsparse_direction_NS_24const_host_device_scalarIT1_EES1_PKS1_PKT2_SA_S7_PKT4_PKT5_S5_PT6_21rocsparse_index_base_b.num_agpr, 0
	.set _ZN9rocsparseL18bsrxmvn_4x4_kernelILj128ELj8EdiidddEEvT3_20rocsparse_direction_NS_24const_host_device_scalarIT1_EES1_PKS1_PKT2_SA_S7_PKT4_PKT5_S5_PT6_21rocsparse_index_base_b.numbered_sgpr, 14
	.set _ZN9rocsparseL18bsrxmvn_4x4_kernelILj128ELj8EdiidddEEvT3_20rocsparse_direction_NS_24const_host_device_scalarIT1_EES1_PKS1_PKT2_SA_S7_PKT4_PKT5_S5_PT6_21rocsparse_index_base_b.num_named_barrier, 0
	.set _ZN9rocsparseL18bsrxmvn_4x4_kernelILj128ELj8EdiidddEEvT3_20rocsparse_direction_NS_24const_host_device_scalarIT1_EES1_PKS1_PKT2_SA_S7_PKT4_PKT5_S5_PT6_21rocsparse_index_base_b.private_seg_size, 0
	.set _ZN9rocsparseL18bsrxmvn_4x4_kernelILj128ELj8EdiidddEEvT3_20rocsparse_direction_NS_24const_host_device_scalarIT1_EES1_PKS1_PKT2_SA_S7_PKT4_PKT5_S5_PT6_21rocsparse_index_base_b.uses_vcc, 1
	.set _ZN9rocsparseL18bsrxmvn_4x4_kernelILj128ELj8EdiidddEEvT3_20rocsparse_direction_NS_24const_host_device_scalarIT1_EES1_PKS1_PKT2_SA_S7_PKT4_PKT5_S5_PT6_21rocsparse_index_base_b.uses_flat_scratch, 0
	.set _ZN9rocsparseL18bsrxmvn_4x4_kernelILj128ELj8EdiidddEEvT3_20rocsparse_direction_NS_24const_host_device_scalarIT1_EES1_PKS1_PKT2_SA_S7_PKT4_PKT5_S5_PT6_21rocsparse_index_base_b.has_dyn_sized_stack, 0
	.set _ZN9rocsparseL18bsrxmvn_4x4_kernelILj128ELj8EdiidddEEvT3_20rocsparse_direction_NS_24const_host_device_scalarIT1_EES1_PKS1_PKT2_SA_S7_PKT4_PKT5_S5_PT6_21rocsparse_index_base_b.has_recursion, 0
	.set _ZN9rocsparseL18bsrxmvn_4x4_kernelILj128ELj8EdiidddEEvT3_20rocsparse_direction_NS_24const_host_device_scalarIT1_EES1_PKS1_PKT2_SA_S7_PKT4_PKT5_S5_PT6_21rocsparse_index_base_b.has_indirect_call, 0
	.section	.AMDGPU.csdata,"",@progbits
; Kernel info:
; codeLenInByte = 4372
; TotalNumSgprs: 16
; NumVgprs: 136
; ScratchSize: 0
; MemoryBound: 1
; FloatMode: 240
; IeeeMode: 1
; LDSByteSize: 0 bytes/workgroup (compile time only)
; SGPRBlocks: 0
; VGPRBlocks: 8
; NumSGPRsForWavesPerEU: 16
; NumVGPRsForWavesPerEU: 136
; NamedBarCnt: 0
; Occupancy: 7
; WaveLimiterHint : 1
; COMPUTE_PGM_RSRC2:SCRATCH_EN: 0
; COMPUTE_PGM_RSRC2:USER_SGPR: 2
; COMPUTE_PGM_RSRC2:TRAP_HANDLER: 0
; COMPUTE_PGM_RSRC2:TGID_X_EN: 1
; COMPUTE_PGM_RSRC2:TGID_Y_EN: 0
; COMPUTE_PGM_RSRC2:TGID_Z_EN: 0
; COMPUTE_PGM_RSRC2:TIDIG_COMP_CNT: 0
	.section	.text._ZN9rocsparseL18bsrxmvn_4x4_kernelILj128ELj16EdiidddEEvT3_20rocsparse_direction_NS_24const_host_device_scalarIT1_EES1_PKS1_PKT2_SA_S7_PKT4_PKT5_S5_PT6_21rocsparse_index_base_b,"axG",@progbits,_ZN9rocsparseL18bsrxmvn_4x4_kernelILj128ELj16EdiidddEEvT3_20rocsparse_direction_NS_24const_host_device_scalarIT1_EES1_PKS1_PKT2_SA_S7_PKT4_PKT5_S5_PT6_21rocsparse_index_base_b,comdat
	.globl	_ZN9rocsparseL18bsrxmvn_4x4_kernelILj128ELj16EdiidddEEvT3_20rocsparse_direction_NS_24const_host_device_scalarIT1_EES1_PKS1_PKT2_SA_S7_PKT4_PKT5_S5_PT6_21rocsparse_index_base_b ; -- Begin function _ZN9rocsparseL18bsrxmvn_4x4_kernelILj128ELj16EdiidddEEvT3_20rocsparse_direction_NS_24const_host_device_scalarIT1_EES1_PKS1_PKT2_SA_S7_PKT4_PKT5_S5_PT6_21rocsparse_index_base_b
	.p2align	8
	.type	_ZN9rocsparseL18bsrxmvn_4x4_kernelILj128ELj16EdiidddEEvT3_20rocsparse_direction_NS_24const_host_device_scalarIT1_EES1_PKS1_PKT2_SA_S7_PKT4_PKT5_S5_PT6_21rocsparse_index_base_b,@function
_ZN9rocsparseL18bsrxmvn_4x4_kernelILj128ELj16EdiidddEEvT3_20rocsparse_direction_NS_24const_host_device_scalarIT1_EES1_PKS1_PKT2_SA_S7_PKT4_PKT5_S5_PT6_21rocsparse_index_base_b: ; @_ZN9rocsparseL18bsrxmvn_4x4_kernelILj128ELj16EdiidddEEvT3_20rocsparse_direction_NS_24const_host_device_scalarIT1_EES1_PKS1_PKT2_SA_S7_PKT4_PKT5_S5_PT6_21rocsparse_index_base_b
; %bb.0:
	s_clause 0x2
	s_load_b64 s[12:13], s[0:1], 0x58
	s_load_b64 s[4:5], s[0:1], 0x8
	;; [unrolled: 1-line block ×3, first 2 shown]
	s_wait_kmcnt 0x0
	s_bitcmp1_b32 s13, 0
	v_mov_b64_e32 v[2:3], s[4:5]
	s_cselect_b32 s6, -1, 0
	s_delay_alu instid0(SALU_CYCLE_1)
	s_and_b32 vcc_lo, exec_lo, s6
	s_xor_b32 s6, s6, -1
	s_cbranch_vccnz .LBB7_2
; %bb.1:
	v_mov_b32_e32 v1, 0
	flat_load_b64 v[2:3], v1, s[4:5]
.LBB7_2:
	v_mov_b64_e32 v[8:9], s[2:3]
	s_and_not1_b32 vcc_lo, exec_lo, s6
	s_cbranch_vccnz .LBB7_4
; %bb.3:
	s_wait_xcnt 0x0
	v_mov_b32_e32 v1, 0
	flat_load_b64 v[8:9], v1, s[2:3]
.LBB7_4:
	s_wait_loadcnt_dscnt 0x0
	v_cmp_neq_f64_e32 vcc_lo, 0, v[2:3]
	s_delay_alu instid0(VALU_DEP_2) | instskip(SKIP_1) | instid1(SALU_CYCLE_1)
	v_cmp_neq_f64_e64 s2, 1.0, v[8:9]
	s_or_b32 s2, vcc_lo, s2
	s_and_saveexec_b32 s3, s2
	s_cbranch_execz .LBB7_10
; %bb.5:
	s_clause 0x1
	s_load_b64 s[4:5], s[0:1], 0x18
	s_load_b64 s[2:3], s[0:1], 0x0
	s_bfe_u32 s6, ttmp6, 0x4000c
	s_and_b32 s7, ttmp6, 15
	s_add_co_i32 s6, s6, 1
	s_getreg_b32 s8, hwreg(HW_REG_IB_STS2, 6, 4)
	s_mul_i32 s6, ttmp9, s6
	v_lshrrev_b32_e32 v1, 4, v0
	s_add_co_i32 s7, s7, s6
	s_cmp_eq_u32 s8, 0
	s_cselect_b32 s6, ttmp9, s7
	s_delay_alu instid0(VALU_DEP_1) | instid1(SALU_CYCLE_1)
	v_lshl_or_b32 v10, s6, 3, v1
	s_mov_b32 s6, 0
	s_wait_kmcnt 0x0
	s_cmp_lg_u64 s[4:5], 0
	s_cbranch_scc0 .LBB7_11
; %bb.6:
	s_load_b32 s6, s[0:1], 0x10
	s_mov_b32 s7, 0
                                        ; implicit-def: $vgpr1
	s_wait_kmcnt 0x0
	v_cmp_gt_i32_e32 vcc_lo, s6, v10
	s_mov_b32 s6, 0
	s_and_saveexec_b32 s8, vcc_lo
	s_delay_alu instid0(SALU_CYCLE_1)
	s_xor_b32 s8, exec_lo, s8
	s_cbranch_execz .LBB7_8
; %bb.7:
	global_load_b32 v1, v10, s[4:5] scale_offset
	s_mov_b32 s6, exec_lo
	s_wait_loadcnt 0x0
	v_subrev_nc_u32_e32 v1, s12, v1
.LBB7_8:
	s_or_b32 exec_lo, exec_lo, s8
	s_delay_alu instid0(SALU_CYCLE_1)
	s_and_b32 vcc_lo, exec_lo, s7
	s_cbranch_vccz .LBB7_12
.LBB7_9:
	v_cmp_gt_i32_e32 vcc_lo, s2, v10
	s_and_not1_b32 s2, s6, exec_lo
	s_and_b32 s4, vcc_lo, exec_lo
	s_delay_alu instid0(SALU_CYCLE_1) | instskip(NEXT) | instid1(SALU_CYCLE_1)
	s_or_b32 s6, s2, s4
	s_and_b32 exec_lo, exec_lo, s6
	s_cbranch_execnz .LBB7_13
.LBB7_10:
	s_sendmsg sendmsg(MSG_DEALLOC_VGPRS)
	s_endpgm
.LBB7_11:
                                        ; implicit-def: $vgpr1
	s_cbranch_execnz .LBB7_9
.LBB7_12:
	s_delay_alu instid0(VALU_DEP_1)
	v_mov_b32_e32 v10, v1
	s_and_b32 exec_lo, exec_lo, s6
	s_cbranch_execz .LBB7_10
.LBB7_13:
	s_load_b256 s[4:11], s[0:1], 0x20
	s_wait_kmcnt 0x0
	s_cmp_eq_u64 s[6:7], 0
	global_load_b32 v20, v10, s[4:5] scale_offset
	s_cselect_b32 vcc_lo, -1, 0
	v_ashrrev_i32_e32 v11, 31, v10
	s_cmp_eq_u32 s3, 1
	s_delay_alu instid0(VALU_DEP_1) | instskip(SKIP_1) | instid1(VALU_DEP_2)
	v_lshlrev_b64_e32 v[4:5], 2, v[10:11]
	v_and_b32_e32 v11, 15, v0
	v_add_nc_u64_e32 v[6:7], s[4:5], v[4:5]
	v_add_nc_u64_e32 v[4:5], s[6:7], v[4:5]
	s_wait_xcnt 0x0
	s_load_b64 s[4:5], s[0:1], 0x40
	s_delay_alu instid0(VALU_DEP_2) | instskip(NEXT) | instid1(VALU_DEP_1)
	v_add_nc_u64_e32 v[6:7], 4, v[6:7]
	v_dual_cndmask_b32 v5, v5, v7 :: v_dual_cndmask_b32 v4, v4, v6
	global_load_b32 v4, v[4:5], off
	s_wait_loadcnt 0x1
	v_subrev_nc_u32_e32 v0, s12, v20
	s_delay_alu instid0(VALU_DEP_1) | instskip(NEXT) | instid1(VALU_DEP_1)
	v_add_nc_u32_e32 v14, v0, v11
	v_ashrrev_i32_e32 v15, 31, v14
	s_delay_alu instid0(VALU_DEP_1) | instskip(NEXT) | instid1(VALU_DEP_1)
	v_lshlrev_b64_e32 v[0:1], 7, v[14:15]
	v_add_nc_u64_e32 v[16:17], s[10:11], v[0:1]
	s_wait_loadcnt 0x0
	v_subrev_nc_u32_e32 v15, s12, v4
	s_delay_alu instid0(VALU_DEP_1)
	v_cmp_lt_i32_e64 s2, v14, v15
	s_cbranch_scc1 .LBB7_25
; %bb.14:
	v_mov_b64_e32 v[0:1], 0
	v_mov_b64_e32 v[6:7], 0
	;; [unrolled: 1-line block ×4, first 2 shown]
	s_and_saveexec_b32 s3, s2
	s_cbranch_execz .LBB7_24
; %bb.15:
	v_add_nc_u32_e32 v0, v20, v11
	v_not_b32_e32 v1, v20
	v_mov_b64_e32 v[4:5], 0
	v_mov_b64_e32 v[12:13], 0
	;; [unrolled: 1-line block ×3, first 2 shown]
	v_subrev_nc_u32_e32 v0, s12, v0
	v_mov_b32_e32 v21, v14
	s_delay_alu instid0(VALU_DEP_2) | instskip(NEXT) | instid1(VALU_DEP_1)
	v_add_max_i32_e64 v0, v0, 16, v15
	v_add3_u32 v0, s12, v0, v1
	s_delay_alu instid0(VALU_DEP_1) | instskip(SKIP_1) | instid1(VALU_DEP_2)
	v_sub_nc_u32_e32 v22, v0, v11
	v_mov_b64_e32 v[0:1], 0
	v_and_b32_e32 v18, 48, v22
	s_delay_alu instid0(VALU_DEP_1)
	v_cmp_ne_u32_e32 vcc_lo, 48, v18
	v_mov_b64_e32 v[18:19], v[16:17]
	s_and_saveexec_b32 s6, vcc_lo
	s_cbranch_execz .LBB7_19
; %bb.16:
	v_lshrrev_b32_e32 v0, 4, v22
	v_mov_b64_e32 v[18:19], v[16:17]
	v_mov_b64_e32 v[6:7], 0
	v_mov_b64_e32 v[12:13], 0
	s_mov_b32 s7, 0
	v_add_nc_u32_e32 v4, 1, v0
	v_mov_b64_e32 v[0:1], 0
	s_delay_alu instid0(VALU_DEP_2) | instskip(SKIP_1) | instid1(VALU_DEP_2)
	v_and_b32_e32 v21, 3, v4
	v_mov_b64_e32 v[4:5], 0
	v_dual_sub_nc_u32 v23, 0, v21 :: v_dual_mov_b32 v21, v14
.LBB7_17:                               ; =>This Inner Loop Header: Depth=1
	global_load_b32 v40, v21, s[8:9] scale_offset
	s_clause 0x3
	global_load_b128 v[24:27], v[18:19], off offset:48
	global_load_b128 v[28:31], v[18:19], off offset:32
	;; [unrolled: 1-line block ×3, first 2 shown]
	global_load_b128 v[36:39], v[18:19], off
	v_add_co_u32 v23, s10, v23, 1
	s_or_b32 s7, s10, s7
	s_wait_xcnt 0x4
	v_add_nc_u32_e32 v21, 16, v21
	global_load_b128 v[48:51], v[18:19], off offset:80
	s_wait_loadcnt 0x5
	v_subrev_nc_u32_e32 v44, s12, v40
	global_load_b128 v[40:43], v[18:19], off offset:112
	v_lshlrev_b32_e32 v52, 2, v44
	global_load_b128 v[44:47], v[18:19], off offset:96
	v_ashrrev_i32_e32 v53, 31, v52
	s_wait_kmcnt 0x0
	s_delay_alu instid0(VALU_DEP_1)
	v_lshl_add_u64 v[64:65], v[52:53], 3, s[4:5]
	global_load_b128 v[52:55], v[18:19], off offset:64
	s_clause 0x1
	global_load_b128 v[56:59], v[64:65], off
	global_load_b128 v[60:63], v[64:65], off offset:16
	s_wait_xcnt 0x2
	v_add_nc_u64_e32 v[18:19], 0x800, v[18:19]
	s_wait_loadcnt 0x1
	v_fmac_f64_e32 v[4:5], v[36:37], v[56:57]
	v_fmac_f64_e32 v[12:13], v[28:29], v[56:57]
	;; [unrolled: 1-line block ×4, first 2 shown]
	s_delay_alu instid0(VALU_DEP_4) | instskip(NEXT) | instid1(VALU_DEP_4)
	v_fmac_f64_e32 v[4:5], v[38:39], v[58:59]
	v_fmac_f64_e32 v[12:13], v[30:31], v[58:59]
	s_delay_alu instid0(VALU_DEP_4) | instskip(NEXT) | instid1(VALU_DEP_4)
	v_fmac_f64_e32 v[6:7], v[54:55], v[58:59]
	v_fmac_f64_e32 v[0:1], v[46:47], v[58:59]
	s_wait_loadcnt 0x0
	s_delay_alu instid0(VALU_DEP_4) | instskip(NEXT) | instid1(VALU_DEP_4)
	v_fmac_f64_e32 v[4:5], v[32:33], v[60:61]
	v_fmac_f64_e32 v[12:13], v[24:25], v[60:61]
	s_delay_alu instid0(VALU_DEP_4) | instskip(NEXT) | instid1(VALU_DEP_4)
	v_fmac_f64_e32 v[6:7], v[48:49], v[60:61]
	v_fmac_f64_e32 v[0:1], v[40:41], v[60:61]
	;; [unrolled: 3-line block ×4, first 2 shown]
	s_and_not1_b32 exec_lo, exec_lo, s7
	s_cbranch_execnz .LBB7_17
; %bb.18:
	s_or_b32 exec_lo, exec_lo, s7
.LBB7_19:
	s_delay_alu instid0(SALU_CYCLE_1) | instskip(NEXT) | instid1(SALU_CYCLE_1)
	s_or_b32 exec_lo, exec_lo, s6
	s_mov_b32 s6, exec_lo
	v_cmpx_lt_u32_e32 47, v22
	s_cbranch_execz .LBB7_23
; %bb.20:
	s_mov_b32 s7, 0
.LBB7_21:                               ; =>This Inner Loop Header: Depth=1
	s_clause 0x1
	global_load_b32 v122, v21, s[8:9] scale_offset
	global_load_b32 v123, v21, s[8:9] offset:64 scale_offset
	s_clause 0xf
	global_load_b128 v[22:25], v[18:19], off offset:48
	global_load_b128 v[26:29], v[18:19], off offset:32
	;; [unrolled: 1-line block ×3, first 2 shown]
	global_load_b128 v[34:37], v[18:19], off
	global_load_b128 v[38:41], v[18:19], off offset:112
	global_load_b128 v[42:45], v[18:19], off offset:96
	;; [unrolled: 1-line block ×12, first 2 shown]
	s_clause 0x1
	global_load_b32 v134, v21, s[8:9] offset:128 scale_offset
	global_load_b32 v135, v21, s[8:9] offset:192 scale_offset
	s_clause 0x8
	global_load_b128 v[86:89], v[18:19], off offset:4144
	global_load_b128 v[90:93], v[18:19], off offset:4128
	;; [unrolled: 1-line block ×9, first 2 shown]
	s_wait_xcnt 0x9
	v_add_nc_u32_e32 v21, 64, v21
	s_delay_alu instid0(VALU_DEP_1)
	v_cmp_ge_i32_e32 vcc_lo, v21, v15
	s_or_b32 s7, vcc_lo, s7
	s_wait_loadcnt 0x1c
	v_subrev_nc_u32_e32 v122, s12, v122
	s_wait_loadcnt 0x1b
	v_subrev_nc_u32_e32 v123, s12, v123
	s_delay_alu instid0(VALU_DEP_1) | instskip(NEXT) | instid1(VALU_DEP_1)
	v_dual_lshlrev_b32 v122, 2, v122 :: v_dual_lshlrev_b32 v124, 2, v123
	v_dual_ashrrev_i32 v123, 31, v122 :: v_dual_ashrrev_i32 v125, 31, v124
	s_wait_kmcnt 0x0
	s_delay_alu instid0(VALU_DEP_1) | instskip(NEXT) | instid1(VALU_DEP_2)
	v_lshl_add_u64 v[130:131], v[122:123], 3, s[4:5]
	v_lshl_add_u64 v[132:133], v[124:125], 3, s[4:5]
	s_clause 0x1
	global_load_b128 v[122:125], v[130:131], off
	global_load_b128 v[126:129], v[130:131], off offset:16
	s_wait_loadcnt 0xc
	s_wait_xcnt 0x0
	v_subrev_nc_u32_e32 v130, s12, v134
	s_delay_alu instid0(VALU_DEP_1) | instskip(NEXT) | instid1(VALU_DEP_1)
	v_lshlrev_b32_e32 v130, 2, v130
	v_ashrrev_i32_e32 v131, 31, v130
	s_delay_alu instid0(VALU_DEP_1)
	v_lshl_add_u64 v[130:131], v[130:131], 3, s[4:5]
	s_wait_loadcnt 0x1
	v_fmac_f64_e32 v[4:5], v[34:35], v[122:123]
	v_fmac_f64_e32 v[6:7], v[50:51], v[122:123]
	;; [unrolled: 1-line block ×4, first 2 shown]
	s_delay_alu instid0(VALU_DEP_4)
	v_fmac_f64_e32 v[4:5], v[36:37], v[124:125]
	global_load_b128 v[34:37], v[132:133], off
	v_fmac_f64_e32 v[6:7], v[52:53], v[124:125]
	global_load_b128 v[50:53], v[132:133], off offset:16
	v_fmac_f64_e32 v[12:13], v[28:29], v[124:125]
	global_load_b128 v[26:29], v[18:19], off offset:6176
	v_fmac_f64_e32 v[0:1], v[44:45], v[124:125]
	s_clause 0x1
	global_load_b128 v[42:45], v[18:19], off offset:6160
	global_load_b128 v[122:125], v[18:19], off offset:6144
	s_wait_loadcnt 0x5
	v_fmac_f64_e32 v[4:5], v[30:31], v[126:127]
	v_fmac_f64_e32 v[6:7], v[46:47], v[126:127]
	;; [unrolled: 1-line block ×4, first 2 shown]
	v_subrev_nc_u32_e32 v126, s12, v135
	s_delay_alu instid0(VALU_DEP_1) | instskip(NEXT) | instid1(VALU_DEP_1)
	v_lshlrev_b32_e32 v126, 2, v126
	v_ashrrev_i32_e32 v127, 31, v126
	s_delay_alu instid0(VALU_DEP_1)
	v_lshl_add_u64 v[134:135], v[126:127], 3, s[4:5]
	v_fmac_f64_e32 v[4:5], v[32:33], v[128:129]
	global_load_b128 v[30:33], v[130:131], off
	v_fmac_f64_e32 v[6:7], v[48:49], v[128:129]
	global_load_b128 v[46:49], v[18:19], off offset:6240
	v_fmac_f64_e32 v[12:13], v[24:25], v[128:129]
	global_load_b128 v[22:25], v[130:131], off offset:16
	;; [unrolled: 2-line block ×3, first 2 shown]
	global_load_b128 v[126:129], v[134:135], off
	s_wait_loadcnt 0x9
	v_fmac_f64_e32 v[4:5], v[66:67], v[34:35]
	v_fmac_f64_e32 v[12:13], v[58:59], v[34:35]
	v_fmac_f64_e32 v[6:7], v[82:83], v[34:35]
	v_fmac_f64_e32 v[0:1], v[74:75], v[34:35]
	s_delay_alu instid0(VALU_DEP_4)
	v_fmac_f64_e32 v[4:5], v[68:69], v[36:37]
	global_load_b128 v[66:69], v[18:19], off offset:6256
	v_fmac_f64_e32 v[12:13], v[60:61], v[36:37]
	global_load_b128 v[58:61], v[18:19], off offset:6224
	global_load_b128 v[130:133], v[134:135], off offset:16
	v_fmac_f64_e32 v[6:7], v[84:85], v[36:37]
	v_fmac_f64_e32 v[0:1], v[76:77], v[36:37]
	s_wait_xcnt 0x1
	v_add_nc_u64_e32 v[18:19], 0x2000, v[18:19]
	s_wait_loadcnt 0xb
	v_fmac_f64_e32 v[4:5], v[62:63], v[50:51]
	v_fmac_f64_e32 v[12:13], v[54:55], v[50:51]
	;; [unrolled: 1-line block ×4, first 2 shown]
	s_delay_alu instid0(VALU_DEP_4) | instskip(NEXT) | instid1(VALU_DEP_4)
	v_fmac_f64_e32 v[4:5], v[64:65], v[52:53]
	v_fmac_f64_e32 v[12:13], v[56:57], v[52:53]
	s_delay_alu instid0(VALU_DEP_4) | instskip(NEXT) | instid1(VALU_DEP_4)
	v_fmac_f64_e32 v[6:7], v[80:81], v[52:53]
	v_fmac_f64_e32 v[0:1], v[72:73], v[52:53]
	s_wait_loadcnt 0x7
	s_delay_alu instid0(VALU_DEP_4) | instskip(NEXT) | instid1(VALU_DEP_4)
	v_fmac_f64_e32 v[4:5], v[98:99], v[30:31]
	v_fmac_f64_e32 v[12:13], v[90:91], v[30:31]
	s_delay_alu instid0(VALU_DEP_4) | instskip(NEXT) | instid1(VALU_DEP_4)
	v_fmac_f64_e32 v[6:7], v[114:115], v[30:31]
	v_fmac_f64_e32 v[0:1], v[106:107], v[30:31]
	s_delay_alu instid0(VALU_DEP_4) | instskip(NEXT) | instid1(VALU_DEP_4)
	v_fmac_f64_e32 v[4:5], v[100:101], v[32:33]
	v_fmac_f64_e32 v[12:13], v[92:93], v[32:33]
	s_delay_alu instid0(VALU_DEP_4) | instskip(NEXT) | instid1(VALU_DEP_4)
	v_fmac_f64_e32 v[6:7], v[116:117], v[32:33]
	v_fmac_f64_e32 v[0:1], v[108:109], v[32:33]
	s_wait_loadcnt 0x5
	s_delay_alu instid0(VALU_DEP_4) | instskip(NEXT) | instid1(VALU_DEP_4)
	v_fmac_f64_e32 v[4:5], v[94:95], v[22:23]
	v_fmac_f64_e32 v[12:13], v[86:87], v[22:23]
	s_delay_alu instid0(VALU_DEP_4) | instskip(NEXT) | instid1(VALU_DEP_4)
	v_fmac_f64_e32 v[6:7], v[110:111], v[22:23]
	v_fmac_f64_e32 v[0:1], v[102:103], v[22:23]
	;; [unrolled: 13-line block ×4, first 2 shown]
	s_delay_alu instid0(VALU_DEP_4) | instskip(NEXT) | instid1(VALU_DEP_4)
	v_fmac_f64_e32 v[4:5], v[44:45], v[132:133]
	v_fmac_f64_e32 v[12:13], v[120:121], v[132:133]
	s_delay_alu instid0(VALU_DEP_4) | instskip(NEXT) | instid1(VALU_DEP_4)
	v_fmac_f64_e32 v[6:7], v[60:61], v[132:133]
	v_fmac_f64_e32 v[0:1], v[68:69], v[132:133]
	s_and_not1_b32 exec_lo, exec_lo, s7
	s_cbranch_execnz .LBB7_21
; %bb.22:
	s_or_b32 exec_lo, exec_lo, s7
.LBB7_23:
	s_delay_alu instid0(SALU_CYCLE_1)
	s_or_b32 exec_lo, exec_lo, s6
.LBB7_24:
	s_delay_alu instid0(SALU_CYCLE_1)
	s_or_b32 exec_lo, exec_lo, s3
	s_cbranch_execz .LBB7_26
	s_branch .LBB7_37
.LBB7_25:
                                        ; implicit-def: $vgpr0_vgpr1
                                        ; implicit-def: $vgpr6_vgpr7
                                        ; implicit-def: $vgpr12_vgpr13
                                        ; implicit-def: $vgpr4_vgpr5
.LBB7_26:
	v_mov_b64_e32 v[0:1], 0
	v_mov_b64_e32 v[6:7], 0
	;; [unrolled: 1-line block ×4, first 2 shown]
	s_and_saveexec_b32 s3, s2
	s_cbranch_execz .LBB7_36
; %bb.27:
	v_add_nc_u32_e32 v0, v20, v11
	v_not_b32_e32 v1, v20
	v_mov_b64_e32 v[4:5], 0
	v_mov_b64_e32 v[12:13], 0
	;; [unrolled: 1-line block ×3, first 2 shown]
	v_subrev_nc_u32_e32 v0, s12, v0
	s_mov_b32 s2, exec_lo
	s_delay_alu instid0(VALU_DEP_1) | instskip(NEXT) | instid1(VALU_DEP_1)
	v_add_max_i32_e64 v0, v0, 16, v15
	v_add3_u32 v0, s12, v0, v1
	s_delay_alu instid0(VALU_DEP_1) | instskip(SKIP_1) | instid1(VALU_DEP_2)
	v_sub_nc_u32_e32 v18, v0, v11
	v_mov_b64_e32 v[0:1], 0
	v_and_b32_e32 v19, 48, v18
	s_delay_alu instid0(VALU_DEP_1)
	v_cmpx_ne_u32_e32 48, v19
	s_cbranch_execz .LBB7_31
; %bb.28:
	v_lshrrev_b32_e32 v0, 4, v18
	v_mov_b64_e32 v[6:7], 0
	v_mov_b64_e32 v[12:13], 0
	;; [unrolled: 1-line block ×3, first 2 shown]
	s_mov_b32 s6, 0
	v_add_nc_u32_e32 v0, 1, v0
	s_delay_alu instid0(VALU_DEP_1) | instskip(SKIP_1) | instid1(VALU_DEP_2)
	v_and_b32_e32 v19, 3, v0
	v_mov_b64_e32 v[0:1], 0
	v_sub_nc_u32_e32 v19, 0, v19
.LBB7_29:                               ; =>This Inner Loop Header: Depth=1
	global_load_b32 v20, v14, s[8:9] scale_offset
	v_add_co_u32 v19, s7, v19, 1
	s_or_b32 s6, s7, s6
	s_wait_xcnt 0x0
	v_add_nc_u32_e32 v14, 16, v14
	s_wait_loadcnt 0x0
	v_subrev_nc_u32_e32 v20, s12, v20
	s_delay_alu instid0(VALU_DEP_1) | instskip(SKIP_3) | instid1(VALU_DEP_1)
	v_lshlrev_b32_e32 v24, 2, v20
	global_load_b128 v[20:23], v[16:17], off offset:16
	v_ashrrev_i32_e32 v25, 31, v24
	s_wait_kmcnt 0x0
	v_lshl_add_u64 v[60:61], v[24:25], 3, s[4:5]
	global_load_b128 v[24:27], v[16:17], off
	s_clause 0x1
	global_load_b128 v[28:31], v[60:61], off
	global_load_b128 v[32:35], v[60:61], off offset:16
	s_clause 0x5
	global_load_b128 v[36:39], v[16:17], off offset:32
	global_load_b128 v[40:43], v[16:17], off offset:48
	;; [unrolled: 1-line block ×6, first 2 shown]
	s_wait_xcnt 0x0
	v_add_nc_u64_e32 v[16:17], 0x800, v[16:17]
	s_wait_loadcnt 0x7
	v_fmac_f64_e32 v[4:5], v[24:25], v[28:29]
	v_fmac_f64_e32 v[12:13], v[26:27], v[28:29]
	;; [unrolled: 1-line block ×4, first 2 shown]
	s_wait_loadcnt 0x5
	s_delay_alu instid0(VALU_DEP_4) | instskip(NEXT) | instid1(VALU_DEP_4)
	v_fmac_f64_e32 v[4:5], v[36:37], v[30:31]
	v_fmac_f64_e32 v[12:13], v[38:39], v[30:31]
	s_wait_loadcnt 0x4
	s_delay_alu instid0(VALU_DEP_4) | instskip(NEXT) | instid1(VALU_DEP_4)
	v_fmac_f64_e32 v[6:7], v[40:41], v[30:31]
	v_fmac_f64_e32 v[0:1], v[42:43], v[30:31]
	;; [unrolled: 4-line block ×6, first 2 shown]
	s_and_not1_b32 exec_lo, exec_lo, s6
	s_cbranch_execnz .LBB7_29
; %bb.30:
	s_or_b32 exec_lo, exec_lo, s6
.LBB7_31:
	s_delay_alu instid0(SALU_CYCLE_1) | instskip(NEXT) | instid1(SALU_CYCLE_1)
	s_or_b32 exec_lo, exec_lo, s2
	s_mov_b32 s2, exec_lo
	v_cmpx_lt_u32_e32 47, v18
	s_cbranch_execz .LBB7_35
; %bb.32:
	s_mov_b32 s6, 0
.LBB7_33:                               ; =>This Inner Loop Header: Depth=1
	s_clause 0x2
	global_load_b32 v30, v14, s[8:9] scale_offset
	global_load_b32 v72, v14, s[8:9] offset:64 scale_offset
	global_load_b32 v100, v14, s[8:9] offset:128 scale_offset
	s_clause 0x2
	global_load_b128 v[18:21], v[16:17], off offset:32
	global_load_b128 v[22:25], v[16:17], off offset:16
	global_load_b128 v[26:29], v[16:17], off
	global_load_b32 v112, v14, s[8:9] offset:192 scale_offset
	s_wait_xcnt 0x0
	v_add_nc_u32_e32 v14, 64, v14
	s_delay_alu instid0(VALU_DEP_1) | instskip(SKIP_3) | instid1(VALU_DEP_1)
	v_cmp_ge_i32_e32 vcc_lo, v14, v15
	s_or_b32 s6, vcc_lo, s6
	s_wait_loadcnt 0x6
	v_subrev_nc_u32_e32 v30, s12, v30
	v_lshlrev_b32_e32 v30, 2, v30
	s_delay_alu instid0(VALU_DEP_1) | instskip(SKIP_1) | instid1(VALU_DEP_1)
	v_ashrrev_i32_e32 v31, 31, v30
	s_wait_kmcnt 0x0
	v_lshl_add_u64 v[70:71], v[30:31], 3, s[4:5]
	global_load_b128 v[30:33], v[70:71], off
	s_clause 0x5
	global_load_b128 v[34:37], v[16:17], off offset:48
	global_load_b128 v[38:41], v[16:17], off offset:112
	;; [unrolled: 1-line block ×7, first 2 shown]
	s_clause 0x1
	global_load_b128 v[62:65], v[16:17], off offset:2064
	global_load_b128 v[66:69], v[16:17], off offset:2048
	s_wait_loadcnt 0xf
	s_wait_xcnt 0x2
	v_subrev_nc_u32_e32 v70, s12, v72
	s_delay_alu instid0(VALU_DEP_1) | instskip(NEXT) | instid1(VALU_DEP_1)
	v_lshlrev_b32_e32 v70, 2, v70
	v_ashrrev_i32_e32 v71, 31, v70
	s_delay_alu instid0(VALU_DEP_1)
	v_lshl_add_u64 v[98:99], v[70:71], 3, s[4:5]
	global_load_b128 v[70:73], v[98:99], off
	s_clause 0x2
	global_load_b128 v[74:77], v[16:17], off offset:2096
	global_load_b128 v[78:81], v[16:17], off offset:2128
	;; [unrolled: 1-line block ×4, first 2 shown]
	s_clause 0x1
	global_load_b128 v[90:93], v[16:17], off offset:2144
	global_load_b128 v[94:97], v[16:17], off offset:2160
	s_wait_loadcnt 0x15
	s_wait_xcnt 0x2
	v_subrev_nc_u32_e32 v98, s12, v100
	s_delay_alu instid0(VALU_DEP_1) | instskip(SKIP_2) | instid1(VALU_DEP_1)
	v_lshlrev_b32_e32 v102, 2, v98
	global_load_b128 v[98:101], v[16:17], off offset:4112
	v_ashrrev_i32_e32 v103, 31, v102
	v_lshl_add_u64 v[110:111], v[102:103], 3, s[4:5]
	global_load_b128 v[102:105], v[16:17], off offset:4096
	global_load_b128 v[106:109], v[110:111], off
	s_wait_loadcnt 0x13
	v_fmac_f64_e32 v[4:5], v[26:27], v[30:31]
	v_fmac_f64_e32 v[12:13], v[28:29], v[30:31]
	global_load_b128 v[26:29], v[16:17], off offset:4128
	v_fmac_f64_e32 v[6:7], v[22:23], v[30:31]
	v_fmac_f64_e32 v[0:1], v[24:25], v[30:31]
	global_load_b128 v[22:25], v[16:17], off offset:4144
	;; [unrolled: 3-line block ×3, first 2 shown]
	s_wait_loadcnt 0x15
	v_fmac_f64_e32 v[6:7], v[34:35], v[32:33]
	v_fmac_f64_e32 v[0:1], v[36:37], v[32:33]
	global_load_b128 v[30:33], v[16:17], off offset:4176
	global_load_b128 v[34:37], v[110:111], off offset:16
	s_wait_loadcnt 0x11
	v_fmac_f64_e32 v[4:5], v[50:51], v[58:59]
	v_fmac_f64_e32 v[12:13], v[52:53], v[58:59]
	global_load_b128 v[50:53], v[16:17], off offset:4192
	v_fmac_f64_e32 v[6:7], v[46:47], v[58:59]
	v_fmac_f64_e32 v[0:1], v[48:49], v[58:59]
	global_load_b128 v[46:49], v[16:17], off offset:4208
	v_subrev_nc_u32_e32 v58, s12, v112
	s_delay_alu instid0(VALU_DEP_1) | instskip(NEXT) | instid1(VALU_DEP_1)
	v_lshlrev_b32_e32 v58, 2, v58
	v_ashrrev_i32_e32 v59, 31, v58
	s_wait_xcnt 0x2
	s_delay_alu instid0(VALU_DEP_1)
	v_lshl_add_u64 v[110:111], v[58:59], 3, s[4:5]
	v_fmac_f64_e32 v[4:5], v[42:43], v[60:61]
	v_fmac_f64_e32 v[12:13], v[44:45], v[60:61]
	global_load_b128 v[42:45], v[16:17], off offset:6160
	v_fmac_f64_e32 v[6:7], v[38:39], v[60:61]
	v_fmac_f64_e32 v[0:1], v[40:41], v[60:61]
	global_load_b128 v[38:41], v[16:17], off offset:6144
	global_load_b128 v[58:61], v[110:111], off
	s_wait_loadcnt 0x13
	v_fmac_f64_e32 v[4:5], v[66:67], v[70:71]
	v_fmac_f64_e32 v[12:13], v[68:69], v[70:71]
	global_load_b128 v[66:69], v[16:17], off offset:6176
	v_fmac_f64_e32 v[6:7], v[62:63], v[70:71]
	v_fmac_f64_e32 v[0:1], v[64:65], v[70:71]
	global_load_b128 v[62:65], v[16:17], off offset:6192
	;; [unrolled: 3-line block ×3, first 2 shown]
	s_wait_loadcnt 0x15
	v_fmac_f64_e32 v[6:7], v[74:75], v[72:73]
	v_fmac_f64_e32 v[0:1], v[76:77], v[72:73]
	global_load_b128 v[70:73], v[16:17], off offset:6224
	global_load_b128 v[74:77], v[110:111], off offset:16
	s_wait_loadcnt 0x14
	v_fmac_f64_e32 v[4:5], v[82:83], v[86:87]
	v_fmac_f64_e32 v[12:13], v[84:85], v[86:87]
	global_load_b128 v[82:85], v[16:17], off offset:6240
	v_fmac_f64_e32 v[6:7], v[78:79], v[86:87]
	v_fmac_f64_e32 v[0:1], v[80:81], v[86:87]
	global_load_b128 v[78:81], v[16:17], off offset:6256
	s_wait_xcnt 0x0
	v_add_nc_u64_e32 v[16:17], 0x2000, v[16:17]
	s_wait_loadcnt 0x15
	v_fmac_f64_e32 v[4:5], v[90:91], v[88:89]
	v_fmac_f64_e32 v[12:13], v[92:93], v[88:89]
	s_wait_loadcnt 0x14
	v_fmac_f64_e32 v[6:7], v[94:95], v[88:89]
	v_fmac_f64_e32 v[0:1], v[96:97], v[88:89]
	s_wait_loadcnt 0x11
	s_delay_alu instid0(VALU_DEP_4) | instskip(NEXT) | instid1(VALU_DEP_4)
	v_fmac_f64_e32 v[4:5], v[102:103], v[106:107]
	v_fmac_f64_e32 v[12:13], v[104:105], v[106:107]
	s_delay_alu instid0(VALU_DEP_4) | instskip(NEXT) | instid1(VALU_DEP_4)
	v_fmac_f64_e32 v[6:7], v[98:99], v[106:107]
	v_fmac_f64_e32 v[0:1], v[100:101], v[106:107]
	s_wait_loadcnt 0x10
	s_delay_alu instid0(VALU_DEP_4) | instskip(NEXT) | instid1(VALU_DEP_4)
	v_fmac_f64_e32 v[4:5], v[26:27], v[108:109]
	v_fmac_f64_e32 v[12:13], v[28:29], v[108:109]
	s_wait_loadcnt 0xf
	s_delay_alu instid0(VALU_DEP_4) | instskip(NEXT) | instid1(VALU_DEP_4)
	v_fmac_f64_e32 v[6:7], v[22:23], v[108:109]
	v_fmac_f64_e32 v[0:1], v[24:25], v[108:109]
	s_wait_loadcnt 0xc
	s_delay_alu instid0(VALU_DEP_4) | instskip(NEXT) | instid1(VALU_DEP_4)
	v_fmac_f64_e32 v[4:5], v[18:19], v[34:35]
	v_fmac_f64_e32 v[12:13], v[20:21], v[34:35]
	s_delay_alu instid0(VALU_DEP_4) | instskip(NEXT) | instid1(VALU_DEP_4)
	v_fmac_f64_e32 v[6:7], v[30:31], v[34:35]
	v_fmac_f64_e32 v[0:1], v[32:33], v[34:35]
	s_wait_loadcnt 0xb
	s_delay_alu instid0(VALU_DEP_4) | instskip(NEXT) | instid1(VALU_DEP_4)
	v_fmac_f64_e32 v[4:5], v[50:51], v[36:37]
	v_fmac_f64_e32 v[12:13], v[52:53], v[36:37]
	s_wait_loadcnt 0xa
	s_delay_alu instid0(VALU_DEP_4) | instskip(NEXT) | instid1(VALU_DEP_4)
	;; [unrolled: 15-line block ×4, first 2 shown]
	v_fmac_f64_e32 v[6:7], v[78:79], v[76:77]
	v_fmac_f64_e32 v[0:1], v[80:81], v[76:77]
	s_and_not1_b32 exec_lo, exec_lo, s6
	s_cbranch_execnz .LBB7_33
; %bb.34:
	s_or_b32 exec_lo, exec_lo, s6
.LBB7_35:
	s_delay_alu instid0(SALU_CYCLE_1)
	s_or_b32 exec_lo, exec_lo, s2
.LBB7_36:
	s_delay_alu instid0(SALU_CYCLE_1)
	s_or_b32 exec_lo, exec_lo, s3
.LBB7_37:
	v_mbcnt_lo_u32_b32 v24, -1, 0
	s_delay_alu instid0(VALU_DEP_1) | instskip(NEXT) | instid1(VALU_DEP_1)
	v_xor_b32_e32 v14, 8, v24
	v_cmp_gt_i32_e32 vcc_lo, 32, v14
	v_cndmask_b32_e32 v14, v24, v14, vcc_lo
	s_delay_alu instid0(VALU_DEP_1)
	v_lshlrev_b32_e32 v21, 2, v14
	ds_bpermute_b32 v16, v21, v12
	ds_bpermute_b32 v17, v21, v13
	s_wait_dscnt 0x0
	v_add_f64_e32 v[12:13], v[12:13], v[16:17]
	ds_bpermute_b32 v14, v21, v4
	ds_bpermute_b32 v15, v21, v5
	;; [unrolled: 1-line block ×6, first 2 shown]
	s_wait_dscnt 0x4
	v_dual_add_f64 v[4:5], v[4:5], v[14:15] :: v_dual_bitop2_b32 v14, 4, v24 bitop3:0x14
	s_wait_dscnt 0x2
	v_add_f64_e32 v[6:7], v[6:7], v[18:19]
	s_delay_alu instid0(VALU_DEP_2) | instskip(SKIP_2) | instid1(VALU_DEP_1)
	v_cmp_gt_i32_e32 vcc_lo, 32, v14
	v_cndmask_b32_e32 v14, v24, v14, vcc_lo
	s_wait_dscnt 0x0
	v_dual_add_f64 v[0:1], v[0:1], v[20:21] :: v_dual_lshlrev_b32 v21, 2, v14
	ds_bpermute_b32 v16, v21, v12
	ds_bpermute_b32 v17, v21, v13
	;; [unrolled: 1-line block ×8, first 2 shown]
	s_wait_dscnt 0x4
	v_add_f64_e32 v[4:5], v[4:5], v[14:15]
	v_add_f64_e32 v[14:15], v[12:13], v[16:17]
	s_wait_dscnt 0x2
	v_add_f64_e32 v[16:17], v[6:7], v[18:19]
	s_wait_dscnt 0x0
	v_add_f64_e32 v[18:19], v[0:1], v[20:21]
	v_xor_b32_e32 v0, 2, v24
	s_delay_alu instid0(VALU_DEP_1) | instskip(SKIP_1) | instid1(VALU_DEP_1)
	v_cmp_gt_i32_e32 vcc_lo, 32, v0
	v_cndmask_b32_e32 v0, v24, v0, vcc_lo
	v_lshlrev_b32_e32 v12, 2, v0
	ds_bpermute_b32 v6, v12, v14
	ds_bpermute_b32 v7, v12, v15
	;; [unrolled: 1-line block ×4, first 2 shown]
	s_wait_dscnt 0x2
	v_dual_add_f64 v[6:7], v[14:15], v[6:7] :: v_dual_bitop2_b32 v14, 1, v24 bitop3:0x14
	ds_bpermute_b32 v20, v12, v16
	ds_bpermute_b32 v21, v12, v17
	v_cmp_gt_i32_e32 vcc_lo, 32, v14
	v_cndmask_b32_e32 v14, v24, v14, vcc_lo
	v_cmp_eq_u32_e32 vcc_lo, 15, v11
	s_delay_alu instid0(VALU_DEP_2)
	v_lshlrev_b32_e32 v15, 2, v14
	ds_bpermute_b32 v22, v12, v18
	ds_bpermute_b32 v23, v12, v19
	s_wait_dscnt 0x4
	v_add_f64_e32 v[12:13], v[4:5], v[0:1]
	s_wait_dscnt 0x2
	v_add_f64_e32 v[0:1], v[16:17], v[20:21]
	;; [unrolled: 2-line block ×3, first 2 shown]
	ds_bpermute_b32 v18, v15, v6
	ds_bpermute_b32 v19, v15, v7
	;; [unrolled: 1-line block ×8, first 2 shown]
	s_and_b32 exec_lo, exec_lo, vcc_lo
	s_cbranch_execz .LBB7_10
; %bb.38:
	s_wait_dscnt 0x4
	v_dual_add_f64 v[12:13], v[12:13], v[20:21] :: v_dual_lshlrev_b32 v10, 2, v10
	v_add_f64_e32 v[6:7], v[6:7], v[18:19]
	s_wait_dscnt 0x2
	v_add_f64_e32 v[0:1], v[0:1], v[16:17]
	s_wait_dscnt 0x0
	v_add_f64_e32 v[14:15], v[4:5], v[14:15]
	s_load_b64 s[0:1], s[0:1], 0x50
	s_mov_b32 s2, exec_lo
	s_delay_alu instid0(VALU_DEP_4) | instskip(NEXT) | instid1(VALU_DEP_4)
	v_mul_f64_e32 v[4:5], v[2:3], v[12:13]
	v_mul_f64_e32 v[6:7], v[2:3], v[6:7]
	s_delay_alu instid0(VALU_DEP_4) | instskip(NEXT) | instid1(VALU_DEP_4)
	v_mul_f64_e32 v[0:1], v[2:3], v[0:1]
	v_mul_f64_e32 v[2:3], v[2:3], v[14:15]
	v_cmpx_eq_f64_e32 0, v[8:9]
	s_xor_b32 s2, exec_lo, s2
	s_cbranch_execz .LBB7_40
; %bb.39:
	v_ashrrev_i32_e32 v11, 31, v10
	s_wait_kmcnt 0x0
	s_delay_alu instid0(VALU_DEP_1)
	v_lshl_add_u64 v[8:9], v[10:11], 3, s[0:1]
                                        ; implicit-def: $vgpr10
	s_clause 0x1
	global_store_b128 v[8:9], v[4:7], off
	global_store_b128 v[8:9], v[0:3], off offset:16
                                        ; implicit-def: $vgpr8_vgpr9
                                        ; implicit-def: $vgpr4_vgpr5
                                        ; implicit-def: $vgpr0_vgpr1
.LBB7_40:
	s_wait_xcnt 0x0
	s_and_not1_saveexec_b32 s2, s2
	s_cbranch_execz .LBB7_10
; %bb.41:
	v_ashrrev_i32_e32 v11, 31, v10
	s_wait_kmcnt 0x0
	s_delay_alu instid0(VALU_DEP_1)
	v_lshl_add_u64 v[18:19], v[10:11], 3, s[0:1]
	s_clause 0x1
	global_load_b128 v[10:13], v[18:19], off
	global_load_b128 v[14:17], v[18:19], off offset:16
	s_wait_loadcnt 0x1
	v_fmac_f64_e32 v[4:5], v[8:9], v[10:11]
	v_fmac_f64_e32 v[6:7], v[8:9], v[12:13]
	s_wait_loadcnt 0x0
	v_fmac_f64_e32 v[0:1], v[8:9], v[14:15]
	v_fmac_f64_e32 v[2:3], v[8:9], v[16:17]
	s_clause 0x1
	global_store_b128 v[18:19], v[4:7], off
	global_store_b128 v[18:19], v[0:3], off offset:16
	s_sendmsg sendmsg(MSG_DEALLOC_VGPRS)
	s_endpgm
	.section	.rodata,"a",@progbits
	.p2align	6, 0x0
	.amdhsa_kernel _ZN9rocsparseL18bsrxmvn_4x4_kernelILj128ELj16EdiidddEEvT3_20rocsparse_direction_NS_24const_host_device_scalarIT1_EES1_PKS1_PKT2_SA_S7_PKT4_PKT5_S5_PT6_21rocsparse_index_base_b
		.amdhsa_group_segment_fixed_size 0
		.amdhsa_private_segment_fixed_size 0
		.amdhsa_kernarg_size 96
		.amdhsa_user_sgpr_count 2
		.amdhsa_user_sgpr_dispatch_ptr 0
		.amdhsa_user_sgpr_queue_ptr 0
		.amdhsa_user_sgpr_kernarg_segment_ptr 1
		.amdhsa_user_sgpr_dispatch_id 0
		.amdhsa_user_sgpr_kernarg_preload_length 0
		.amdhsa_user_sgpr_kernarg_preload_offset 0
		.amdhsa_user_sgpr_private_segment_size 0
		.amdhsa_wavefront_size32 1
		.amdhsa_uses_dynamic_stack 0
		.amdhsa_enable_private_segment 0
		.amdhsa_system_sgpr_workgroup_id_x 1
		.amdhsa_system_sgpr_workgroup_id_y 0
		.amdhsa_system_sgpr_workgroup_id_z 0
		.amdhsa_system_sgpr_workgroup_info 0
		.amdhsa_system_vgpr_workitem_id 0
		.amdhsa_next_free_vgpr 136
		.amdhsa_next_free_sgpr 14
		.amdhsa_named_barrier_count 0
		.amdhsa_reserve_vcc 1
		.amdhsa_float_round_mode_32 0
		.amdhsa_float_round_mode_16_64 0
		.amdhsa_float_denorm_mode_32 3
		.amdhsa_float_denorm_mode_16_64 3
		.amdhsa_fp16_overflow 0
		.amdhsa_memory_ordered 1
		.amdhsa_forward_progress 1
		.amdhsa_inst_pref_size 36
		.amdhsa_round_robin_scheduling 0
		.amdhsa_exception_fp_ieee_invalid_op 0
		.amdhsa_exception_fp_denorm_src 0
		.amdhsa_exception_fp_ieee_div_zero 0
		.amdhsa_exception_fp_ieee_overflow 0
		.amdhsa_exception_fp_ieee_underflow 0
		.amdhsa_exception_fp_ieee_inexact 0
		.amdhsa_exception_int_div_zero 0
	.end_amdhsa_kernel
	.section	.text._ZN9rocsparseL18bsrxmvn_4x4_kernelILj128ELj16EdiidddEEvT3_20rocsparse_direction_NS_24const_host_device_scalarIT1_EES1_PKS1_PKT2_SA_S7_PKT4_PKT5_S5_PT6_21rocsparse_index_base_b,"axG",@progbits,_ZN9rocsparseL18bsrxmvn_4x4_kernelILj128ELj16EdiidddEEvT3_20rocsparse_direction_NS_24const_host_device_scalarIT1_EES1_PKS1_PKT2_SA_S7_PKT4_PKT5_S5_PT6_21rocsparse_index_base_b,comdat
.Lfunc_end7:
	.size	_ZN9rocsparseL18bsrxmvn_4x4_kernelILj128ELj16EdiidddEEvT3_20rocsparse_direction_NS_24const_host_device_scalarIT1_EES1_PKS1_PKT2_SA_S7_PKT4_PKT5_S5_PT6_21rocsparse_index_base_b, .Lfunc_end7-_ZN9rocsparseL18bsrxmvn_4x4_kernelILj128ELj16EdiidddEEvT3_20rocsparse_direction_NS_24const_host_device_scalarIT1_EES1_PKS1_PKT2_SA_S7_PKT4_PKT5_S5_PT6_21rocsparse_index_base_b
                                        ; -- End function
	.set _ZN9rocsparseL18bsrxmvn_4x4_kernelILj128ELj16EdiidddEEvT3_20rocsparse_direction_NS_24const_host_device_scalarIT1_EES1_PKS1_PKT2_SA_S7_PKT4_PKT5_S5_PT6_21rocsparse_index_base_b.num_vgpr, 136
	.set _ZN9rocsparseL18bsrxmvn_4x4_kernelILj128ELj16EdiidddEEvT3_20rocsparse_direction_NS_24const_host_device_scalarIT1_EES1_PKS1_PKT2_SA_S7_PKT4_PKT5_S5_PT6_21rocsparse_index_base_b.num_agpr, 0
	.set _ZN9rocsparseL18bsrxmvn_4x4_kernelILj128ELj16EdiidddEEvT3_20rocsparse_direction_NS_24const_host_device_scalarIT1_EES1_PKS1_PKT2_SA_S7_PKT4_PKT5_S5_PT6_21rocsparse_index_base_b.numbered_sgpr, 14
	.set _ZN9rocsparseL18bsrxmvn_4x4_kernelILj128ELj16EdiidddEEvT3_20rocsparse_direction_NS_24const_host_device_scalarIT1_EES1_PKS1_PKT2_SA_S7_PKT4_PKT5_S5_PT6_21rocsparse_index_base_b.num_named_barrier, 0
	.set _ZN9rocsparseL18bsrxmvn_4x4_kernelILj128ELj16EdiidddEEvT3_20rocsparse_direction_NS_24const_host_device_scalarIT1_EES1_PKS1_PKT2_SA_S7_PKT4_PKT5_S5_PT6_21rocsparse_index_base_b.private_seg_size, 0
	.set _ZN9rocsparseL18bsrxmvn_4x4_kernelILj128ELj16EdiidddEEvT3_20rocsparse_direction_NS_24const_host_device_scalarIT1_EES1_PKS1_PKT2_SA_S7_PKT4_PKT5_S5_PT6_21rocsparse_index_base_b.uses_vcc, 1
	.set _ZN9rocsparseL18bsrxmvn_4x4_kernelILj128ELj16EdiidddEEvT3_20rocsparse_direction_NS_24const_host_device_scalarIT1_EES1_PKS1_PKT2_SA_S7_PKT4_PKT5_S5_PT6_21rocsparse_index_base_b.uses_flat_scratch, 0
	.set _ZN9rocsparseL18bsrxmvn_4x4_kernelILj128ELj16EdiidddEEvT3_20rocsparse_direction_NS_24const_host_device_scalarIT1_EES1_PKS1_PKT2_SA_S7_PKT4_PKT5_S5_PT6_21rocsparse_index_base_b.has_dyn_sized_stack, 0
	.set _ZN9rocsparseL18bsrxmvn_4x4_kernelILj128ELj16EdiidddEEvT3_20rocsparse_direction_NS_24const_host_device_scalarIT1_EES1_PKS1_PKT2_SA_S7_PKT4_PKT5_S5_PT6_21rocsparse_index_base_b.has_recursion, 0
	.set _ZN9rocsparseL18bsrxmvn_4x4_kernelILj128ELj16EdiidddEEvT3_20rocsparse_direction_NS_24const_host_device_scalarIT1_EES1_PKS1_PKT2_SA_S7_PKT4_PKT5_S5_PT6_21rocsparse_index_base_b.has_indirect_call, 0
	.section	.AMDGPU.csdata,"",@progbits
; Kernel info:
; codeLenInByte = 4492
; TotalNumSgprs: 16
; NumVgprs: 136
; ScratchSize: 0
; MemoryBound: 1
; FloatMode: 240
; IeeeMode: 1
; LDSByteSize: 0 bytes/workgroup (compile time only)
; SGPRBlocks: 0
; VGPRBlocks: 8
; NumSGPRsForWavesPerEU: 16
; NumVGPRsForWavesPerEU: 136
; NamedBarCnt: 0
; Occupancy: 7
; WaveLimiterHint : 1
; COMPUTE_PGM_RSRC2:SCRATCH_EN: 0
; COMPUTE_PGM_RSRC2:USER_SGPR: 2
; COMPUTE_PGM_RSRC2:TRAP_HANDLER: 0
; COMPUTE_PGM_RSRC2:TGID_X_EN: 1
; COMPUTE_PGM_RSRC2:TGID_Y_EN: 0
; COMPUTE_PGM_RSRC2:TGID_Z_EN: 0
; COMPUTE_PGM_RSRC2:TIDIG_COMP_CNT: 0
	.section	.text._ZN9rocsparseL18bsrxmvn_4x4_kernelILj128ELj32EdiidddEEvT3_20rocsparse_direction_NS_24const_host_device_scalarIT1_EES1_PKS1_PKT2_SA_S7_PKT4_PKT5_S5_PT6_21rocsparse_index_base_b,"axG",@progbits,_ZN9rocsparseL18bsrxmvn_4x4_kernelILj128ELj32EdiidddEEvT3_20rocsparse_direction_NS_24const_host_device_scalarIT1_EES1_PKS1_PKT2_SA_S7_PKT4_PKT5_S5_PT6_21rocsparse_index_base_b,comdat
	.globl	_ZN9rocsparseL18bsrxmvn_4x4_kernelILj128ELj32EdiidddEEvT3_20rocsparse_direction_NS_24const_host_device_scalarIT1_EES1_PKS1_PKT2_SA_S7_PKT4_PKT5_S5_PT6_21rocsparse_index_base_b ; -- Begin function _ZN9rocsparseL18bsrxmvn_4x4_kernelILj128ELj32EdiidddEEvT3_20rocsparse_direction_NS_24const_host_device_scalarIT1_EES1_PKS1_PKT2_SA_S7_PKT4_PKT5_S5_PT6_21rocsparse_index_base_b
	.p2align	8
	.type	_ZN9rocsparseL18bsrxmvn_4x4_kernelILj128ELj32EdiidddEEvT3_20rocsparse_direction_NS_24const_host_device_scalarIT1_EES1_PKS1_PKT2_SA_S7_PKT4_PKT5_S5_PT6_21rocsparse_index_base_b,@function
_ZN9rocsparseL18bsrxmvn_4x4_kernelILj128ELj32EdiidddEEvT3_20rocsparse_direction_NS_24const_host_device_scalarIT1_EES1_PKS1_PKT2_SA_S7_PKT4_PKT5_S5_PT6_21rocsparse_index_base_b: ; @_ZN9rocsparseL18bsrxmvn_4x4_kernelILj128ELj32EdiidddEEvT3_20rocsparse_direction_NS_24const_host_device_scalarIT1_EES1_PKS1_PKT2_SA_S7_PKT4_PKT5_S5_PT6_21rocsparse_index_base_b
; %bb.0:
	s_clause 0x2
	s_load_b64 s[12:13], s[0:1], 0x58
	s_load_b64 s[4:5], s[0:1], 0x8
	;; [unrolled: 1-line block ×3, first 2 shown]
	s_wait_kmcnt 0x0
	s_bitcmp1_b32 s13, 0
	v_mov_b64_e32 v[2:3], s[4:5]
	s_cselect_b32 s6, -1, 0
	s_delay_alu instid0(SALU_CYCLE_1)
	s_and_b32 vcc_lo, exec_lo, s6
	s_xor_b32 s6, s6, -1
	s_cbranch_vccnz .LBB8_2
; %bb.1:
	v_mov_b32_e32 v1, 0
	flat_load_b64 v[2:3], v1, s[4:5]
.LBB8_2:
	v_mov_b64_e32 v[8:9], s[2:3]
	s_and_not1_b32 vcc_lo, exec_lo, s6
	s_cbranch_vccnz .LBB8_4
; %bb.3:
	s_wait_xcnt 0x0
	v_mov_b32_e32 v1, 0
	flat_load_b64 v[8:9], v1, s[2:3]
.LBB8_4:
	s_wait_loadcnt_dscnt 0x0
	v_cmp_neq_f64_e32 vcc_lo, 0, v[2:3]
	s_delay_alu instid0(VALU_DEP_2) | instskip(SKIP_1) | instid1(SALU_CYCLE_1)
	v_cmp_neq_f64_e64 s2, 1.0, v[8:9]
	s_or_b32 s2, vcc_lo, s2
	s_and_saveexec_b32 s3, s2
	s_cbranch_execz .LBB8_10
; %bb.5:
	s_clause 0x1
	s_load_b64 s[4:5], s[0:1], 0x18
	s_load_b64 s[2:3], s[0:1], 0x0
	s_bfe_u32 s6, ttmp6, 0x4000c
	s_and_b32 s7, ttmp6, 15
	s_add_co_i32 s6, s6, 1
	s_getreg_b32 s8, hwreg(HW_REG_IB_STS2, 6, 4)
	s_mul_i32 s6, ttmp9, s6
	v_lshrrev_b32_e32 v1, 5, v0
	s_add_co_i32 s7, s7, s6
	s_cmp_eq_u32 s8, 0
	s_cselect_b32 s6, ttmp9, s7
	s_delay_alu instid0(VALU_DEP_1) | instid1(SALU_CYCLE_1)
	v_lshl_or_b32 v10, s6, 2, v1
	s_mov_b32 s6, 0
	s_wait_kmcnt 0x0
	s_cmp_lg_u64 s[4:5], 0
	s_cbranch_scc0 .LBB8_11
; %bb.6:
	s_load_b32 s6, s[0:1], 0x10
	s_mov_b32 s7, 0
                                        ; implicit-def: $vgpr1
	s_wait_kmcnt 0x0
	v_cmp_gt_i32_e32 vcc_lo, s6, v10
	s_mov_b32 s6, 0
	s_and_saveexec_b32 s8, vcc_lo
	s_delay_alu instid0(SALU_CYCLE_1)
	s_xor_b32 s8, exec_lo, s8
	s_cbranch_execz .LBB8_8
; %bb.7:
	global_load_b32 v1, v10, s[4:5] scale_offset
	s_mov_b32 s6, exec_lo
	s_wait_loadcnt 0x0
	v_subrev_nc_u32_e32 v1, s12, v1
.LBB8_8:
	s_or_b32 exec_lo, exec_lo, s8
	s_delay_alu instid0(SALU_CYCLE_1)
	s_and_b32 vcc_lo, exec_lo, s7
	s_cbranch_vccz .LBB8_12
.LBB8_9:
	v_cmp_gt_i32_e32 vcc_lo, s2, v10
	s_and_not1_b32 s2, s6, exec_lo
	s_and_b32 s4, vcc_lo, exec_lo
	s_delay_alu instid0(SALU_CYCLE_1) | instskip(NEXT) | instid1(SALU_CYCLE_1)
	s_or_b32 s6, s2, s4
	s_and_b32 exec_lo, exec_lo, s6
	s_cbranch_execnz .LBB8_13
.LBB8_10:
	s_sendmsg sendmsg(MSG_DEALLOC_VGPRS)
	s_endpgm
.LBB8_11:
                                        ; implicit-def: $vgpr1
	s_cbranch_execnz .LBB8_9
.LBB8_12:
	s_delay_alu instid0(VALU_DEP_1)
	v_mov_b32_e32 v10, v1
	s_and_b32 exec_lo, exec_lo, s6
	s_cbranch_execz .LBB8_10
.LBB8_13:
	s_load_b256 s[4:11], s[0:1], 0x20
	s_wait_kmcnt 0x0
	s_cmp_eq_u64 s[6:7], 0
	global_load_b32 v20, v10, s[4:5] scale_offset
	s_cselect_b32 vcc_lo, -1, 0
	v_ashrrev_i32_e32 v11, 31, v10
	s_cmp_eq_u32 s3, 1
	s_delay_alu instid0(VALU_DEP_1) | instskip(SKIP_1) | instid1(VALU_DEP_2)
	v_lshlrev_b64_e32 v[4:5], 2, v[10:11]
	v_and_b32_e32 v11, 31, v0
	v_add_nc_u64_e32 v[6:7], s[4:5], v[4:5]
	v_add_nc_u64_e32 v[4:5], s[6:7], v[4:5]
	s_wait_xcnt 0x0
	s_load_b64 s[4:5], s[0:1], 0x40
	s_delay_alu instid0(VALU_DEP_2) | instskip(NEXT) | instid1(VALU_DEP_1)
	v_add_nc_u64_e32 v[6:7], 4, v[6:7]
	v_dual_cndmask_b32 v5, v5, v7 :: v_dual_cndmask_b32 v4, v4, v6
	global_load_b32 v4, v[4:5], off
	s_wait_loadcnt 0x1
	v_subrev_nc_u32_e32 v0, s12, v20
	s_delay_alu instid0(VALU_DEP_1) | instskip(NEXT) | instid1(VALU_DEP_1)
	v_add_nc_u32_e32 v14, v0, v11
	v_ashrrev_i32_e32 v15, 31, v14
	s_delay_alu instid0(VALU_DEP_1) | instskip(NEXT) | instid1(VALU_DEP_1)
	v_lshlrev_b64_e32 v[0:1], 7, v[14:15]
	v_add_nc_u64_e32 v[16:17], s[10:11], v[0:1]
	s_wait_loadcnt 0x0
	v_subrev_nc_u32_e32 v15, s12, v4
	s_delay_alu instid0(VALU_DEP_1)
	v_cmp_lt_i32_e64 s2, v14, v15
	s_cbranch_scc1 .LBB8_25
; %bb.14:
	v_mov_b64_e32 v[0:1], 0
	v_mov_b64_e32 v[6:7], 0
	;; [unrolled: 1-line block ×4, first 2 shown]
	s_and_saveexec_b32 s3, s2
	s_cbranch_execz .LBB8_24
; %bb.15:
	v_dual_mov_b32 v21, v14 :: v_dual_add_nc_u32 v0, v20, v11
	v_not_b32_e32 v1, v20
	v_mov_b64_e32 v[4:5], 0
	v_mov_b64_e32 v[12:13], 0
	s_delay_alu instid0(VALU_DEP_4) | instskip(SKIP_1) | instid1(VALU_DEP_2)
	v_subrev_nc_u32_e32 v0, s12, v0
	v_mov_b64_e32 v[6:7], 0
	v_add_max_i32_e64 v0, v0, 32, v15
	s_delay_alu instid0(VALU_DEP_1) | instskip(NEXT) | instid1(VALU_DEP_1)
	v_add3_u32 v0, s12, v0, v1
	v_sub_nc_u32_e32 v22, v0, v11
	v_mov_b64_e32 v[0:1], 0
	s_delay_alu instid0(VALU_DEP_2) | instskip(NEXT) | instid1(VALU_DEP_1)
	v_and_b32_e32 v18, 0x60, v22
	v_cmp_ne_u32_e32 vcc_lo, 0x60, v18
	v_mov_b64_e32 v[18:19], v[16:17]
	s_and_saveexec_b32 s6, vcc_lo
	s_cbranch_execz .LBB8_19
; %bb.16:
	v_lshrrev_b32_e32 v0, 5, v22
	v_mov_b64_e32 v[18:19], v[16:17]
	v_mov_b64_e32 v[6:7], 0
	;; [unrolled: 1-line block ×3, first 2 shown]
	s_mov_b32 s7, 0
	v_add_nc_u32_e32 v4, 1, v0
	v_mov_b64_e32 v[0:1], 0
	s_delay_alu instid0(VALU_DEP_2) | instskip(SKIP_1) | instid1(VALU_DEP_2)
	v_and_b32_e32 v21, 3, v4
	v_mov_b64_e32 v[4:5], 0
	v_dual_sub_nc_u32 v23, 0, v21 :: v_dual_mov_b32 v21, v14
.LBB8_17:                               ; =>This Inner Loop Header: Depth=1
	global_load_b32 v40, v21, s[8:9] scale_offset
	s_clause 0x3
	global_load_b128 v[24:27], v[18:19], off offset:48
	global_load_b128 v[28:31], v[18:19], off offset:32
	;; [unrolled: 1-line block ×3, first 2 shown]
	global_load_b128 v[36:39], v[18:19], off
	v_add_co_u32 v23, s10, v23, 1
	s_or_b32 s7, s10, s7
	s_wait_xcnt 0x4
	v_add_nc_u32_e32 v21, 32, v21
	global_load_b128 v[48:51], v[18:19], off offset:80
	s_wait_loadcnt 0x5
	v_subrev_nc_u32_e32 v44, s12, v40
	global_load_b128 v[40:43], v[18:19], off offset:112
	v_lshlrev_b32_e32 v52, 2, v44
	global_load_b128 v[44:47], v[18:19], off offset:96
	v_ashrrev_i32_e32 v53, 31, v52
	s_wait_kmcnt 0x0
	s_delay_alu instid0(VALU_DEP_1)
	v_lshl_add_u64 v[64:65], v[52:53], 3, s[4:5]
	global_load_b128 v[52:55], v[18:19], off offset:64
	s_clause 0x1
	global_load_b128 v[56:59], v[64:65], off
	global_load_b128 v[60:63], v[64:65], off offset:16
	s_wait_xcnt 0x2
	v_add_nc_u64_e32 v[18:19], 0x1000, v[18:19]
	s_wait_loadcnt 0x1
	v_fmac_f64_e32 v[4:5], v[36:37], v[56:57]
	v_fmac_f64_e32 v[12:13], v[28:29], v[56:57]
	v_fmac_f64_e32 v[6:7], v[52:53], v[56:57]
	v_fmac_f64_e32 v[0:1], v[44:45], v[56:57]
	s_delay_alu instid0(VALU_DEP_4) | instskip(NEXT) | instid1(VALU_DEP_4)
	v_fmac_f64_e32 v[4:5], v[38:39], v[58:59]
	v_fmac_f64_e32 v[12:13], v[30:31], v[58:59]
	s_delay_alu instid0(VALU_DEP_4) | instskip(NEXT) | instid1(VALU_DEP_4)
	v_fmac_f64_e32 v[6:7], v[54:55], v[58:59]
	v_fmac_f64_e32 v[0:1], v[46:47], v[58:59]
	s_wait_loadcnt 0x0
	s_delay_alu instid0(VALU_DEP_4) | instskip(NEXT) | instid1(VALU_DEP_4)
	v_fmac_f64_e32 v[4:5], v[32:33], v[60:61]
	v_fmac_f64_e32 v[12:13], v[24:25], v[60:61]
	s_delay_alu instid0(VALU_DEP_4) | instskip(NEXT) | instid1(VALU_DEP_4)
	v_fmac_f64_e32 v[6:7], v[48:49], v[60:61]
	v_fmac_f64_e32 v[0:1], v[40:41], v[60:61]
	;; [unrolled: 3-line block ×4, first 2 shown]
	s_and_not1_b32 exec_lo, exec_lo, s7
	s_cbranch_execnz .LBB8_17
; %bb.18:
	s_or_b32 exec_lo, exec_lo, s7
.LBB8_19:
	s_delay_alu instid0(SALU_CYCLE_1) | instskip(NEXT) | instid1(SALU_CYCLE_1)
	s_or_b32 exec_lo, exec_lo, s6
	s_mov_b32 s6, exec_lo
	v_cmpx_lt_u32_e32 0x5f, v22
	s_cbranch_execz .LBB8_23
; %bb.20:
	s_mov_b32 s7, 0
.LBB8_21:                               ; =>This Inner Loop Header: Depth=1
	s_clause 0x1
	global_load_b32 v122, v21, s[8:9] scale_offset
	global_load_b32 v123, v21, s[8:9] offset:128 scale_offset
	s_clause 0xf
	global_load_b128 v[22:25], v[18:19], off offset:48
	global_load_b128 v[26:29], v[18:19], off offset:32
	;; [unrolled: 1-line block ×3, first 2 shown]
	global_load_b128 v[34:37], v[18:19], off
	global_load_b128 v[38:41], v[18:19], off offset:112
	global_load_b128 v[42:45], v[18:19], off offset:96
	;; [unrolled: 1-line block ×12, first 2 shown]
	s_clause 0x1
	global_load_b32 v134, v21, s[8:9] offset:256 scale_offset
	global_load_b32 v135, v21, s[8:9] offset:384 scale_offset
	s_clause 0x8
	global_load_b128 v[86:89], v[18:19], off offset:8240
	global_load_b128 v[90:93], v[18:19], off offset:8224
	;; [unrolled: 1-line block ×9, first 2 shown]
	s_wait_xcnt 0x9
	v_add_nc_u32_e32 v21, 0x80, v21
	s_delay_alu instid0(VALU_DEP_1)
	v_cmp_ge_i32_e32 vcc_lo, v21, v15
	s_or_b32 s7, vcc_lo, s7
	s_wait_loadcnt 0x1c
	v_subrev_nc_u32_e32 v122, s12, v122
	s_wait_loadcnt 0x1b
	v_subrev_nc_u32_e32 v123, s12, v123
	s_delay_alu instid0(VALU_DEP_1) | instskip(NEXT) | instid1(VALU_DEP_1)
	v_dual_lshlrev_b32 v122, 2, v122 :: v_dual_lshlrev_b32 v124, 2, v123
	v_dual_ashrrev_i32 v123, 31, v122 :: v_dual_ashrrev_i32 v125, 31, v124
	s_wait_kmcnt 0x0
	s_delay_alu instid0(VALU_DEP_1) | instskip(NEXT) | instid1(VALU_DEP_2)
	v_lshl_add_u64 v[130:131], v[122:123], 3, s[4:5]
	v_lshl_add_u64 v[132:133], v[124:125], 3, s[4:5]
	s_clause 0x1
	global_load_b128 v[122:125], v[130:131], off
	global_load_b128 v[126:129], v[130:131], off offset:16
	s_wait_loadcnt 0xc
	s_wait_xcnt 0x0
	v_subrev_nc_u32_e32 v130, s12, v134
	s_delay_alu instid0(VALU_DEP_1) | instskip(NEXT) | instid1(VALU_DEP_1)
	v_lshlrev_b32_e32 v130, 2, v130
	v_ashrrev_i32_e32 v131, 31, v130
	s_delay_alu instid0(VALU_DEP_1)
	v_lshl_add_u64 v[130:131], v[130:131], 3, s[4:5]
	s_wait_loadcnt 0x1
	v_fmac_f64_e32 v[4:5], v[34:35], v[122:123]
	v_fmac_f64_e32 v[6:7], v[50:51], v[122:123]
	;; [unrolled: 1-line block ×4, first 2 shown]
	s_delay_alu instid0(VALU_DEP_4)
	v_fmac_f64_e32 v[4:5], v[36:37], v[124:125]
	global_load_b128 v[34:37], v[132:133], off
	v_fmac_f64_e32 v[6:7], v[52:53], v[124:125]
	global_load_b128 v[50:53], v[132:133], off offset:16
	v_fmac_f64_e32 v[12:13], v[28:29], v[124:125]
	global_load_b128 v[26:29], v[18:19], off offset:12320
	v_fmac_f64_e32 v[0:1], v[44:45], v[124:125]
	s_clause 0x1
	global_load_b128 v[42:45], v[18:19], off offset:12304
	global_load_b128 v[122:125], v[18:19], off offset:12288
	s_wait_loadcnt 0x5
	v_fmac_f64_e32 v[4:5], v[30:31], v[126:127]
	v_fmac_f64_e32 v[6:7], v[46:47], v[126:127]
	;; [unrolled: 1-line block ×4, first 2 shown]
	v_subrev_nc_u32_e32 v126, s12, v135
	s_delay_alu instid0(VALU_DEP_1) | instskip(NEXT) | instid1(VALU_DEP_1)
	v_lshlrev_b32_e32 v126, 2, v126
	v_ashrrev_i32_e32 v127, 31, v126
	s_delay_alu instid0(VALU_DEP_1)
	v_lshl_add_u64 v[134:135], v[126:127], 3, s[4:5]
	v_fmac_f64_e32 v[4:5], v[32:33], v[128:129]
	global_load_b128 v[30:33], v[130:131], off
	v_fmac_f64_e32 v[6:7], v[48:49], v[128:129]
	global_load_b128 v[46:49], v[18:19], off offset:12384
	v_fmac_f64_e32 v[12:13], v[24:25], v[128:129]
	global_load_b128 v[22:25], v[130:131], off offset:16
	;; [unrolled: 2-line block ×3, first 2 shown]
	global_load_b128 v[126:129], v[134:135], off
	s_wait_loadcnt 0x9
	v_fmac_f64_e32 v[4:5], v[66:67], v[34:35]
	v_fmac_f64_e32 v[12:13], v[58:59], v[34:35]
	;; [unrolled: 1-line block ×4, first 2 shown]
	s_delay_alu instid0(VALU_DEP_4)
	v_fmac_f64_e32 v[4:5], v[68:69], v[36:37]
	global_load_b128 v[66:69], v[18:19], off offset:12400
	v_fmac_f64_e32 v[12:13], v[60:61], v[36:37]
	global_load_b128 v[58:61], v[18:19], off offset:12368
	global_load_b128 v[130:133], v[134:135], off offset:16
	v_fmac_f64_e32 v[6:7], v[84:85], v[36:37]
	v_fmac_f64_e32 v[0:1], v[76:77], v[36:37]
	s_wait_xcnt 0x1
	v_add_nc_u64_e32 v[18:19], 0x4000, v[18:19]
	s_wait_loadcnt 0xb
	v_fmac_f64_e32 v[4:5], v[62:63], v[50:51]
	v_fmac_f64_e32 v[12:13], v[54:55], v[50:51]
	;; [unrolled: 1-line block ×4, first 2 shown]
	s_delay_alu instid0(VALU_DEP_4) | instskip(NEXT) | instid1(VALU_DEP_4)
	v_fmac_f64_e32 v[4:5], v[64:65], v[52:53]
	v_fmac_f64_e32 v[12:13], v[56:57], v[52:53]
	s_delay_alu instid0(VALU_DEP_4) | instskip(NEXT) | instid1(VALU_DEP_4)
	v_fmac_f64_e32 v[6:7], v[80:81], v[52:53]
	v_fmac_f64_e32 v[0:1], v[72:73], v[52:53]
	s_wait_loadcnt 0x7
	s_delay_alu instid0(VALU_DEP_4) | instskip(NEXT) | instid1(VALU_DEP_4)
	v_fmac_f64_e32 v[4:5], v[98:99], v[30:31]
	v_fmac_f64_e32 v[12:13], v[90:91], v[30:31]
	s_delay_alu instid0(VALU_DEP_4) | instskip(NEXT) | instid1(VALU_DEP_4)
	v_fmac_f64_e32 v[6:7], v[114:115], v[30:31]
	v_fmac_f64_e32 v[0:1], v[106:107], v[30:31]
	s_delay_alu instid0(VALU_DEP_4) | instskip(NEXT) | instid1(VALU_DEP_4)
	v_fmac_f64_e32 v[4:5], v[100:101], v[32:33]
	v_fmac_f64_e32 v[12:13], v[92:93], v[32:33]
	s_delay_alu instid0(VALU_DEP_4) | instskip(NEXT) | instid1(VALU_DEP_4)
	v_fmac_f64_e32 v[6:7], v[116:117], v[32:33]
	v_fmac_f64_e32 v[0:1], v[108:109], v[32:33]
	s_wait_loadcnt 0x5
	s_delay_alu instid0(VALU_DEP_4) | instskip(NEXT) | instid1(VALU_DEP_4)
	v_fmac_f64_e32 v[4:5], v[94:95], v[22:23]
	v_fmac_f64_e32 v[12:13], v[86:87], v[22:23]
	s_delay_alu instid0(VALU_DEP_4) | instskip(NEXT) | instid1(VALU_DEP_4)
	v_fmac_f64_e32 v[6:7], v[110:111], v[22:23]
	v_fmac_f64_e32 v[0:1], v[102:103], v[22:23]
	;; [unrolled: 13-line block ×4, first 2 shown]
	s_delay_alu instid0(VALU_DEP_4) | instskip(NEXT) | instid1(VALU_DEP_4)
	v_fmac_f64_e32 v[4:5], v[44:45], v[132:133]
	v_fmac_f64_e32 v[12:13], v[120:121], v[132:133]
	s_delay_alu instid0(VALU_DEP_4) | instskip(NEXT) | instid1(VALU_DEP_4)
	v_fmac_f64_e32 v[6:7], v[60:61], v[132:133]
	v_fmac_f64_e32 v[0:1], v[68:69], v[132:133]
	s_and_not1_b32 exec_lo, exec_lo, s7
	s_cbranch_execnz .LBB8_21
; %bb.22:
	s_or_b32 exec_lo, exec_lo, s7
.LBB8_23:
	s_delay_alu instid0(SALU_CYCLE_1)
	s_or_b32 exec_lo, exec_lo, s6
.LBB8_24:
	s_delay_alu instid0(SALU_CYCLE_1)
	s_or_b32 exec_lo, exec_lo, s3
	s_cbranch_execz .LBB8_26
	s_branch .LBB8_37
.LBB8_25:
                                        ; implicit-def: $vgpr0_vgpr1
                                        ; implicit-def: $vgpr6_vgpr7
                                        ; implicit-def: $vgpr12_vgpr13
                                        ; implicit-def: $vgpr4_vgpr5
.LBB8_26:
	v_mov_b64_e32 v[0:1], 0
	v_mov_b64_e32 v[6:7], 0
	;; [unrolled: 1-line block ×4, first 2 shown]
	s_and_saveexec_b32 s3, s2
	s_cbranch_execz .LBB8_36
; %bb.27:
	v_add_nc_u32_e32 v0, v20, v11
	v_not_b32_e32 v1, v20
	v_mov_b64_e32 v[4:5], 0
	v_mov_b64_e32 v[12:13], 0
	;; [unrolled: 1-line block ×3, first 2 shown]
	v_subrev_nc_u32_e32 v0, s12, v0
	s_mov_b32 s2, exec_lo
	s_delay_alu instid0(VALU_DEP_1) | instskip(NEXT) | instid1(VALU_DEP_1)
	v_add_max_i32_e64 v0, v0, 32, v15
	v_add3_u32 v0, s12, v0, v1
	s_delay_alu instid0(VALU_DEP_1) | instskip(SKIP_1) | instid1(VALU_DEP_2)
	v_sub_nc_u32_e32 v18, v0, v11
	v_mov_b64_e32 v[0:1], 0
	v_and_b32_e32 v19, 0x60, v18
	s_delay_alu instid0(VALU_DEP_1)
	v_cmpx_ne_u32_e32 0x60, v19
	s_cbranch_execz .LBB8_31
; %bb.28:
	v_lshrrev_b32_e32 v0, 5, v18
	v_mov_b64_e32 v[6:7], 0
	v_mov_b64_e32 v[12:13], 0
	;; [unrolled: 1-line block ×3, first 2 shown]
	s_mov_b32 s6, 0
	v_add_nc_u32_e32 v0, 1, v0
	s_delay_alu instid0(VALU_DEP_1) | instskip(SKIP_1) | instid1(VALU_DEP_2)
	v_and_b32_e32 v19, 3, v0
	v_mov_b64_e32 v[0:1], 0
	v_sub_nc_u32_e32 v19, 0, v19
.LBB8_29:                               ; =>This Inner Loop Header: Depth=1
	global_load_b32 v20, v14, s[8:9] scale_offset
	v_add_co_u32 v19, s7, v19, 1
	s_or_b32 s6, s7, s6
	s_wait_xcnt 0x0
	v_add_nc_u32_e32 v14, 32, v14
	s_wait_loadcnt 0x0
	v_subrev_nc_u32_e32 v20, s12, v20
	s_delay_alu instid0(VALU_DEP_1) | instskip(SKIP_3) | instid1(VALU_DEP_1)
	v_lshlrev_b32_e32 v24, 2, v20
	global_load_b128 v[20:23], v[16:17], off offset:16
	v_ashrrev_i32_e32 v25, 31, v24
	s_wait_kmcnt 0x0
	v_lshl_add_u64 v[60:61], v[24:25], 3, s[4:5]
	global_load_b128 v[24:27], v[16:17], off
	s_clause 0x1
	global_load_b128 v[28:31], v[60:61], off
	global_load_b128 v[32:35], v[60:61], off offset:16
	s_clause 0x5
	global_load_b128 v[36:39], v[16:17], off offset:32
	global_load_b128 v[40:43], v[16:17], off offset:48
	;; [unrolled: 1-line block ×6, first 2 shown]
	s_wait_xcnt 0x0
	v_add_nc_u64_e32 v[16:17], 0x1000, v[16:17]
	s_wait_loadcnt 0x7
	v_fmac_f64_e32 v[4:5], v[24:25], v[28:29]
	v_fmac_f64_e32 v[12:13], v[26:27], v[28:29]
	;; [unrolled: 1-line block ×4, first 2 shown]
	s_wait_loadcnt 0x5
	s_delay_alu instid0(VALU_DEP_4) | instskip(NEXT) | instid1(VALU_DEP_4)
	v_fmac_f64_e32 v[4:5], v[36:37], v[30:31]
	v_fmac_f64_e32 v[12:13], v[38:39], v[30:31]
	s_wait_loadcnt 0x4
	s_delay_alu instid0(VALU_DEP_4) | instskip(NEXT) | instid1(VALU_DEP_4)
	v_fmac_f64_e32 v[6:7], v[40:41], v[30:31]
	v_fmac_f64_e32 v[0:1], v[42:43], v[30:31]
	;; [unrolled: 4-line block ×6, first 2 shown]
	s_and_not1_b32 exec_lo, exec_lo, s6
	s_cbranch_execnz .LBB8_29
; %bb.30:
	s_or_b32 exec_lo, exec_lo, s6
.LBB8_31:
	s_delay_alu instid0(SALU_CYCLE_1) | instskip(NEXT) | instid1(SALU_CYCLE_1)
	s_or_b32 exec_lo, exec_lo, s2
	s_mov_b32 s2, exec_lo
	v_cmpx_lt_u32_e32 0x5f, v18
	s_cbranch_execz .LBB8_35
; %bb.32:
	s_mov_b32 s6, 0
.LBB8_33:                               ; =>This Inner Loop Header: Depth=1
	s_clause 0x2
	global_load_b32 v30, v14, s[8:9] scale_offset
	global_load_b32 v72, v14, s[8:9] offset:128 scale_offset
	global_load_b32 v100, v14, s[8:9] offset:256 scale_offset
	s_clause 0x2
	global_load_b128 v[18:21], v[16:17], off offset:32
	global_load_b128 v[22:25], v[16:17], off offset:16
	global_load_b128 v[26:29], v[16:17], off
	global_load_b32 v112, v14, s[8:9] offset:384 scale_offset
	s_wait_xcnt 0x0
	v_add_nc_u32_e32 v14, 0x80, v14
	s_delay_alu instid0(VALU_DEP_1) | instskip(SKIP_3) | instid1(VALU_DEP_1)
	v_cmp_ge_i32_e32 vcc_lo, v14, v15
	s_or_b32 s6, vcc_lo, s6
	s_wait_loadcnt 0x6
	v_subrev_nc_u32_e32 v30, s12, v30
	v_lshlrev_b32_e32 v30, 2, v30
	s_delay_alu instid0(VALU_DEP_1) | instskip(SKIP_1) | instid1(VALU_DEP_1)
	v_ashrrev_i32_e32 v31, 31, v30
	s_wait_kmcnt 0x0
	v_lshl_add_u64 v[70:71], v[30:31], 3, s[4:5]
	global_load_b128 v[30:33], v[70:71], off
	s_clause 0x5
	global_load_b128 v[34:37], v[16:17], off offset:48
	global_load_b128 v[38:41], v[16:17], off offset:112
	;; [unrolled: 1-line block ×7, first 2 shown]
	s_clause 0x1
	global_load_b128 v[62:65], v[16:17], off offset:4112
	global_load_b128 v[66:69], v[16:17], off offset:4096
	s_wait_loadcnt 0xf
	s_wait_xcnt 0x2
	v_subrev_nc_u32_e32 v70, s12, v72
	s_delay_alu instid0(VALU_DEP_1) | instskip(NEXT) | instid1(VALU_DEP_1)
	v_lshlrev_b32_e32 v70, 2, v70
	v_ashrrev_i32_e32 v71, 31, v70
	s_delay_alu instid0(VALU_DEP_1)
	v_lshl_add_u64 v[98:99], v[70:71], 3, s[4:5]
	global_load_b128 v[70:73], v[98:99], off
	s_clause 0x2
	global_load_b128 v[74:77], v[16:17], off offset:4144
	global_load_b128 v[78:81], v[16:17], off offset:4176
	;; [unrolled: 1-line block ×4, first 2 shown]
	s_clause 0x1
	global_load_b128 v[90:93], v[16:17], off offset:4192
	global_load_b128 v[94:97], v[16:17], off offset:4208
	s_wait_loadcnt 0x15
	s_wait_xcnt 0x2
	v_subrev_nc_u32_e32 v98, s12, v100
	s_delay_alu instid0(VALU_DEP_1) | instskip(SKIP_2) | instid1(VALU_DEP_1)
	v_lshlrev_b32_e32 v102, 2, v98
	global_load_b128 v[98:101], v[16:17], off offset:8208
	v_ashrrev_i32_e32 v103, 31, v102
	v_lshl_add_u64 v[110:111], v[102:103], 3, s[4:5]
	global_load_b128 v[102:105], v[16:17], off offset:8192
	global_load_b128 v[106:109], v[110:111], off
	s_wait_loadcnt 0x13
	v_fmac_f64_e32 v[4:5], v[26:27], v[30:31]
	v_fmac_f64_e32 v[12:13], v[28:29], v[30:31]
	global_load_b128 v[26:29], v[16:17], off offset:8224
	v_fmac_f64_e32 v[6:7], v[22:23], v[30:31]
	v_fmac_f64_e32 v[0:1], v[24:25], v[30:31]
	global_load_b128 v[22:25], v[16:17], off offset:8240
	;; [unrolled: 3-line block ×3, first 2 shown]
	s_wait_loadcnt 0x15
	v_fmac_f64_e32 v[6:7], v[34:35], v[32:33]
	v_fmac_f64_e32 v[0:1], v[36:37], v[32:33]
	global_load_b128 v[30:33], v[16:17], off offset:8272
	global_load_b128 v[34:37], v[110:111], off offset:16
	s_wait_loadcnt 0x11
	v_fmac_f64_e32 v[4:5], v[50:51], v[58:59]
	v_fmac_f64_e32 v[12:13], v[52:53], v[58:59]
	global_load_b128 v[50:53], v[16:17], off offset:8288
	v_fmac_f64_e32 v[6:7], v[46:47], v[58:59]
	v_fmac_f64_e32 v[0:1], v[48:49], v[58:59]
	global_load_b128 v[46:49], v[16:17], off offset:8304
	v_subrev_nc_u32_e32 v58, s12, v112
	s_delay_alu instid0(VALU_DEP_1) | instskip(NEXT) | instid1(VALU_DEP_1)
	v_lshlrev_b32_e32 v58, 2, v58
	v_ashrrev_i32_e32 v59, 31, v58
	s_wait_xcnt 0x2
	s_delay_alu instid0(VALU_DEP_1)
	v_lshl_add_u64 v[110:111], v[58:59], 3, s[4:5]
	v_fmac_f64_e32 v[4:5], v[42:43], v[60:61]
	v_fmac_f64_e32 v[12:13], v[44:45], v[60:61]
	global_load_b128 v[42:45], v[16:17], off offset:12304
	v_fmac_f64_e32 v[6:7], v[38:39], v[60:61]
	v_fmac_f64_e32 v[0:1], v[40:41], v[60:61]
	global_load_b128 v[38:41], v[16:17], off offset:12288
	global_load_b128 v[58:61], v[110:111], off
	s_wait_loadcnt 0x13
	v_fmac_f64_e32 v[4:5], v[66:67], v[70:71]
	v_fmac_f64_e32 v[12:13], v[68:69], v[70:71]
	global_load_b128 v[66:69], v[16:17], off offset:12320
	v_fmac_f64_e32 v[6:7], v[62:63], v[70:71]
	v_fmac_f64_e32 v[0:1], v[64:65], v[70:71]
	global_load_b128 v[62:65], v[16:17], off offset:12336
	;; [unrolled: 3-line block ×3, first 2 shown]
	s_wait_loadcnt 0x15
	v_fmac_f64_e32 v[6:7], v[74:75], v[72:73]
	v_fmac_f64_e32 v[0:1], v[76:77], v[72:73]
	global_load_b128 v[70:73], v[16:17], off offset:12368
	global_load_b128 v[74:77], v[110:111], off offset:16
	s_wait_loadcnt 0x14
	v_fmac_f64_e32 v[4:5], v[82:83], v[86:87]
	v_fmac_f64_e32 v[12:13], v[84:85], v[86:87]
	global_load_b128 v[82:85], v[16:17], off offset:12384
	v_fmac_f64_e32 v[6:7], v[78:79], v[86:87]
	v_fmac_f64_e32 v[0:1], v[80:81], v[86:87]
	global_load_b128 v[78:81], v[16:17], off offset:12400
	s_wait_xcnt 0x0
	v_add_nc_u64_e32 v[16:17], 0x4000, v[16:17]
	s_wait_loadcnt 0x15
	v_fmac_f64_e32 v[4:5], v[90:91], v[88:89]
	v_fmac_f64_e32 v[12:13], v[92:93], v[88:89]
	s_wait_loadcnt 0x14
	v_fmac_f64_e32 v[6:7], v[94:95], v[88:89]
	v_fmac_f64_e32 v[0:1], v[96:97], v[88:89]
	s_wait_loadcnt 0x11
	s_delay_alu instid0(VALU_DEP_4) | instskip(NEXT) | instid1(VALU_DEP_4)
	v_fmac_f64_e32 v[4:5], v[102:103], v[106:107]
	v_fmac_f64_e32 v[12:13], v[104:105], v[106:107]
	s_delay_alu instid0(VALU_DEP_4) | instskip(NEXT) | instid1(VALU_DEP_4)
	v_fmac_f64_e32 v[6:7], v[98:99], v[106:107]
	v_fmac_f64_e32 v[0:1], v[100:101], v[106:107]
	s_wait_loadcnt 0x10
	s_delay_alu instid0(VALU_DEP_4) | instskip(NEXT) | instid1(VALU_DEP_4)
	v_fmac_f64_e32 v[4:5], v[26:27], v[108:109]
	v_fmac_f64_e32 v[12:13], v[28:29], v[108:109]
	s_wait_loadcnt 0xf
	s_delay_alu instid0(VALU_DEP_4) | instskip(NEXT) | instid1(VALU_DEP_4)
	v_fmac_f64_e32 v[6:7], v[22:23], v[108:109]
	v_fmac_f64_e32 v[0:1], v[24:25], v[108:109]
	s_wait_loadcnt 0xc
	s_delay_alu instid0(VALU_DEP_4) | instskip(NEXT) | instid1(VALU_DEP_4)
	v_fmac_f64_e32 v[4:5], v[18:19], v[34:35]
	v_fmac_f64_e32 v[12:13], v[20:21], v[34:35]
	s_delay_alu instid0(VALU_DEP_4) | instskip(NEXT) | instid1(VALU_DEP_4)
	v_fmac_f64_e32 v[6:7], v[30:31], v[34:35]
	v_fmac_f64_e32 v[0:1], v[32:33], v[34:35]
	s_wait_loadcnt 0xb
	s_delay_alu instid0(VALU_DEP_4) | instskip(NEXT) | instid1(VALU_DEP_4)
	v_fmac_f64_e32 v[4:5], v[50:51], v[36:37]
	v_fmac_f64_e32 v[12:13], v[52:53], v[36:37]
	s_wait_loadcnt 0xa
	s_delay_alu instid0(VALU_DEP_4) | instskip(NEXT) | instid1(VALU_DEP_4)
	;; [unrolled: 15-line block ×4, first 2 shown]
	v_fmac_f64_e32 v[6:7], v[78:79], v[76:77]
	v_fmac_f64_e32 v[0:1], v[80:81], v[76:77]
	s_and_not1_b32 exec_lo, exec_lo, s6
	s_cbranch_execnz .LBB8_33
; %bb.34:
	s_or_b32 exec_lo, exec_lo, s6
.LBB8_35:
	s_delay_alu instid0(SALU_CYCLE_1)
	s_or_b32 exec_lo, exec_lo, s2
.LBB8_36:
	s_delay_alu instid0(SALU_CYCLE_1)
	s_or_b32 exec_lo, exec_lo, s3
.LBB8_37:
	v_mbcnt_lo_u32_b32 v24, -1, 0
	s_delay_alu instid0(VALU_DEP_1) | instskip(NEXT) | instid1(VALU_DEP_1)
	v_xor_b32_e32 v14, 16, v24
	v_cmp_gt_i32_e32 vcc_lo, 32, v14
	v_cndmask_b32_e32 v14, v24, v14, vcc_lo
	s_delay_alu instid0(VALU_DEP_1)
	v_lshlrev_b32_e32 v21, 2, v14
	ds_bpermute_b32 v16, v21, v12
	ds_bpermute_b32 v17, v21, v13
	s_wait_dscnt 0x0
	v_add_f64_e32 v[12:13], v[12:13], v[16:17]
	ds_bpermute_b32 v14, v21, v4
	ds_bpermute_b32 v15, v21, v5
	ds_bpermute_b32 v18, v21, v6
	ds_bpermute_b32 v19, v21, v7
	ds_bpermute_b32 v20, v21, v0
	ds_bpermute_b32 v21, v21, v1
	s_wait_dscnt 0x4
	v_dual_add_f64 v[4:5], v[4:5], v[14:15] :: v_dual_bitop2_b32 v14, 8, v24 bitop3:0x14
	s_wait_dscnt 0x2
	v_add_f64_e32 v[6:7], v[6:7], v[18:19]
	s_delay_alu instid0(VALU_DEP_2) | instskip(SKIP_2) | instid1(VALU_DEP_1)
	v_cmp_gt_i32_e32 vcc_lo, 32, v14
	v_cndmask_b32_e32 v14, v24, v14, vcc_lo
	s_wait_dscnt 0x0
	v_dual_add_f64 v[0:1], v[0:1], v[20:21] :: v_dual_lshlrev_b32 v21, 2, v14
	ds_bpermute_b32 v16, v21, v12
	ds_bpermute_b32 v17, v21, v13
	;; [unrolled: 1-line block ×8, first 2 shown]
	s_wait_dscnt 0x4
	v_dual_add_f64 v[4:5], v[4:5], v[14:15] :: v_dual_bitop2_b32 v14, 4, v24 bitop3:0x14
	s_wait_dscnt 0x2
	v_add_f64_e32 v[6:7], v[6:7], v[18:19]
	s_delay_alu instid0(VALU_DEP_2) | instskip(SKIP_3) | instid1(VALU_DEP_2)
	v_cmp_gt_i32_e32 vcc_lo, 32, v14
	v_cndmask_b32_e32 v14, v24, v14, vcc_lo
	v_add_f64_e32 v[12:13], v[12:13], v[16:17]
	s_wait_dscnt 0x0
	v_dual_add_f64 v[0:1], v[0:1], v[20:21] :: v_dual_lshlrev_b32 v21, 2, v14
	ds_bpermute_b32 v14, v21, v4
	ds_bpermute_b32 v15, v21, v5
	;; [unrolled: 1-line block ×8, first 2 shown]
	s_wait_dscnt 0x6
	v_add_f64_e32 v[4:5], v[4:5], v[14:15]
	s_wait_dscnt 0x2
	v_add_f64_e32 v[14:15], v[12:13], v[16:17]
	v_add_f64_e32 v[16:17], v[6:7], v[18:19]
	s_wait_dscnt 0x0
	v_add_f64_e32 v[18:19], v[0:1], v[20:21]
	v_xor_b32_e32 v0, 2, v24
	s_delay_alu instid0(VALU_DEP_1) | instskip(SKIP_1) | instid1(VALU_DEP_1)
	v_cmp_gt_i32_e32 vcc_lo, 32, v0
	v_cndmask_b32_e32 v0, v24, v0, vcc_lo
	v_lshlrev_b32_e32 v12, 2, v0
	ds_bpermute_b32 v6, v12, v14
	ds_bpermute_b32 v7, v12, v15
	;; [unrolled: 1-line block ×6, first 2 shown]
	s_wait_dscnt 0x4
	v_dual_add_f64 v[6:7], v[14:15], v[6:7] :: v_dual_bitop2_b32 v14, 1, v24 bitop3:0x14
	ds_bpermute_b32 v0, v12, v4
	ds_bpermute_b32 v1, v12, v5
	v_cmp_gt_i32_e32 vcc_lo, 32, v14
	v_cndmask_b32_e32 v14, v24, v14, vcc_lo
	v_cmp_eq_u32_e32 vcc_lo, 31, v11
	s_wait_dscnt 0x0
	s_delay_alu instid0(VALU_DEP_2)
	v_dual_add_f64 v[12:13], v[4:5], v[0:1] :: v_dual_lshlrev_b32 v15, 2, v14
	v_add_f64_e32 v[0:1], v[16:17], v[20:21]
	v_add_f64_e32 v[4:5], v[18:19], v[22:23]
	ds_bpermute_b32 v18, v15, v6
	ds_bpermute_b32 v19, v15, v7
	;; [unrolled: 1-line block ×8, first 2 shown]
	s_and_b32 exec_lo, exec_lo, vcc_lo
	s_cbranch_execz .LBB8_10
; %bb.38:
	s_wait_dscnt 0x4
	v_dual_add_f64 v[12:13], v[12:13], v[20:21] :: v_dual_lshlrev_b32 v10, 2, v10
	v_add_f64_e32 v[6:7], v[6:7], v[18:19]
	s_wait_dscnt 0x2
	v_add_f64_e32 v[0:1], v[0:1], v[16:17]
	s_wait_dscnt 0x0
	v_add_f64_e32 v[14:15], v[4:5], v[14:15]
	s_load_b64 s[0:1], s[0:1], 0x50
	s_mov_b32 s2, exec_lo
	s_delay_alu instid0(VALU_DEP_4) | instskip(NEXT) | instid1(VALU_DEP_4)
	v_mul_f64_e32 v[4:5], v[2:3], v[12:13]
	v_mul_f64_e32 v[6:7], v[2:3], v[6:7]
	s_delay_alu instid0(VALU_DEP_4) | instskip(NEXT) | instid1(VALU_DEP_4)
	v_mul_f64_e32 v[0:1], v[2:3], v[0:1]
	v_mul_f64_e32 v[2:3], v[2:3], v[14:15]
	v_cmpx_eq_f64_e32 0, v[8:9]
	s_xor_b32 s2, exec_lo, s2
	s_cbranch_execz .LBB8_40
; %bb.39:
	v_ashrrev_i32_e32 v11, 31, v10
	s_wait_kmcnt 0x0
	s_delay_alu instid0(VALU_DEP_1)
	v_lshl_add_u64 v[8:9], v[10:11], 3, s[0:1]
                                        ; implicit-def: $vgpr10
	s_clause 0x1
	global_store_b128 v[8:9], v[4:7], off
	global_store_b128 v[8:9], v[0:3], off offset:16
                                        ; implicit-def: $vgpr8_vgpr9
                                        ; implicit-def: $vgpr4_vgpr5
                                        ; implicit-def: $vgpr0_vgpr1
.LBB8_40:
	s_wait_xcnt 0x0
	s_and_not1_saveexec_b32 s2, s2
	s_cbranch_execz .LBB8_10
; %bb.41:
	v_ashrrev_i32_e32 v11, 31, v10
	s_wait_kmcnt 0x0
	s_delay_alu instid0(VALU_DEP_1)
	v_lshl_add_u64 v[18:19], v[10:11], 3, s[0:1]
	s_clause 0x1
	global_load_b128 v[10:13], v[18:19], off
	global_load_b128 v[14:17], v[18:19], off offset:16
	s_wait_loadcnt 0x1
	v_fmac_f64_e32 v[4:5], v[8:9], v[10:11]
	v_fmac_f64_e32 v[6:7], v[8:9], v[12:13]
	s_wait_loadcnt 0x0
	v_fmac_f64_e32 v[0:1], v[8:9], v[14:15]
	v_fmac_f64_e32 v[2:3], v[8:9], v[16:17]
	s_clause 0x1
	global_store_b128 v[18:19], v[4:7], off
	global_store_b128 v[18:19], v[0:3], off offset:16
	s_sendmsg sendmsg(MSG_DEALLOC_VGPRS)
	s_endpgm
	.section	.rodata,"a",@progbits
	.p2align	6, 0x0
	.amdhsa_kernel _ZN9rocsparseL18bsrxmvn_4x4_kernelILj128ELj32EdiidddEEvT3_20rocsparse_direction_NS_24const_host_device_scalarIT1_EES1_PKS1_PKT2_SA_S7_PKT4_PKT5_S5_PT6_21rocsparse_index_base_b
		.amdhsa_group_segment_fixed_size 0
		.amdhsa_private_segment_fixed_size 0
		.amdhsa_kernarg_size 96
		.amdhsa_user_sgpr_count 2
		.amdhsa_user_sgpr_dispatch_ptr 0
		.amdhsa_user_sgpr_queue_ptr 0
		.amdhsa_user_sgpr_kernarg_segment_ptr 1
		.amdhsa_user_sgpr_dispatch_id 0
		.amdhsa_user_sgpr_kernarg_preload_length 0
		.amdhsa_user_sgpr_kernarg_preload_offset 0
		.amdhsa_user_sgpr_private_segment_size 0
		.amdhsa_wavefront_size32 1
		.amdhsa_uses_dynamic_stack 0
		.amdhsa_enable_private_segment 0
		.amdhsa_system_sgpr_workgroup_id_x 1
		.amdhsa_system_sgpr_workgroup_id_y 0
		.amdhsa_system_sgpr_workgroup_id_z 0
		.amdhsa_system_sgpr_workgroup_info 0
		.amdhsa_system_vgpr_workitem_id 0
		.amdhsa_next_free_vgpr 136
		.amdhsa_next_free_sgpr 14
		.amdhsa_named_barrier_count 0
		.amdhsa_reserve_vcc 1
		.amdhsa_float_round_mode_32 0
		.amdhsa_float_round_mode_16_64 0
		.amdhsa_float_denorm_mode_32 3
		.amdhsa_float_denorm_mode_16_64 3
		.amdhsa_fp16_overflow 0
		.amdhsa_memory_ordered 1
		.amdhsa_forward_progress 1
		.amdhsa_inst_pref_size 37
		.amdhsa_round_robin_scheduling 0
		.amdhsa_exception_fp_ieee_invalid_op 0
		.amdhsa_exception_fp_denorm_src 0
		.amdhsa_exception_fp_ieee_div_zero 0
		.amdhsa_exception_fp_ieee_overflow 0
		.amdhsa_exception_fp_ieee_underflow 0
		.amdhsa_exception_fp_ieee_inexact 0
		.amdhsa_exception_int_div_zero 0
	.end_amdhsa_kernel
	.section	.text._ZN9rocsparseL18bsrxmvn_4x4_kernelILj128ELj32EdiidddEEvT3_20rocsparse_direction_NS_24const_host_device_scalarIT1_EES1_PKS1_PKT2_SA_S7_PKT4_PKT5_S5_PT6_21rocsparse_index_base_b,"axG",@progbits,_ZN9rocsparseL18bsrxmvn_4x4_kernelILj128ELj32EdiidddEEvT3_20rocsparse_direction_NS_24const_host_device_scalarIT1_EES1_PKS1_PKT2_SA_S7_PKT4_PKT5_S5_PT6_21rocsparse_index_base_b,comdat
.Lfunc_end8:
	.size	_ZN9rocsparseL18bsrxmvn_4x4_kernelILj128ELj32EdiidddEEvT3_20rocsparse_direction_NS_24const_host_device_scalarIT1_EES1_PKS1_PKT2_SA_S7_PKT4_PKT5_S5_PT6_21rocsparse_index_base_b, .Lfunc_end8-_ZN9rocsparseL18bsrxmvn_4x4_kernelILj128ELj32EdiidddEEvT3_20rocsparse_direction_NS_24const_host_device_scalarIT1_EES1_PKS1_PKT2_SA_S7_PKT4_PKT5_S5_PT6_21rocsparse_index_base_b
                                        ; -- End function
	.set _ZN9rocsparseL18bsrxmvn_4x4_kernelILj128ELj32EdiidddEEvT3_20rocsparse_direction_NS_24const_host_device_scalarIT1_EES1_PKS1_PKT2_SA_S7_PKT4_PKT5_S5_PT6_21rocsparse_index_base_b.num_vgpr, 136
	.set _ZN9rocsparseL18bsrxmvn_4x4_kernelILj128ELj32EdiidddEEvT3_20rocsparse_direction_NS_24const_host_device_scalarIT1_EES1_PKS1_PKT2_SA_S7_PKT4_PKT5_S5_PT6_21rocsparse_index_base_b.num_agpr, 0
	.set _ZN9rocsparseL18bsrxmvn_4x4_kernelILj128ELj32EdiidddEEvT3_20rocsparse_direction_NS_24const_host_device_scalarIT1_EES1_PKS1_PKT2_SA_S7_PKT4_PKT5_S5_PT6_21rocsparse_index_base_b.numbered_sgpr, 14
	.set _ZN9rocsparseL18bsrxmvn_4x4_kernelILj128ELj32EdiidddEEvT3_20rocsparse_direction_NS_24const_host_device_scalarIT1_EES1_PKS1_PKT2_SA_S7_PKT4_PKT5_S5_PT6_21rocsparse_index_base_b.num_named_barrier, 0
	.set _ZN9rocsparseL18bsrxmvn_4x4_kernelILj128ELj32EdiidddEEvT3_20rocsparse_direction_NS_24const_host_device_scalarIT1_EES1_PKS1_PKT2_SA_S7_PKT4_PKT5_S5_PT6_21rocsparse_index_base_b.private_seg_size, 0
	.set _ZN9rocsparseL18bsrxmvn_4x4_kernelILj128ELj32EdiidddEEvT3_20rocsparse_direction_NS_24const_host_device_scalarIT1_EES1_PKS1_PKT2_SA_S7_PKT4_PKT5_S5_PT6_21rocsparse_index_base_b.uses_vcc, 1
	.set _ZN9rocsparseL18bsrxmvn_4x4_kernelILj128ELj32EdiidddEEvT3_20rocsparse_direction_NS_24const_host_device_scalarIT1_EES1_PKS1_PKT2_SA_S7_PKT4_PKT5_S5_PT6_21rocsparse_index_base_b.uses_flat_scratch, 0
	.set _ZN9rocsparseL18bsrxmvn_4x4_kernelILj128ELj32EdiidddEEvT3_20rocsparse_direction_NS_24const_host_device_scalarIT1_EES1_PKS1_PKT2_SA_S7_PKT4_PKT5_S5_PT6_21rocsparse_index_base_b.has_dyn_sized_stack, 0
	.set _ZN9rocsparseL18bsrxmvn_4x4_kernelILj128ELj32EdiidddEEvT3_20rocsparse_direction_NS_24const_host_device_scalarIT1_EES1_PKS1_PKT2_SA_S7_PKT4_PKT5_S5_PT6_21rocsparse_index_base_b.has_recursion, 0
	.set _ZN9rocsparseL18bsrxmvn_4x4_kernelILj128ELj32EdiidddEEvT3_20rocsparse_direction_NS_24const_host_device_scalarIT1_EES1_PKS1_PKT2_SA_S7_PKT4_PKT5_S5_PT6_21rocsparse_index_base_b.has_indirect_call, 0
	.section	.AMDGPU.csdata,"",@progbits
; Kernel info:
; codeLenInByte = 4640
; TotalNumSgprs: 16
; NumVgprs: 136
; ScratchSize: 0
; MemoryBound: 1
; FloatMode: 240
; IeeeMode: 1
; LDSByteSize: 0 bytes/workgroup (compile time only)
; SGPRBlocks: 0
; VGPRBlocks: 8
; NumSGPRsForWavesPerEU: 16
; NumVGPRsForWavesPerEU: 136
; NamedBarCnt: 0
; Occupancy: 7
; WaveLimiterHint : 1
; COMPUTE_PGM_RSRC2:SCRATCH_EN: 0
; COMPUTE_PGM_RSRC2:USER_SGPR: 2
; COMPUTE_PGM_RSRC2:TRAP_HANDLER: 0
; COMPUTE_PGM_RSRC2:TGID_X_EN: 1
; COMPUTE_PGM_RSRC2:TGID_Y_EN: 0
; COMPUTE_PGM_RSRC2:TGID_Z_EN: 0
; COMPUTE_PGM_RSRC2:TIDIG_COMP_CNT: 0
	.section	.text._ZN9rocsparseL18bsrxmvn_4x4_kernelILj128ELj64EdiidddEEvT3_20rocsparse_direction_NS_24const_host_device_scalarIT1_EES1_PKS1_PKT2_SA_S7_PKT4_PKT5_S5_PT6_21rocsparse_index_base_b,"axG",@progbits,_ZN9rocsparseL18bsrxmvn_4x4_kernelILj128ELj64EdiidddEEvT3_20rocsparse_direction_NS_24const_host_device_scalarIT1_EES1_PKS1_PKT2_SA_S7_PKT4_PKT5_S5_PT6_21rocsparse_index_base_b,comdat
	.globl	_ZN9rocsparseL18bsrxmvn_4x4_kernelILj128ELj64EdiidddEEvT3_20rocsparse_direction_NS_24const_host_device_scalarIT1_EES1_PKS1_PKT2_SA_S7_PKT4_PKT5_S5_PT6_21rocsparse_index_base_b ; -- Begin function _ZN9rocsparseL18bsrxmvn_4x4_kernelILj128ELj64EdiidddEEvT3_20rocsparse_direction_NS_24const_host_device_scalarIT1_EES1_PKS1_PKT2_SA_S7_PKT4_PKT5_S5_PT6_21rocsparse_index_base_b
	.p2align	8
	.type	_ZN9rocsparseL18bsrxmvn_4x4_kernelILj128ELj64EdiidddEEvT3_20rocsparse_direction_NS_24const_host_device_scalarIT1_EES1_PKS1_PKT2_SA_S7_PKT4_PKT5_S5_PT6_21rocsparse_index_base_b,@function
_ZN9rocsparseL18bsrxmvn_4x4_kernelILj128ELj64EdiidddEEvT3_20rocsparse_direction_NS_24const_host_device_scalarIT1_EES1_PKS1_PKT2_SA_S7_PKT4_PKT5_S5_PT6_21rocsparse_index_base_b: ; @_ZN9rocsparseL18bsrxmvn_4x4_kernelILj128ELj64EdiidddEEvT3_20rocsparse_direction_NS_24const_host_device_scalarIT1_EES1_PKS1_PKT2_SA_S7_PKT4_PKT5_S5_PT6_21rocsparse_index_base_b
; %bb.0:
	s_clause 0x2
	s_load_b64 s[12:13], s[0:1], 0x58
	s_load_b64 s[4:5], s[0:1], 0x8
	;; [unrolled: 1-line block ×3, first 2 shown]
	s_wait_kmcnt 0x0
	s_bitcmp1_b32 s13, 0
	v_mov_b64_e32 v[2:3], s[4:5]
	s_cselect_b32 s6, -1, 0
	s_delay_alu instid0(SALU_CYCLE_1)
	s_and_b32 vcc_lo, exec_lo, s6
	s_xor_b32 s6, s6, -1
	s_cbranch_vccnz .LBB9_2
; %bb.1:
	v_mov_b32_e32 v1, 0
	flat_load_b64 v[2:3], v1, s[4:5]
.LBB9_2:
	v_mov_b64_e32 v[8:9], s[2:3]
	s_and_not1_b32 vcc_lo, exec_lo, s6
	s_cbranch_vccnz .LBB9_4
; %bb.3:
	s_wait_xcnt 0x0
	v_mov_b32_e32 v1, 0
	flat_load_b64 v[8:9], v1, s[2:3]
.LBB9_4:
	s_wait_loadcnt_dscnt 0x0
	v_cmp_neq_f64_e32 vcc_lo, 0, v[2:3]
	s_delay_alu instid0(VALU_DEP_2) | instskip(SKIP_1) | instid1(SALU_CYCLE_1)
	v_cmp_neq_f64_e64 s2, 1.0, v[8:9]
	s_or_b32 s2, vcc_lo, s2
	s_and_saveexec_b32 s3, s2
	s_cbranch_execz .LBB9_10
; %bb.5:
	s_clause 0x1
	s_load_b64 s[4:5], s[0:1], 0x18
	s_load_b64 s[2:3], s[0:1], 0x0
	s_bfe_u32 s6, ttmp6, 0x4000c
	s_and_b32 s7, ttmp6, 15
	s_add_co_i32 s6, s6, 1
	s_getreg_b32 s8, hwreg(HW_REG_IB_STS2, 6, 4)
	s_mul_i32 s6, ttmp9, s6
	v_lshrrev_b32_e32 v1, 6, v0
	s_add_co_i32 s7, s7, s6
	s_cmp_eq_u32 s8, 0
	s_cselect_b32 s6, ttmp9, s7
	s_delay_alu instid0(VALU_DEP_1) | instid1(SALU_CYCLE_1)
	v_lshl_or_b32 v10, s6, 1, v1
	s_mov_b32 s6, 0
	s_wait_kmcnt 0x0
	s_cmp_lg_u64 s[4:5], 0
	s_cbranch_scc0 .LBB9_11
; %bb.6:
	s_load_b32 s6, s[0:1], 0x10
	s_mov_b32 s7, 0
                                        ; implicit-def: $vgpr1
	s_wait_kmcnt 0x0
	v_cmp_gt_i32_e32 vcc_lo, s6, v10
	s_mov_b32 s6, 0
	s_and_saveexec_b32 s8, vcc_lo
	s_delay_alu instid0(SALU_CYCLE_1)
	s_xor_b32 s8, exec_lo, s8
	s_cbranch_execz .LBB9_8
; %bb.7:
	global_load_b32 v1, v10, s[4:5] scale_offset
	s_mov_b32 s6, exec_lo
	s_wait_loadcnt 0x0
	v_subrev_nc_u32_e32 v1, s12, v1
.LBB9_8:
	s_or_b32 exec_lo, exec_lo, s8
	s_delay_alu instid0(SALU_CYCLE_1)
	s_and_b32 vcc_lo, exec_lo, s7
	s_cbranch_vccz .LBB9_12
.LBB9_9:
	v_cmp_gt_i32_e32 vcc_lo, s2, v10
	s_and_not1_b32 s2, s6, exec_lo
	s_and_b32 s4, vcc_lo, exec_lo
	s_delay_alu instid0(SALU_CYCLE_1) | instskip(NEXT) | instid1(SALU_CYCLE_1)
	s_or_b32 s6, s2, s4
	s_and_b32 exec_lo, exec_lo, s6
	s_cbranch_execnz .LBB9_13
.LBB9_10:
	s_sendmsg sendmsg(MSG_DEALLOC_VGPRS)
	s_endpgm
.LBB9_11:
                                        ; implicit-def: $vgpr1
	s_cbranch_execnz .LBB9_9
.LBB9_12:
	s_delay_alu instid0(VALU_DEP_1)
	v_mov_b32_e32 v10, v1
	s_and_b32 exec_lo, exec_lo, s6
	s_cbranch_execz .LBB9_10
.LBB9_13:
	s_load_b256 s[4:11], s[0:1], 0x20
	s_wait_kmcnt 0x0
	s_cmp_eq_u64 s[6:7], 0
	global_load_b32 v20, v10, s[4:5] scale_offset
	s_cselect_b32 vcc_lo, -1, 0
	v_ashrrev_i32_e32 v11, 31, v10
	s_cmp_eq_u32 s3, 1
	s_delay_alu instid0(VALU_DEP_1) | instskip(SKIP_1) | instid1(VALU_DEP_2)
	v_lshlrev_b64_e32 v[4:5], 2, v[10:11]
	v_and_b32_e32 v11, 63, v0
	v_add_nc_u64_e32 v[6:7], s[4:5], v[4:5]
	v_add_nc_u64_e32 v[4:5], s[6:7], v[4:5]
	s_wait_xcnt 0x0
	s_load_b64 s[4:5], s[0:1], 0x40
	s_delay_alu instid0(VALU_DEP_2) | instskip(NEXT) | instid1(VALU_DEP_1)
	v_add_nc_u64_e32 v[6:7], 4, v[6:7]
	v_dual_cndmask_b32 v5, v5, v7 :: v_dual_cndmask_b32 v4, v4, v6
	global_load_b32 v4, v[4:5], off
	s_wait_loadcnt 0x1
	v_subrev_nc_u32_e32 v0, s12, v20
	s_delay_alu instid0(VALU_DEP_1) | instskip(NEXT) | instid1(VALU_DEP_1)
	v_add_nc_u32_e32 v14, v0, v11
	v_ashrrev_i32_e32 v15, 31, v14
	s_delay_alu instid0(VALU_DEP_1) | instskip(NEXT) | instid1(VALU_DEP_1)
	v_lshlrev_b64_e32 v[0:1], 7, v[14:15]
	v_add_nc_u64_e32 v[16:17], s[10:11], v[0:1]
	s_wait_loadcnt 0x0
	v_subrev_nc_u32_e32 v15, s12, v4
	s_delay_alu instid0(VALU_DEP_1)
	v_cmp_lt_i32_e64 s2, v14, v15
	s_cbranch_scc1 .LBB9_25
; %bb.14:
	v_mov_b64_e32 v[0:1], 0
	v_mov_b64_e32 v[6:7], 0
	;; [unrolled: 1-line block ×4, first 2 shown]
	s_and_saveexec_b32 s3, s2
	s_cbranch_execz .LBB9_24
; %bb.15:
	v_dual_mov_b32 v21, v14 :: v_dual_add_nc_u32 v0, v20, v11
	v_not_b32_e32 v1, v20
	v_mov_b64_e32 v[4:5], 0
	v_mov_b64_e32 v[12:13], 0
	s_delay_alu instid0(VALU_DEP_4) | instskip(SKIP_1) | instid1(VALU_DEP_2)
	v_subrev_nc_u32_e32 v0, s12, v0
	v_mov_b64_e32 v[6:7], 0
	v_add_max_i32_e64 v0, v0, 64, v15
	s_delay_alu instid0(VALU_DEP_1) | instskip(NEXT) | instid1(VALU_DEP_1)
	v_add3_u32 v0, s12, v0, v1
	v_sub_nc_u32_e32 v22, v0, v11
	v_mov_b64_e32 v[0:1], 0
	s_delay_alu instid0(VALU_DEP_2) | instskip(NEXT) | instid1(VALU_DEP_1)
	v_and_b32_e32 v18, 0xc0, v22
	v_cmp_ne_u32_e32 vcc_lo, 0xc0, v18
	v_mov_b64_e32 v[18:19], v[16:17]
	s_and_saveexec_b32 s6, vcc_lo
	s_cbranch_execz .LBB9_19
; %bb.16:
	v_lshrrev_b32_e32 v0, 6, v22
	v_mov_b64_e32 v[18:19], v[16:17]
	v_mov_b64_e32 v[6:7], 0
	;; [unrolled: 1-line block ×3, first 2 shown]
	s_mov_b32 s7, 0
	v_add_nc_u32_e32 v4, 1, v0
	v_mov_b64_e32 v[0:1], 0
	s_delay_alu instid0(VALU_DEP_2) | instskip(SKIP_1) | instid1(VALU_DEP_2)
	v_and_b32_e32 v21, 3, v4
	v_mov_b64_e32 v[4:5], 0
	v_dual_sub_nc_u32 v23, 0, v21 :: v_dual_mov_b32 v21, v14
.LBB9_17:                               ; =>This Inner Loop Header: Depth=1
	global_load_b32 v40, v21, s[8:9] scale_offset
	s_clause 0x3
	global_load_b128 v[24:27], v[18:19], off offset:48
	global_load_b128 v[28:31], v[18:19], off offset:32
	;; [unrolled: 1-line block ×3, first 2 shown]
	global_load_b128 v[36:39], v[18:19], off
	v_add_co_u32 v23, s10, v23, 1
	s_or_b32 s7, s10, s7
	s_wait_xcnt 0x4
	v_add_nc_u32_e32 v21, 64, v21
	global_load_b128 v[48:51], v[18:19], off offset:80
	s_wait_loadcnt 0x5
	v_subrev_nc_u32_e32 v44, s12, v40
	global_load_b128 v[40:43], v[18:19], off offset:112
	v_lshlrev_b32_e32 v52, 2, v44
	global_load_b128 v[44:47], v[18:19], off offset:96
	v_ashrrev_i32_e32 v53, 31, v52
	s_wait_kmcnt 0x0
	s_delay_alu instid0(VALU_DEP_1)
	v_lshl_add_u64 v[64:65], v[52:53], 3, s[4:5]
	global_load_b128 v[52:55], v[18:19], off offset:64
	s_clause 0x1
	global_load_b128 v[56:59], v[64:65], off
	global_load_b128 v[60:63], v[64:65], off offset:16
	s_wait_xcnt 0x2
	v_add_nc_u64_e32 v[18:19], 0x2000, v[18:19]
	s_wait_loadcnt 0x1
	v_fmac_f64_e32 v[4:5], v[36:37], v[56:57]
	v_fmac_f64_e32 v[12:13], v[28:29], v[56:57]
	;; [unrolled: 1-line block ×4, first 2 shown]
	s_delay_alu instid0(VALU_DEP_4) | instskip(NEXT) | instid1(VALU_DEP_4)
	v_fmac_f64_e32 v[4:5], v[38:39], v[58:59]
	v_fmac_f64_e32 v[12:13], v[30:31], v[58:59]
	s_delay_alu instid0(VALU_DEP_4) | instskip(NEXT) | instid1(VALU_DEP_4)
	v_fmac_f64_e32 v[6:7], v[54:55], v[58:59]
	v_fmac_f64_e32 v[0:1], v[46:47], v[58:59]
	s_wait_loadcnt 0x0
	s_delay_alu instid0(VALU_DEP_4) | instskip(NEXT) | instid1(VALU_DEP_4)
	v_fmac_f64_e32 v[4:5], v[32:33], v[60:61]
	v_fmac_f64_e32 v[12:13], v[24:25], v[60:61]
	s_delay_alu instid0(VALU_DEP_4) | instskip(NEXT) | instid1(VALU_DEP_4)
	v_fmac_f64_e32 v[6:7], v[48:49], v[60:61]
	v_fmac_f64_e32 v[0:1], v[40:41], v[60:61]
	;; [unrolled: 3-line block ×4, first 2 shown]
	s_and_not1_b32 exec_lo, exec_lo, s7
	s_cbranch_execnz .LBB9_17
; %bb.18:
	s_or_b32 exec_lo, exec_lo, s7
.LBB9_19:
	s_delay_alu instid0(SALU_CYCLE_1) | instskip(NEXT) | instid1(SALU_CYCLE_1)
	s_or_b32 exec_lo, exec_lo, s6
	s_mov_b32 s6, exec_lo
	v_cmpx_lt_u32_e32 0xbf, v22
	s_cbranch_execz .LBB9_23
; %bb.20:
	s_mov_b32 s7, 0
.LBB9_21:                               ; =>This Inner Loop Header: Depth=1
	s_clause 0x1
	global_load_b32 v122, v21, s[8:9] scale_offset
	global_load_b32 v123, v21, s[8:9] offset:256 scale_offset
	s_clause 0xf
	global_load_b128 v[22:25], v[18:19], off offset:48
	global_load_b128 v[26:29], v[18:19], off offset:32
	;; [unrolled: 1-line block ×3, first 2 shown]
	global_load_b128 v[34:37], v[18:19], off
	global_load_b128 v[38:41], v[18:19], off offset:112
	global_load_b128 v[42:45], v[18:19], off offset:96
	;; [unrolled: 1-line block ×12, first 2 shown]
	s_clause 0x1
	global_load_b32 v134, v21, s[8:9] offset:512 scale_offset
	global_load_b32 v135, v21, s[8:9] offset:768 scale_offset
	s_clause 0x8
	global_load_b128 v[86:89], v[18:19], off offset:16432
	global_load_b128 v[90:93], v[18:19], off offset:16416
	;; [unrolled: 1-line block ×9, first 2 shown]
	s_wait_xcnt 0x9
	v_add_nc_u32_e32 v21, 0x100, v21
	s_delay_alu instid0(VALU_DEP_1)
	v_cmp_ge_i32_e32 vcc_lo, v21, v15
	s_or_b32 s7, vcc_lo, s7
	s_wait_loadcnt 0x1c
	v_subrev_nc_u32_e32 v122, s12, v122
	s_wait_loadcnt 0x1b
	v_subrev_nc_u32_e32 v123, s12, v123
	s_delay_alu instid0(VALU_DEP_1) | instskip(NEXT) | instid1(VALU_DEP_1)
	v_dual_lshlrev_b32 v122, 2, v122 :: v_dual_lshlrev_b32 v124, 2, v123
	v_dual_ashrrev_i32 v123, 31, v122 :: v_dual_ashrrev_i32 v125, 31, v124
	s_wait_kmcnt 0x0
	s_delay_alu instid0(VALU_DEP_1) | instskip(NEXT) | instid1(VALU_DEP_2)
	v_lshl_add_u64 v[130:131], v[122:123], 3, s[4:5]
	v_lshl_add_u64 v[132:133], v[124:125], 3, s[4:5]
	s_clause 0x1
	global_load_b128 v[122:125], v[130:131], off
	global_load_b128 v[126:129], v[130:131], off offset:16
	s_wait_loadcnt 0xc
	s_wait_xcnt 0x0
	v_subrev_nc_u32_e32 v130, s12, v134
	s_delay_alu instid0(VALU_DEP_1) | instskip(NEXT) | instid1(VALU_DEP_1)
	v_lshlrev_b32_e32 v130, 2, v130
	v_ashrrev_i32_e32 v131, 31, v130
	s_delay_alu instid0(VALU_DEP_1)
	v_lshl_add_u64 v[130:131], v[130:131], 3, s[4:5]
	s_wait_loadcnt 0x1
	v_fmac_f64_e32 v[4:5], v[34:35], v[122:123]
	v_fmac_f64_e32 v[6:7], v[50:51], v[122:123]
	;; [unrolled: 1-line block ×4, first 2 shown]
	s_delay_alu instid0(VALU_DEP_4)
	v_fmac_f64_e32 v[4:5], v[36:37], v[124:125]
	global_load_b128 v[34:37], v[132:133], off
	v_fmac_f64_e32 v[6:7], v[52:53], v[124:125]
	global_load_b128 v[50:53], v[132:133], off offset:16
	v_fmac_f64_e32 v[12:13], v[28:29], v[124:125]
	global_load_b128 v[26:29], v[18:19], off offset:24608
	v_fmac_f64_e32 v[0:1], v[44:45], v[124:125]
	s_clause 0x1
	global_load_b128 v[42:45], v[18:19], off offset:24592
	global_load_b128 v[122:125], v[18:19], off offset:24576
	s_wait_loadcnt 0x5
	v_fmac_f64_e32 v[4:5], v[30:31], v[126:127]
	v_fmac_f64_e32 v[6:7], v[46:47], v[126:127]
	;; [unrolled: 1-line block ×4, first 2 shown]
	v_subrev_nc_u32_e32 v126, s12, v135
	s_delay_alu instid0(VALU_DEP_1) | instskip(NEXT) | instid1(VALU_DEP_1)
	v_lshlrev_b32_e32 v126, 2, v126
	v_ashrrev_i32_e32 v127, 31, v126
	s_delay_alu instid0(VALU_DEP_1)
	v_lshl_add_u64 v[134:135], v[126:127], 3, s[4:5]
	v_fmac_f64_e32 v[4:5], v[32:33], v[128:129]
	global_load_b128 v[30:33], v[130:131], off
	v_fmac_f64_e32 v[6:7], v[48:49], v[128:129]
	global_load_b128 v[46:49], v[18:19], off offset:24672
	v_fmac_f64_e32 v[12:13], v[24:25], v[128:129]
	global_load_b128 v[22:25], v[130:131], off offset:16
	;; [unrolled: 2-line block ×3, first 2 shown]
	global_load_b128 v[126:129], v[134:135], off
	s_wait_loadcnt 0x9
	v_fmac_f64_e32 v[4:5], v[66:67], v[34:35]
	v_fmac_f64_e32 v[12:13], v[58:59], v[34:35]
	;; [unrolled: 1-line block ×4, first 2 shown]
	s_delay_alu instid0(VALU_DEP_4)
	v_fmac_f64_e32 v[4:5], v[68:69], v[36:37]
	global_load_b128 v[66:69], v[18:19], off offset:24688
	v_fmac_f64_e32 v[12:13], v[60:61], v[36:37]
	global_load_b128 v[58:61], v[18:19], off offset:24656
	global_load_b128 v[130:133], v[134:135], off offset:16
	v_fmac_f64_e32 v[6:7], v[84:85], v[36:37]
	v_fmac_f64_e32 v[0:1], v[76:77], v[36:37]
	s_wait_xcnt 0x1
	v_add_nc_u64_e32 v[18:19], 0x8000, v[18:19]
	s_wait_loadcnt 0xb
	v_fmac_f64_e32 v[4:5], v[62:63], v[50:51]
	v_fmac_f64_e32 v[12:13], v[54:55], v[50:51]
	;; [unrolled: 1-line block ×4, first 2 shown]
	s_delay_alu instid0(VALU_DEP_4) | instskip(NEXT) | instid1(VALU_DEP_4)
	v_fmac_f64_e32 v[4:5], v[64:65], v[52:53]
	v_fmac_f64_e32 v[12:13], v[56:57], v[52:53]
	s_delay_alu instid0(VALU_DEP_4) | instskip(NEXT) | instid1(VALU_DEP_4)
	v_fmac_f64_e32 v[6:7], v[80:81], v[52:53]
	v_fmac_f64_e32 v[0:1], v[72:73], v[52:53]
	s_wait_loadcnt 0x7
	s_delay_alu instid0(VALU_DEP_4) | instskip(NEXT) | instid1(VALU_DEP_4)
	v_fmac_f64_e32 v[4:5], v[98:99], v[30:31]
	v_fmac_f64_e32 v[12:13], v[90:91], v[30:31]
	s_delay_alu instid0(VALU_DEP_4) | instskip(NEXT) | instid1(VALU_DEP_4)
	v_fmac_f64_e32 v[6:7], v[114:115], v[30:31]
	v_fmac_f64_e32 v[0:1], v[106:107], v[30:31]
	s_delay_alu instid0(VALU_DEP_4) | instskip(NEXT) | instid1(VALU_DEP_4)
	v_fmac_f64_e32 v[4:5], v[100:101], v[32:33]
	v_fmac_f64_e32 v[12:13], v[92:93], v[32:33]
	s_delay_alu instid0(VALU_DEP_4) | instskip(NEXT) | instid1(VALU_DEP_4)
	v_fmac_f64_e32 v[6:7], v[116:117], v[32:33]
	v_fmac_f64_e32 v[0:1], v[108:109], v[32:33]
	s_wait_loadcnt 0x5
	s_delay_alu instid0(VALU_DEP_4) | instskip(NEXT) | instid1(VALU_DEP_4)
	v_fmac_f64_e32 v[4:5], v[94:95], v[22:23]
	v_fmac_f64_e32 v[12:13], v[86:87], v[22:23]
	s_delay_alu instid0(VALU_DEP_4) | instskip(NEXT) | instid1(VALU_DEP_4)
	v_fmac_f64_e32 v[6:7], v[110:111], v[22:23]
	v_fmac_f64_e32 v[0:1], v[102:103], v[22:23]
	;; [unrolled: 13-line block ×4, first 2 shown]
	s_delay_alu instid0(VALU_DEP_4) | instskip(NEXT) | instid1(VALU_DEP_4)
	v_fmac_f64_e32 v[4:5], v[44:45], v[132:133]
	v_fmac_f64_e32 v[12:13], v[120:121], v[132:133]
	s_delay_alu instid0(VALU_DEP_4) | instskip(NEXT) | instid1(VALU_DEP_4)
	v_fmac_f64_e32 v[6:7], v[60:61], v[132:133]
	v_fmac_f64_e32 v[0:1], v[68:69], v[132:133]
	s_and_not1_b32 exec_lo, exec_lo, s7
	s_cbranch_execnz .LBB9_21
; %bb.22:
	s_or_b32 exec_lo, exec_lo, s7
.LBB9_23:
	s_delay_alu instid0(SALU_CYCLE_1)
	s_or_b32 exec_lo, exec_lo, s6
.LBB9_24:
	s_delay_alu instid0(SALU_CYCLE_1)
	s_or_b32 exec_lo, exec_lo, s3
	s_cbranch_execz .LBB9_26
	s_branch .LBB9_37
.LBB9_25:
                                        ; implicit-def: $vgpr0_vgpr1
                                        ; implicit-def: $vgpr6_vgpr7
                                        ; implicit-def: $vgpr12_vgpr13
                                        ; implicit-def: $vgpr4_vgpr5
.LBB9_26:
	v_mov_b64_e32 v[0:1], 0
	v_mov_b64_e32 v[6:7], 0
	;; [unrolled: 1-line block ×4, first 2 shown]
	s_and_saveexec_b32 s3, s2
	s_cbranch_execz .LBB9_36
; %bb.27:
	v_add_nc_u32_e32 v0, v20, v11
	v_not_b32_e32 v1, v20
	v_mov_b64_e32 v[4:5], 0
	v_mov_b64_e32 v[12:13], 0
	;; [unrolled: 1-line block ×3, first 2 shown]
	v_subrev_nc_u32_e32 v0, s12, v0
	s_mov_b32 s2, exec_lo
	s_delay_alu instid0(VALU_DEP_1) | instskip(NEXT) | instid1(VALU_DEP_1)
	v_add_max_i32_e64 v0, v0, 64, v15
	v_add3_u32 v0, s12, v0, v1
	s_delay_alu instid0(VALU_DEP_1) | instskip(SKIP_1) | instid1(VALU_DEP_2)
	v_sub_nc_u32_e32 v18, v0, v11
	v_mov_b64_e32 v[0:1], 0
	v_and_b32_e32 v19, 0xc0, v18
	s_delay_alu instid0(VALU_DEP_1)
	v_cmpx_ne_u32_e32 0xc0, v19
	s_cbranch_execz .LBB9_31
; %bb.28:
	v_lshrrev_b32_e32 v0, 6, v18
	v_mov_b64_e32 v[6:7], 0
	v_mov_b64_e32 v[12:13], 0
	;; [unrolled: 1-line block ×3, first 2 shown]
	s_mov_b32 s6, 0
	v_add_nc_u32_e32 v0, 1, v0
	s_delay_alu instid0(VALU_DEP_1) | instskip(SKIP_1) | instid1(VALU_DEP_2)
	v_and_b32_e32 v19, 3, v0
	v_mov_b64_e32 v[0:1], 0
	v_sub_nc_u32_e32 v19, 0, v19
.LBB9_29:                               ; =>This Inner Loop Header: Depth=1
	global_load_b32 v20, v14, s[8:9] scale_offset
	v_add_co_u32 v19, s7, v19, 1
	s_or_b32 s6, s7, s6
	s_wait_xcnt 0x0
	v_add_nc_u32_e32 v14, 64, v14
	s_wait_loadcnt 0x0
	v_subrev_nc_u32_e32 v20, s12, v20
	s_delay_alu instid0(VALU_DEP_1) | instskip(SKIP_3) | instid1(VALU_DEP_1)
	v_lshlrev_b32_e32 v24, 2, v20
	global_load_b128 v[20:23], v[16:17], off offset:16
	v_ashrrev_i32_e32 v25, 31, v24
	s_wait_kmcnt 0x0
	v_lshl_add_u64 v[60:61], v[24:25], 3, s[4:5]
	global_load_b128 v[24:27], v[16:17], off
	s_clause 0x1
	global_load_b128 v[28:31], v[60:61], off
	global_load_b128 v[32:35], v[60:61], off offset:16
	s_clause 0x5
	global_load_b128 v[36:39], v[16:17], off offset:32
	global_load_b128 v[40:43], v[16:17], off offset:48
	;; [unrolled: 1-line block ×6, first 2 shown]
	s_wait_xcnt 0x0
	v_add_nc_u64_e32 v[16:17], 0x2000, v[16:17]
	s_wait_loadcnt 0x7
	v_fmac_f64_e32 v[4:5], v[24:25], v[28:29]
	v_fmac_f64_e32 v[12:13], v[26:27], v[28:29]
	;; [unrolled: 1-line block ×4, first 2 shown]
	s_wait_loadcnt 0x5
	s_delay_alu instid0(VALU_DEP_4) | instskip(NEXT) | instid1(VALU_DEP_4)
	v_fmac_f64_e32 v[4:5], v[36:37], v[30:31]
	v_fmac_f64_e32 v[12:13], v[38:39], v[30:31]
	s_wait_loadcnt 0x4
	s_delay_alu instid0(VALU_DEP_4) | instskip(NEXT) | instid1(VALU_DEP_4)
	v_fmac_f64_e32 v[6:7], v[40:41], v[30:31]
	v_fmac_f64_e32 v[0:1], v[42:43], v[30:31]
	;; [unrolled: 4-line block ×6, first 2 shown]
	s_and_not1_b32 exec_lo, exec_lo, s6
	s_cbranch_execnz .LBB9_29
; %bb.30:
	s_or_b32 exec_lo, exec_lo, s6
.LBB9_31:
	s_delay_alu instid0(SALU_CYCLE_1) | instskip(NEXT) | instid1(SALU_CYCLE_1)
	s_or_b32 exec_lo, exec_lo, s2
	s_mov_b32 s2, exec_lo
	v_cmpx_lt_u32_e32 0xbf, v18
	s_cbranch_execz .LBB9_35
; %bb.32:
	s_mov_b32 s6, 0
.LBB9_33:                               ; =>This Inner Loop Header: Depth=1
	s_clause 0x2
	global_load_b32 v30, v14, s[8:9] scale_offset
	global_load_b32 v72, v14, s[8:9] offset:256 scale_offset
	global_load_b32 v100, v14, s[8:9] offset:512 scale_offset
	s_clause 0x2
	global_load_b128 v[18:21], v[16:17], off offset:32
	global_load_b128 v[22:25], v[16:17], off offset:16
	global_load_b128 v[26:29], v[16:17], off
	global_load_b32 v112, v14, s[8:9] offset:768 scale_offset
	s_wait_xcnt 0x0
	v_add_nc_u32_e32 v14, 0x100, v14
	s_delay_alu instid0(VALU_DEP_1) | instskip(SKIP_3) | instid1(VALU_DEP_1)
	v_cmp_ge_i32_e32 vcc_lo, v14, v15
	s_or_b32 s6, vcc_lo, s6
	s_wait_loadcnt 0x6
	v_subrev_nc_u32_e32 v30, s12, v30
	v_lshlrev_b32_e32 v30, 2, v30
	s_delay_alu instid0(VALU_DEP_1) | instskip(SKIP_1) | instid1(VALU_DEP_1)
	v_ashrrev_i32_e32 v31, 31, v30
	s_wait_kmcnt 0x0
	v_lshl_add_u64 v[70:71], v[30:31], 3, s[4:5]
	global_load_b128 v[30:33], v[70:71], off
	s_clause 0x5
	global_load_b128 v[34:37], v[16:17], off offset:48
	global_load_b128 v[38:41], v[16:17], off offset:112
	;; [unrolled: 1-line block ×7, first 2 shown]
	s_clause 0x1
	global_load_b128 v[62:65], v[16:17], off offset:8208
	global_load_b128 v[66:69], v[16:17], off offset:8192
	s_wait_loadcnt 0xf
	s_wait_xcnt 0x2
	v_subrev_nc_u32_e32 v70, s12, v72
	s_delay_alu instid0(VALU_DEP_1) | instskip(NEXT) | instid1(VALU_DEP_1)
	v_lshlrev_b32_e32 v70, 2, v70
	v_ashrrev_i32_e32 v71, 31, v70
	s_delay_alu instid0(VALU_DEP_1)
	v_lshl_add_u64 v[98:99], v[70:71], 3, s[4:5]
	global_load_b128 v[70:73], v[98:99], off
	s_clause 0x2
	global_load_b128 v[74:77], v[16:17], off offset:8240
	global_load_b128 v[78:81], v[16:17], off offset:8272
	;; [unrolled: 1-line block ×4, first 2 shown]
	s_clause 0x1
	global_load_b128 v[90:93], v[16:17], off offset:8288
	global_load_b128 v[94:97], v[16:17], off offset:8304
	s_wait_loadcnt 0x15
	s_wait_xcnt 0x2
	v_subrev_nc_u32_e32 v98, s12, v100
	s_delay_alu instid0(VALU_DEP_1) | instskip(SKIP_2) | instid1(VALU_DEP_1)
	v_lshlrev_b32_e32 v102, 2, v98
	global_load_b128 v[98:101], v[16:17], off offset:16400
	v_ashrrev_i32_e32 v103, 31, v102
	v_lshl_add_u64 v[110:111], v[102:103], 3, s[4:5]
	global_load_b128 v[102:105], v[16:17], off offset:16384
	global_load_b128 v[106:109], v[110:111], off
	s_wait_loadcnt 0x13
	v_fmac_f64_e32 v[4:5], v[26:27], v[30:31]
	v_fmac_f64_e32 v[12:13], v[28:29], v[30:31]
	global_load_b128 v[26:29], v[16:17], off offset:16416
	v_fmac_f64_e32 v[6:7], v[22:23], v[30:31]
	v_fmac_f64_e32 v[0:1], v[24:25], v[30:31]
	global_load_b128 v[22:25], v[16:17], off offset:16432
	;; [unrolled: 3-line block ×3, first 2 shown]
	s_wait_loadcnt 0x15
	v_fmac_f64_e32 v[6:7], v[34:35], v[32:33]
	v_fmac_f64_e32 v[0:1], v[36:37], v[32:33]
	global_load_b128 v[30:33], v[16:17], off offset:16464
	global_load_b128 v[34:37], v[110:111], off offset:16
	s_wait_loadcnt 0x11
	v_fmac_f64_e32 v[4:5], v[50:51], v[58:59]
	v_fmac_f64_e32 v[12:13], v[52:53], v[58:59]
	global_load_b128 v[50:53], v[16:17], off offset:16480
	v_fmac_f64_e32 v[6:7], v[46:47], v[58:59]
	v_fmac_f64_e32 v[0:1], v[48:49], v[58:59]
	global_load_b128 v[46:49], v[16:17], off offset:16496
	v_subrev_nc_u32_e32 v58, s12, v112
	s_delay_alu instid0(VALU_DEP_1) | instskip(NEXT) | instid1(VALU_DEP_1)
	v_lshlrev_b32_e32 v58, 2, v58
	v_ashrrev_i32_e32 v59, 31, v58
	s_wait_xcnt 0x2
	s_delay_alu instid0(VALU_DEP_1)
	v_lshl_add_u64 v[110:111], v[58:59], 3, s[4:5]
	v_fmac_f64_e32 v[4:5], v[42:43], v[60:61]
	v_fmac_f64_e32 v[12:13], v[44:45], v[60:61]
	global_load_b128 v[42:45], v[16:17], off offset:24592
	v_fmac_f64_e32 v[6:7], v[38:39], v[60:61]
	v_fmac_f64_e32 v[0:1], v[40:41], v[60:61]
	global_load_b128 v[38:41], v[16:17], off offset:24576
	global_load_b128 v[58:61], v[110:111], off
	s_wait_loadcnt 0x13
	v_fmac_f64_e32 v[4:5], v[66:67], v[70:71]
	v_fmac_f64_e32 v[12:13], v[68:69], v[70:71]
	global_load_b128 v[66:69], v[16:17], off offset:24608
	v_fmac_f64_e32 v[6:7], v[62:63], v[70:71]
	v_fmac_f64_e32 v[0:1], v[64:65], v[70:71]
	global_load_b128 v[62:65], v[16:17], off offset:24624
	;; [unrolled: 3-line block ×3, first 2 shown]
	s_wait_loadcnt 0x15
	v_fmac_f64_e32 v[6:7], v[74:75], v[72:73]
	v_fmac_f64_e32 v[0:1], v[76:77], v[72:73]
	global_load_b128 v[70:73], v[16:17], off offset:24656
	global_load_b128 v[74:77], v[110:111], off offset:16
	s_wait_loadcnt 0x14
	v_fmac_f64_e32 v[4:5], v[82:83], v[86:87]
	v_fmac_f64_e32 v[12:13], v[84:85], v[86:87]
	global_load_b128 v[82:85], v[16:17], off offset:24672
	v_fmac_f64_e32 v[6:7], v[78:79], v[86:87]
	v_fmac_f64_e32 v[0:1], v[80:81], v[86:87]
	global_load_b128 v[78:81], v[16:17], off offset:24688
	s_wait_xcnt 0x0
	v_add_nc_u64_e32 v[16:17], 0x8000, v[16:17]
	s_wait_loadcnt 0x15
	v_fmac_f64_e32 v[4:5], v[90:91], v[88:89]
	v_fmac_f64_e32 v[12:13], v[92:93], v[88:89]
	s_wait_loadcnt 0x14
	v_fmac_f64_e32 v[6:7], v[94:95], v[88:89]
	v_fmac_f64_e32 v[0:1], v[96:97], v[88:89]
	s_wait_loadcnt 0x11
	s_delay_alu instid0(VALU_DEP_4) | instskip(NEXT) | instid1(VALU_DEP_4)
	v_fmac_f64_e32 v[4:5], v[102:103], v[106:107]
	v_fmac_f64_e32 v[12:13], v[104:105], v[106:107]
	s_delay_alu instid0(VALU_DEP_4) | instskip(NEXT) | instid1(VALU_DEP_4)
	v_fmac_f64_e32 v[6:7], v[98:99], v[106:107]
	v_fmac_f64_e32 v[0:1], v[100:101], v[106:107]
	s_wait_loadcnt 0x10
	s_delay_alu instid0(VALU_DEP_4) | instskip(NEXT) | instid1(VALU_DEP_4)
	v_fmac_f64_e32 v[4:5], v[26:27], v[108:109]
	v_fmac_f64_e32 v[12:13], v[28:29], v[108:109]
	s_wait_loadcnt 0xf
	s_delay_alu instid0(VALU_DEP_4) | instskip(NEXT) | instid1(VALU_DEP_4)
	v_fmac_f64_e32 v[6:7], v[22:23], v[108:109]
	v_fmac_f64_e32 v[0:1], v[24:25], v[108:109]
	s_wait_loadcnt 0xc
	s_delay_alu instid0(VALU_DEP_4) | instskip(NEXT) | instid1(VALU_DEP_4)
	v_fmac_f64_e32 v[4:5], v[18:19], v[34:35]
	v_fmac_f64_e32 v[12:13], v[20:21], v[34:35]
	s_delay_alu instid0(VALU_DEP_4) | instskip(NEXT) | instid1(VALU_DEP_4)
	v_fmac_f64_e32 v[6:7], v[30:31], v[34:35]
	v_fmac_f64_e32 v[0:1], v[32:33], v[34:35]
	s_wait_loadcnt 0xb
	s_delay_alu instid0(VALU_DEP_4) | instskip(NEXT) | instid1(VALU_DEP_4)
	v_fmac_f64_e32 v[4:5], v[50:51], v[36:37]
	v_fmac_f64_e32 v[12:13], v[52:53], v[36:37]
	s_wait_loadcnt 0xa
	s_delay_alu instid0(VALU_DEP_4) | instskip(NEXT) | instid1(VALU_DEP_4)
	;; [unrolled: 15-line block ×4, first 2 shown]
	v_fmac_f64_e32 v[6:7], v[78:79], v[76:77]
	v_fmac_f64_e32 v[0:1], v[80:81], v[76:77]
	s_and_not1_b32 exec_lo, exec_lo, s6
	s_cbranch_execnz .LBB9_33
; %bb.34:
	s_or_b32 exec_lo, exec_lo, s6
.LBB9_35:
	s_delay_alu instid0(SALU_CYCLE_1)
	s_or_b32 exec_lo, exec_lo, s2
.LBB9_36:
	s_delay_alu instid0(SALU_CYCLE_1)
	s_or_b32 exec_lo, exec_lo, s3
.LBB9_37:
	v_mbcnt_lo_u32_b32 v24, -1, 0
	s_delay_alu instid0(VALU_DEP_1) | instskip(NEXT) | instid1(VALU_DEP_1)
	v_or_b32_e32 v14, 32, v24
	v_cmp_gt_i32_e32 vcc_lo, 32, v14
	v_cndmask_b32_e32 v14, v24, v14, vcc_lo
	s_delay_alu instid0(VALU_DEP_1)
	v_lshlrev_b32_e32 v21, 2, v14
	ds_bpermute_b32 v16, v21, v12
	ds_bpermute_b32 v17, v21, v13
	s_wait_dscnt 0x0
	v_add_f64_e32 v[12:13], v[12:13], v[16:17]
	ds_bpermute_b32 v14, v21, v4
	ds_bpermute_b32 v15, v21, v5
	ds_bpermute_b32 v18, v21, v6
	ds_bpermute_b32 v19, v21, v7
	ds_bpermute_b32 v20, v21, v0
	ds_bpermute_b32 v21, v21, v1
	s_wait_dscnt 0x4
	v_dual_add_f64 v[4:5], v[4:5], v[14:15] :: v_dual_bitop2_b32 v14, 16, v24 bitop3:0x14
	s_wait_dscnt 0x2
	v_add_f64_e32 v[6:7], v[6:7], v[18:19]
	s_delay_alu instid0(VALU_DEP_2) | instskip(SKIP_2) | instid1(VALU_DEP_1)
	v_cmp_gt_i32_e32 vcc_lo, 32, v14
	v_cndmask_b32_e32 v14, v24, v14, vcc_lo
	s_wait_dscnt 0x0
	v_dual_add_f64 v[0:1], v[0:1], v[20:21] :: v_dual_lshlrev_b32 v21, 2, v14
	ds_bpermute_b32 v16, v21, v12
	ds_bpermute_b32 v17, v21, v13
	ds_bpermute_b32 v14, v21, v4
	ds_bpermute_b32 v15, v21, v5
	ds_bpermute_b32 v18, v21, v6
	ds_bpermute_b32 v19, v21, v7
	ds_bpermute_b32 v20, v21, v0
	ds_bpermute_b32 v21, v21, v1
	s_wait_dscnt 0x4
	v_dual_add_f64 v[4:5], v[4:5], v[14:15] :: v_dual_bitop2_b32 v14, 8, v24 bitop3:0x14
	s_wait_dscnt 0x2
	v_add_f64_e32 v[6:7], v[6:7], v[18:19]
	s_delay_alu instid0(VALU_DEP_2) | instskip(SKIP_3) | instid1(VALU_DEP_2)
	v_cmp_gt_i32_e32 vcc_lo, 32, v14
	v_cndmask_b32_e32 v14, v24, v14, vcc_lo
	v_add_f64_e32 v[12:13], v[12:13], v[16:17]
	s_wait_dscnt 0x0
	v_dual_add_f64 v[0:1], v[0:1], v[20:21] :: v_dual_lshlrev_b32 v21, 2, v14
	ds_bpermute_b32 v14, v21, v4
	ds_bpermute_b32 v15, v21, v5
	ds_bpermute_b32 v16, v21, v12
	ds_bpermute_b32 v17, v21, v13
	ds_bpermute_b32 v20, v21, v0
	s_wait_dscnt 0x3
	v_dual_add_f64 v[4:5], v[4:5], v[14:15] :: v_dual_bitop2_b32 v14, 4, v24 bitop3:0x14
	ds_bpermute_b32 v18, v21, v6
	ds_bpermute_b32 v19, v21, v7
	;; [unrolled: 1-line block ×3, first 2 shown]
	v_cmp_gt_i32_e32 vcc_lo, 32, v14
	v_cndmask_b32_e32 v14, v24, v14, vcc_lo
	s_wait_dscnt 0x4
	v_add_f64_e32 v[12:13], v[12:13], v[16:17]
	s_wait_dscnt 0x1
	v_add_f64_e32 v[6:7], v[6:7], v[18:19]
	s_wait_dscnt 0x0
	v_dual_add_f64 v[0:1], v[0:1], v[20:21] :: v_dual_lshlrev_b32 v21, 2, v14
	ds_bpermute_b32 v14, v21, v4
	ds_bpermute_b32 v15, v21, v5
	;; [unrolled: 1-line block ×4, first 2 shown]
	s_wait_dscnt 0x2
	v_add_f64_e32 v[4:5], v[4:5], v[14:15]
	ds_bpermute_b32 v18, v21, v6
	ds_bpermute_b32 v19, v21, v7
	;; [unrolled: 1-line block ×4, first 2 shown]
	s_wait_dscnt 0x4
	v_add_f64_e32 v[14:15], v[12:13], v[16:17]
	s_wait_dscnt 0x2
	v_add_f64_e32 v[16:17], v[6:7], v[18:19]
	;; [unrolled: 2-line block ×3, first 2 shown]
	v_xor_b32_e32 v0, 2, v24
	s_delay_alu instid0(VALU_DEP_1) | instskip(SKIP_1) | instid1(VALU_DEP_1)
	v_cmp_gt_i32_e32 vcc_lo, 32, v0
	v_cndmask_b32_e32 v0, v24, v0, vcc_lo
	v_lshlrev_b32_e32 v12, 2, v0
	ds_bpermute_b32 v0, v12, v4
	ds_bpermute_b32 v1, v12, v5
	ds_bpermute_b32 v6, v12, v14
	ds_bpermute_b32 v7, v12, v15
	ds_bpermute_b32 v20, v12, v16
	ds_bpermute_b32 v21, v12, v17
	ds_bpermute_b32 v22, v12, v18
	ds_bpermute_b32 v23, v12, v19
	s_wait_dscnt 0x6
	v_add_f64_e32 v[12:13], v[4:5], v[0:1]
	s_wait_dscnt 0x4
	v_dual_add_f64 v[6:7], v[14:15], v[6:7] :: v_dual_bitop2_b32 v14, 1, v24 bitop3:0x14
	s_delay_alu instid0(VALU_DEP_1)
	v_cmp_gt_i32_e32 vcc_lo, 32, v14
	s_wait_dscnt 0x2
	v_add_f64_e32 v[0:1], v[16:17], v[20:21]
	s_wait_dscnt 0x0
	v_add_f64_e32 v[4:5], v[18:19], v[22:23]
	v_cndmask_b32_e32 v14, v24, v14, vcc_lo
	v_cmp_eq_u32_e32 vcc_lo, 63, v11
	s_delay_alu instid0(VALU_DEP_2)
	v_lshlrev_b32_e32 v15, 2, v14
	ds_bpermute_b32 v20, v15, v12
	ds_bpermute_b32 v21, v15, v13
	;; [unrolled: 1-line block ×8, first 2 shown]
	s_and_b32 exec_lo, exec_lo, vcc_lo
	s_cbranch_execz .LBB9_10
; %bb.38:
	s_wait_dscnt 0x6
	v_dual_add_f64 v[12:13], v[12:13], v[20:21] :: v_dual_lshlrev_b32 v10, 2, v10
	s_wait_dscnt 0x4
	v_add_f64_e32 v[6:7], v[6:7], v[18:19]
	s_wait_dscnt 0x2
	v_add_f64_e32 v[0:1], v[0:1], v[16:17]
	;; [unrolled: 2-line block ×3, first 2 shown]
	s_load_b64 s[0:1], s[0:1], 0x50
	s_mov_b32 s2, exec_lo
	s_delay_alu instid0(VALU_DEP_4) | instskip(NEXT) | instid1(VALU_DEP_4)
	v_mul_f64_e32 v[4:5], v[2:3], v[12:13]
	v_mul_f64_e32 v[6:7], v[2:3], v[6:7]
	s_delay_alu instid0(VALU_DEP_4) | instskip(NEXT) | instid1(VALU_DEP_4)
	v_mul_f64_e32 v[0:1], v[2:3], v[0:1]
	v_mul_f64_e32 v[2:3], v[2:3], v[14:15]
	v_cmpx_eq_f64_e32 0, v[8:9]
	s_xor_b32 s2, exec_lo, s2
	s_cbranch_execz .LBB9_40
; %bb.39:
	v_ashrrev_i32_e32 v11, 31, v10
	s_wait_kmcnt 0x0
	s_delay_alu instid0(VALU_DEP_1)
	v_lshl_add_u64 v[8:9], v[10:11], 3, s[0:1]
                                        ; implicit-def: $vgpr10
	s_clause 0x1
	global_store_b128 v[8:9], v[4:7], off
	global_store_b128 v[8:9], v[0:3], off offset:16
                                        ; implicit-def: $vgpr8_vgpr9
                                        ; implicit-def: $vgpr4_vgpr5
                                        ; implicit-def: $vgpr0_vgpr1
.LBB9_40:
	s_wait_xcnt 0x0
	s_and_not1_saveexec_b32 s2, s2
	s_cbranch_execz .LBB9_10
; %bb.41:
	v_ashrrev_i32_e32 v11, 31, v10
	s_wait_kmcnt 0x0
	s_delay_alu instid0(VALU_DEP_1)
	v_lshl_add_u64 v[18:19], v[10:11], 3, s[0:1]
	s_clause 0x1
	global_load_b128 v[10:13], v[18:19], off
	global_load_b128 v[14:17], v[18:19], off offset:16
	s_wait_loadcnt 0x1
	v_fmac_f64_e32 v[4:5], v[8:9], v[10:11]
	v_fmac_f64_e32 v[6:7], v[8:9], v[12:13]
	s_wait_loadcnt 0x0
	v_fmac_f64_e32 v[0:1], v[8:9], v[14:15]
	v_fmac_f64_e32 v[2:3], v[8:9], v[16:17]
	s_clause 0x1
	global_store_b128 v[18:19], v[4:7], off
	global_store_b128 v[18:19], v[0:3], off offset:16
	s_sendmsg sendmsg(MSG_DEALLOC_VGPRS)
	s_endpgm
	.section	.rodata,"a",@progbits
	.p2align	6, 0x0
	.amdhsa_kernel _ZN9rocsparseL18bsrxmvn_4x4_kernelILj128ELj64EdiidddEEvT3_20rocsparse_direction_NS_24const_host_device_scalarIT1_EES1_PKS1_PKT2_SA_S7_PKT4_PKT5_S5_PT6_21rocsparse_index_base_b
		.amdhsa_group_segment_fixed_size 0
		.amdhsa_private_segment_fixed_size 0
		.amdhsa_kernarg_size 96
		.amdhsa_user_sgpr_count 2
		.amdhsa_user_sgpr_dispatch_ptr 0
		.amdhsa_user_sgpr_queue_ptr 0
		.amdhsa_user_sgpr_kernarg_segment_ptr 1
		.amdhsa_user_sgpr_dispatch_id 0
		.amdhsa_user_sgpr_kernarg_preload_length 0
		.amdhsa_user_sgpr_kernarg_preload_offset 0
		.amdhsa_user_sgpr_private_segment_size 0
		.amdhsa_wavefront_size32 1
		.amdhsa_uses_dynamic_stack 0
		.amdhsa_enable_private_segment 0
		.amdhsa_system_sgpr_workgroup_id_x 1
		.amdhsa_system_sgpr_workgroup_id_y 0
		.amdhsa_system_sgpr_workgroup_id_z 0
		.amdhsa_system_sgpr_workgroup_info 0
		.amdhsa_system_vgpr_workitem_id 0
		.amdhsa_next_free_vgpr 136
		.amdhsa_next_free_sgpr 14
		.amdhsa_named_barrier_count 0
		.amdhsa_reserve_vcc 1
		.amdhsa_float_round_mode_32 0
		.amdhsa_float_round_mode_16_64 0
		.amdhsa_float_denorm_mode_32 3
		.amdhsa_float_denorm_mode_16_64 3
		.amdhsa_fp16_overflow 0
		.amdhsa_memory_ordered 1
		.amdhsa_forward_progress 1
		.amdhsa_inst_pref_size 38
		.amdhsa_round_robin_scheduling 0
		.amdhsa_exception_fp_ieee_invalid_op 0
		.amdhsa_exception_fp_denorm_src 0
		.amdhsa_exception_fp_ieee_div_zero 0
		.amdhsa_exception_fp_ieee_overflow 0
		.amdhsa_exception_fp_ieee_underflow 0
		.amdhsa_exception_fp_ieee_inexact 0
		.amdhsa_exception_int_div_zero 0
	.end_amdhsa_kernel
	.section	.text._ZN9rocsparseL18bsrxmvn_4x4_kernelILj128ELj64EdiidddEEvT3_20rocsparse_direction_NS_24const_host_device_scalarIT1_EES1_PKS1_PKT2_SA_S7_PKT4_PKT5_S5_PT6_21rocsparse_index_base_b,"axG",@progbits,_ZN9rocsparseL18bsrxmvn_4x4_kernelILj128ELj64EdiidddEEvT3_20rocsparse_direction_NS_24const_host_device_scalarIT1_EES1_PKS1_PKT2_SA_S7_PKT4_PKT5_S5_PT6_21rocsparse_index_base_b,comdat
.Lfunc_end9:
	.size	_ZN9rocsparseL18bsrxmvn_4x4_kernelILj128ELj64EdiidddEEvT3_20rocsparse_direction_NS_24const_host_device_scalarIT1_EES1_PKS1_PKT2_SA_S7_PKT4_PKT5_S5_PT6_21rocsparse_index_base_b, .Lfunc_end9-_ZN9rocsparseL18bsrxmvn_4x4_kernelILj128ELj64EdiidddEEvT3_20rocsparse_direction_NS_24const_host_device_scalarIT1_EES1_PKS1_PKT2_SA_S7_PKT4_PKT5_S5_PT6_21rocsparse_index_base_b
                                        ; -- End function
	.set _ZN9rocsparseL18bsrxmvn_4x4_kernelILj128ELj64EdiidddEEvT3_20rocsparse_direction_NS_24const_host_device_scalarIT1_EES1_PKS1_PKT2_SA_S7_PKT4_PKT5_S5_PT6_21rocsparse_index_base_b.num_vgpr, 136
	.set _ZN9rocsparseL18bsrxmvn_4x4_kernelILj128ELj64EdiidddEEvT3_20rocsparse_direction_NS_24const_host_device_scalarIT1_EES1_PKS1_PKT2_SA_S7_PKT4_PKT5_S5_PT6_21rocsparse_index_base_b.num_agpr, 0
	.set _ZN9rocsparseL18bsrxmvn_4x4_kernelILj128ELj64EdiidddEEvT3_20rocsparse_direction_NS_24const_host_device_scalarIT1_EES1_PKS1_PKT2_SA_S7_PKT4_PKT5_S5_PT6_21rocsparse_index_base_b.numbered_sgpr, 14
	.set _ZN9rocsparseL18bsrxmvn_4x4_kernelILj128ELj64EdiidddEEvT3_20rocsparse_direction_NS_24const_host_device_scalarIT1_EES1_PKS1_PKT2_SA_S7_PKT4_PKT5_S5_PT6_21rocsparse_index_base_b.num_named_barrier, 0
	.set _ZN9rocsparseL18bsrxmvn_4x4_kernelILj128ELj64EdiidddEEvT3_20rocsparse_direction_NS_24const_host_device_scalarIT1_EES1_PKS1_PKT2_SA_S7_PKT4_PKT5_S5_PT6_21rocsparse_index_base_b.private_seg_size, 0
	.set _ZN9rocsparseL18bsrxmvn_4x4_kernelILj128ELj64EdiidddEEvT3_20rocsparse_direction_NS_24const_host_device_scalarIT1_EES1_PKS1_PKT2_SA_S7_PKT4_PKT5_S5_PT6_21rocsparse_index_base_b.uses_vcc, 1
	.set _ZN9rocsparseL18bsrxmvn_4x4_kernelILj128ELj64EdiidddEEvT3_20rocsparse_direction_NS_24const_host_device_scalarIT1_EES1_PKS1_PKT2_SA_S7_PKT4_PKT5_S5_PT6_21rocsparse_index_base_b.uses_flat_scratch, 0
	.set _ZN9rocsparseL18bsrxmvn_4x4_kernelILj128ELj64EdiidddEEvT3_20rocsparse_direction_NS_24const_host_device_scalarIT1_EES1_PKS1_PKT2_SA_S7_PKT4_PKT5_S5_PT6_21rocsparse_index_base_b.has_dyn_sized_stack, 0
	.set _ZN9rocsparseL18bsrxmvn_4x4_kernelILj128ELj64EdiidddEEvT3_20rocsparse_direction_NS_24const_host_device_scalarIT1_EES1_PKS1_PKT2_SA_S7_PKT4_PKT5_S5_PT6_21rocsparse_index_base_b.has_recursion, 0
	.set _ZN9rocsparseL18bsrxmvn_4x4_kernelILj128ELj64EdiidddEEvT3_20rocsparse_direction_NS_24const_host_device_scalarIT1_EES1_PKS1_PKT2_SA_S7_PKT4_PKT5_S5_PT6_21rocsparse_index_base_b.has_indirect_call, 0
	.section	.AMDGPU.csdata,"",@progbits
; Kernel info:
; codeLenInByte = 4776
; TotalNumSgprs: 16
; NumVgprs: 136
; ScratchSize: 0
; MemoryBound: 1
; FloatMode: 240
; IeeeMode: 1
; LDSByteSize: 0 bytes/workgroup (compile time only)
; SGPRBlocks: 0
; VGPRBlocks: 8
; NumSGPRsForWavesPerEU: 16
; NumVGPRsForWavesPerEU: 136
; NamedBarCnt: 0
; Occupancy: 7
; WaveLimiterHint : 1
; COMPUTE_PGM_RSRC2:SCRATCH_EN: 0
; COMPUTE_PGM_RSRC2:USER_SGPR: 2
; COMPUTE_PGM_RSRC2:TRAP_HANDLER: 0
; COMPUTE_PGM_RSRC2:TGID_X_EN: 1
; COMPUTE_PGM_RSRC2:TGID_Y_EN: 0
; COMPUTE_PGM_RSRC2:TGID_Z_EN: 0
; COMPUTE_PGM_RSRC2:TIDIG_COMP_CNT: 0
	.section	.text._ZN9rocsparseL18bsrxmvn_4x4_kernelILj128ELj4E21rocsparse_complex_numIfEiiS2_S2_S2_EEvT3_20rocsparse_direction_NS_24const_host_device_scalarIT1_EES3_PKS3_PKT2_SC_S9_PKT4_PKT5_S7_PT6_21rocsparse_index_base_b,"axG",@progbits,_ZN9rocsparseL18bsrxmvn_4x4_kernelILj128ELj4E21rocsparse_complex_numIfEiiS2_S2_S2_EEvT3_20rocsparse_direction_NS_24const_host_device_scalarIT1_EES3_PKS3_PKT2_SC_S9_PKT4_PKT5_S7_PT6_21rocsparse_index_base_b,comdat
	.globl	_ZN9rocsparseL18bsrxmvn_4x4_kernelILj128ELj4E21rocsparse_complex_numIfEiiS2_S2_S2_EEvT3_20rocsparse_direction_NS_24const_host_device_scalarIT1_EES3_PKS3_PKT2_SC_S9_PKT4_PKT5_S7_PT6_21rocsparse_index_base_b ; -- Begin function _ZN9rocsparseL18bsrxmvn_4x4_kernelILj128ELj4E21rocsparse_complex_numIfEiiS2_S2_S2_EEvT3_20rocsparse_direction_NS_24const_host_device_scalarIT1_EES3_PKS3_PKT2_SC_S9_PKT4_PKT5_S7_PT6_21rocsparse_index_base_b
	.p2align	8
	.type	_ZN9rocsparseL18bsrxmvn_4x4_kernelILj128ELj4E21rocsparse_complex_numIfEiiS2_S2_S2_EEvT3_20rocsparse_direction_NS_24const_host_device_scalarIT1_EES3_PKS3_PKT2_SC_S9_PKT4_PKT5_S7_PT6_21rocsparse_index_base_b,@function
_ZN9rocsparseL18bsrxmvn_4x4_kernelILj128ELj4E21rocsparse_complex_numIfEiiS2_S2_S2_EEvT3_20rocsparse_direction_NS_24const_host_device_scalarIT1_EES3_PKS3_PKT2_SC_S9_PKT4_PKT5_S7_PT6_21rocsparse_index_base_b: ; @_ZN9rocsparseL18bsrxmvn_4x4_kernelILj128ELj4E21rocsparse_complex_numIfEiiS2_S2_S2_EEvT3_20rocsparse_direction_NS_24const_host_device_scalarIT1_EES3_PKS3_PKT2_SC_S9_PKT4_PKT5_S7_PT6_21rocsparse_index_base_b
; %bb.0:
	s_clause 0x2
	s_load_b64 s[12:13], s[0:1], 0x58
	s_load_b64 s[2:3], s[0:1], 0x8
	;; [unrolled: 1-line block ×3, first 2 shown]
	v_mov_b32_e32 v1, 0
	s_add_nc_u64 s[6:7], s[0:1], 8
	s_add_nc_u64 s[8:9], s[0:1], 0x48
	s_wait_kmcnt 0x0
	s_bitcmp1_b32 s13, 0
	s_cselect_b32 s3, s7, s3
	s_cselect_b32 s2, s6, s2
	;; [unrolled: 1-line block ×4, first 2 shown]
	s_clause 0x1
	flat_load_b64 v[2:3], v1, s[2:3]
	flat_load_b64 v[4:5], v1, s[4:5]
	s_wait_loadcnt_dscnt 0x101
	v_cmp_neq_f32_e32 vcc_lo, 0, v2
	v_cmp_neq_f32_e64 s3, 0, v3
	s_wait_loadcnt_dscnt 0x0
	v_cmp_neq_f32_e64 s4, 1.0, v4
	v_cmp_neq_f32_e64 s2, 0, v5
	s_or_b32 s5, vcc_lo, s3
	s_mov_b32 s3, 0
	s_or_b32 s4, s4, s2
	s_delay_alu instid0(SALU_CYCLE_1) | instskip(NEXT) | instid1(SALU_CYCLE_1)
	s_or_b32 s4, s5, s4
	s_and_saveexec_b32 s5, s4
	s_cbranch_execz .LBB10_6
; %bb.1:
	s_clause 0x1
	s_load_b64 s[4:5], s[0:1], 0x18
	s_load_b64 s[14:15], s[0:1], 0x0
	s_bfe_u32 s6, ttmp6, 0x4000c
	s_and_b32 s7, ttmp6, 15
	s_add_co_i32 s6, s6, 1
	s_getreg_b32 s8, hwreg(HW_REG_IB_STS2, 6, 4)
	s_mul_i32 s6, ttmp9, s6
	v_lshrrev_b32_e32 v1, 2, v0
	s_add_co_i32 s7, s7, s6
	s_cmp_eq_u32 s8, 0
	s_cselect_b32 s6, ttmp9, s7
	s_delay_alu instid0(VALU_DEP_1) | instid1(SALU_CYCLE_1)
	v_lshl_or_b32 v6, s6, 5, v1
	s_wait_kmcnt 0x0
	s_cmp_lg_u64 s[4:5], 0
	s_cbranch_scc0 .LBB10_7
; %bb.2:
	s_load_b32 s3, s[0:1], 0x10
	s_mov_b32 s6, 0
                                        ; implicit-def: $vgpr1
	s_wait_kmcnt 0x0
	v_cmp_gt_i32_e32 vcc_lo, s3, v6
	s_mov_b32 s3, 0
	s_and_saveexec_b32 s7, vcc_lo
	s_delay_alu instid0(SALU_CYCLE_1)
	s_xor_b32 s7, exec_lo, s7
	s_cbranch_execz .LBB10_4
; %bb.3:
	global_load_b32 v1, v6, s[4:5] scale_offset
	s_mov_b32 s3, exec_lo
	s_wait_loadcnt 0x0
	v_subrev_nc_u32_e32 v1, s12, v1
.LBB10_4:
	s_or_b32 exec_lo, exec_lo, s7
	s_delay_alu instid0(SALU_CYCLE_1)
	s_and_b32 vcc_lo, exec_lo, s6
	s_cbranch_vccz .LBB10_8
.LBB10_5:
	v_cmp_gt_i32_e32 vcc_lo, s14, v6
	s_and_not1_b32 s3, s3, exec_lo
	s_and_b32 s4, vcc_lo, exec_lo
	s_delay_alu instid0(SALU_CYCLE_1) | instskip(NEXT) | instid1(SALU_CYCLE_1)
	s_or_b32 s3, s3, s4
	s_and_b32 exec_lo, exec_lo, s3
	s_cbranch_execnz .LBB10_9
.LBB10_6:
	s_sendmsg sendmsg(MSG_DEALLOC_VGPRS)
	s_endpgm
.LBB10_7:
                                        ; implicit-def: $vgpr1
	s_cbranch_execnz .LBB10_5
.LBB10_8:
	s_delay_alu instid0(VALU_DEP_1)
	v_mov_b32_e32 v6, v1
	s_and_b32 exec_lo, exec_lo, s3
	s_cbranch_execz .LBB10_6
.LBB10_9:
	s_load_b256 s[4:11], s[0:1], 0x20
	s_wait_kmcnt 0x0
	s_cmp_eq_u64 s[6:7], 0
	global_load_b32 v20, v6, s[4:5] scale_offset
	s_cselect_b32 vcc_lo, -1, 0
	v_ashrrev_i32_e32 v7, 31, v6
	s_cmp_eq_u32 s15, 1
	s_delay_alu instid0(VALU_DEP_1) | instskip(SKIP_1) | instid1(VALU_DEP_2)
	v_lshlrev_b64_e32 v[8:9], 2, v[6:7]
	v_and_b32_e32 v7, 3, v0
	v_add_nc_u64_e32 v[10:11], s[4:5], v[8:9]
	v_add_nc_u64_e32 v[8:9], s[6:7], v[8:9]
	s_wait_xcnt 0x0
	s_load_b64 s[4:5], s[0:1], 0x40
	s_delay_alu instid0(VALU_DEP_2) | instskip(NEXT) | instid1(VALU_DEP_1)
	v_add_nc_u64_e32 v[10:11], 4, v[10:11]
	v_dual_cndmask_b32 v9, v9, v11 :: v_dual_cndmask_b32 v8, v8, v10
	global_load_b32 v10, v[8:9], off
	s_wait_loadcnt 0x1
	v_subrev_nc_u32_e32 v0, s12, v20
	s_delay_alu instid0(VALU_DEP_1) | instskip(NEXT) | instid1(VALU_DEP_1)
	v_add_nc_u32_e32 v0, v0, v7
	v_ashrrev_i32_e32 v1, 31, v0
	s_wait_xcnt 0x0
	s_delay_alu instid0(VALU_DEP_1) | instskip(NEXT) | instid1(VALU_DEP_1)
	v_lshlrev_b64_e32 v[8:9], 7, v[0:1]
	v_add_nc_u64_e32 v[8:9], s[10:11], v[8:9]
	s_wait_loadcnt 0x0
	v_subrev_nc_u32_e32 v1, s12, v10
	s_delay_alu instid0(VALU_DEP_1)
	v_cmp_lt_i32_e64 s3, v0, v1
	s_cbranch_scc1 .LBB10_21
; %bb.10:
	v_dual_mov_b32 v17, 0 :: v_dual_mov_b32 v16, 0
	v_dual_mov_b32 v11, 0 :: v_dual_mov_b32 v10, 0
	;; [unrolled: 1-line block ×4, first 2 shown]
	s_and_saveexec_b32 s6, s3
	s_cbranch_execz .LBB10_20
; %bb.11:
	v_add_nc_u32_e32 v10, v20, v7
	v_not_b32_e32 v11, v20
	v_mov_b64_e32 v[16:17], 0
	v_mov_b64_e32 v[12:13], 0
	;; [unrolled: 1-line block ×3, first 2 shown]
	v_subrev_nc_u32_e32 v10, s12, v10
	v_mov_b64_e32 v[18:19], v[8:9]
	s_delay_alu instid0(VALU_DEP_2) | instskip(NEXT) | instid1(VALU_DEP_1)
	v_add_max_i32_e64 v10, v10, 4, v1
	v_add3_u32 v10, s12, v10, v11
	s_delay_alu instid0(VALU_DEP_1) | instskip(SKIP_1) | instid1(VALU_DEP_2)
	v_sub_nc_u32_e32 v22, v10, v7
	v_mov_b64_e32 v[10:11], 0
	v_and_b32_e32 v21, 12, v22
	s_delay_alu instid0(VALU_DEP_1)
	v_cmp_ne_u32_e32 vcc_lo, 12, v21
	v_mov_b32_e32 v21, v0
	s_and_saveexec_b32 s7, vcc_lo
	s_cbranch_execz .LBB10_15
; %bb.12:
	v_dual_lshrrev_b32 v10, 2, v22 :: v_dual_mov_b32 v14, 0
	v_mov_b64_e32 v[18:19], v[8:9]
	s_mov_b32 s10, 0
	s_delay_alu instid0(VALU_DEP_2) | instskip(NEXT) | instid1(VALU_DEP_3)
	v_dual_mov_b32 v21, v0 :: v_dual_add_nc_u32 v10, 1, v10
	v_dual_mov_b32 v15, v14 :: v_dual_mov_b32 v12, v14
	v_dual_mov_b32 v13, v14 :: v_dual_mov_b32 v11, v14
	s_delay_alu instid0(VALU_DEP_3) | instskip(NEXT) | instid1(VALU_DEP_1)
	v_dual_mov_b32 v10, v14 :: v_dual_bitop2_b32 v17, 3, v10 bitop3:0x40
	v_dual_mov_b32 v16, v14 :: v_dual_sub_nc_u32 v23, 0, v17
	v_mov_b32_e32 v17, v14
.LBB10_13:                              ; =>This Inner Loop Header: Depth=1
	global_load_b32 v56, v21, s[8:9] scale_offset
	s_clause 0x7
	global_load_b128 v[24:27], v[18:19], off offset:48
	global_load_b128 v[28:31], v[18:19], off offset:32
	;; [unrolled: 1-line block ×3, first 2 shown]
	global_load_b128 v[36:39], v[18:19], off
	global_load_b128 v[40:43], v[18:19], off offset:112
	global_load_b128 v[44:47], v[18:19], off offset:96
	;; [unrolled: 1-line block ×4, first 2 shown]
	s_wait_xcnt 0x0
	v_add_nc_u64_e32 v[18:19], 0x200, v[18:19]
	v_add_co_u32 v23, s11, v23, 1
	s_or_b32 s10, s11, s10
	v_add_nc_u32_e32 v21, 4, v21
	s_wait_loadcnt 0x8
	v_subrev_nc_u32_e32 v56, s12, v56
	s_wait_loadcnt 0x7
	v_mov_b32_e32 v71, v26
	s_wait_loadcnt 0x6
	v_xor_b32_e32 v68, 0x80000000, v31
	s_wait_loadcnt 0x5
	v_dual_mov_b32 v67, v34 :: v_dual_mov_b32 v69, v30
	v_lshlrev_b32_e32 v56, 2, v56
	s_wait_loadcnt 0x2
	v_xor_b32_e32 v76, 0x80000000, v47
	s_wait_loadcnt 0x1
	v_dual_mov_b32 v75, v50 :: v_dual_mov_b32 v77, v46
	s_wait_loadcnt 0x0
	v_xor_b32_e32 v72, 0x80000000, v55
	v_dual_ashrrev_i32 v57, 31, v56 :: v_dual_mov_b32 v73, v54
	v_xor_b32_e32 v66, 0x80000000, v35
	v_xor_b32_e32 v70, 0x80000000, v27
	v_xor_b32_e32 v74, 0x80000000, v51
	s_wait_kmcnt 0x0
	v_lshl_add_u64 v[64:65], v[56:57], 3, s[4:5]
	v_xor_b32_e32 v78, 0x80000000, v43
	s_clause 0x1
	global_load_b128 v[56:59], v[64:65], off
	global_load_b128 v[60:63], v[64:65], off offset:16
	s_wait_xcnt 0x0
	v_xor_b32_e32 v64, 0x80000000, v39
	v_dual_mov_b32 v65, v38 :: v_dual_mov_b32 v79, v42
	s_wait_loadcnt 0x1
	v_mov_b32_e32 v80, v59
	v_pk_fma_f32 v[16:17], v[36:37], v[56:57], v[16:17] op_sel_hi:[1,0,1]
	v_pk_fma_f32 v[14:15], v[28:29], v[56:57], v[14:15] op_sel_hi:[1,0,1]
	v_pk_fma_f32 v[12:13], v[52:53], v[56:57], v[12:13] op_sel_hi:[1,0,1]
	v_pk_fma_f32 v[10:11], v[44:45], v[56:57], v[10:11] op_sel_hi:[1,0,1]
	s_wait_loadcnt 0x0
	v_mov_b32_e32 v82, v63
	v_pk_fma_f32 v[16:17], v[36:37], v[56:57], v[16:17] op_sel:[1,1,0] op_sel_hi:[0,1,1] neg_lo:[1,0,0]
	v_pk_fma_f32 v[14:15], v[28:29], v[56:57], v[14:15] op_sel:[1,1,0] op_sel_hi:[0,1,1] neg_lo:[1,0,0]
	;; [unrolled: 1-line block ×4, first 2 shown]
	s_delay_alu instid0(VALU_DEP_4) | instskip(NEXT) | instid1(VALU_DEP_4)
	v_pk_fma_f32 v[16:17], v[38:39], v[58:59], v[16:17] op_sel_hi:[1,0,1]
	v_pk_fma_f32 v[14:15], v[30:31], v[58:59], v[14:15] op_sel_hi:[1,0,1]
	s_delay_alu instid0(VALU_DEP_4) | instskip(NEXT) | instid1(VALU_DEP_4)
	v_pk_fma_f32 v[12:13], v[54:55], v[58:59], v[12:13] op_sel_hi:[1,0,1]
	v_pk_fma_f32 v[10:11], v[46:47], v[58:59], v[10:11] op_sel_hi:[1,0,1]
	;; [unrolled: 3-line block ×6, first 2 shown]
	s_delay_alu instid0(VALU_DEP_4) | instskip(NEXT) | instid1(VALU_DEP_4)
	v_pk_fma_f32 v[16:17], v[32:33], v[60:61], v[16:17] op_sel:[1,1,0] op_sel_hi:[0,1,1] neg_lo:[1,0,0]
	v_pk_fma_f32 v[14:15], v[24:25], v[60:61], v[14:15] op_sel:[1,1,0] op_sel_hi:[0,1,1] neg_lo:[1,0,0]
	s_delay_alu instid0(VALU_DEP_4) | instskip(NEXT) | instid1(VALU_DEP_4)
	v_pk_fma_f32 v[12:13], v[48:49], v[60:61], v[12:13] op_sel:[1,1,0] op_sel_hi:[0,1,1] neg_lo:[1,0,0]
	v_pk_fma_f32 v[10:11], v[40:41], v[60:61], v[10:11] op_sel:[1,1,0] op_sel_hi:[0,1,1] neg_lo:[1,0,0]
	s_delay_alu instid0(VALU_DEP_4) | instskip(NEXT) | instid1(VALU_DEP_4)
	v_pk_fma_f32 v[16:17], v[34:35], v[62:63], v[16:17] op_sel_hi:[1,0,1]
	v_pk_fma_f32 v[14:15], v[26:27], v[62:63], v[14:15] op_sel_hi:[1,0,1]
	s_delay_alu instid0(VALU_DEP_4) | instskip(NEXT) | instid1(VALU_DEP_4)
	v_pk_fma_f32 v[12:13], v[50:51], v[62:63], v[12:13] op_sel_hi:[1,0,1]
	v_pk_fma_f32 v[10:11], v[42:43], v[62:63], v[10:11] op_sel_hi:[1,0,1]
	;; [unrolled: 3-line block ×4, first 2 shown]
	s_and_not1_b32 exec_lo, exec_lo, s10
	s_cbranch_execnz .LBB10_13
; %bb.14:
	s_or_b32 exec_lo, exec_lo, s10
.LBB10_15:
	s_delay_alu instid0(SALU_CYCLE_1) | instskip(NEXT) | instid1(SALU_CYCLE_1)
	s_or_b32 exec_lo, exec_lo, s7
	s_mov_b32 s7, exec_lo
	v_cmpx_lt_u32_e32 11, v22
	s_cbranch_execz .LBB10_19
; %bb.16:
	s_mov_b32 s10, 0
.LBB10_17:                              ; =>This Inner Loop Header: Depth=1
	global_load_b32 v118, v21, s[8:9] scale_offset
	s_clause 0xf
	global_load_b128 v[22:25], v[18:19], off
	global_load_b128 v[26:29], v[18:19], off offset:16
	global_load_b128 v[30:33], v[18:19], off offset:48
	;; [unrolled: 1-line block ×15, first 2 shown]
	s_clause 0x2
	global_load_b32 v136, v21, s[8:9] offset:16 scale_offset
	global_load_b32 v137, v21, s[8:9] offset:32 scale_offset
	;; [unrolled: 1-line block ×3, first 2 shown]
	s_clause 0x7
	global_load_b128 v[86:89], v[18:19], off offset:1072
	global_load_b128 v[90:93], v[18:19], off offset:1056
	;; [unrolled: 1-line block ×8, first 2 shown]
	s_wait_loadcnt 0x1b
	v_subrev_nc_u32_e32 v118, s12, v118
	s_wait_loadcnt 0x1a
	v_mov_b32_e32 v127, v24
	v_xor_b32_e32 v126, 0x80000000, v25
	s_delay_alu instid0(VALU_DEP_3)
	v_lshlrev_b32_e32 v118, 2, v118
	s_wait_loadcnt 0x15
	v_xor_b32_e32 v134, 0x80000000, v45
	s_wait_loadcnt 0x13
	v_dual_mov_b32 v135, v44 :: v_dual_mov_b32 v133, v52
	v_xor_b32_e32 v132, 0x80000000, v53
	v_ashrrev_i32_e32 v119, 31, v118
	s_wait_kmcnt 0x0
	s_delay_alu instid0(VALU_DEP_1)
	v_lshl_add_u64 v[128:129], v[118:119], 3, s[4:5]
	s_clause 0x1
	global_load_b128 v[118:121], v[128:129], off
	global_load_b128 v[122:125], v[128:129], off offset:16
	s_wait_xcnt 0x0
	v_xor_b32_e32 v128, 0x80000000, v37
	v_mov_b32_e32 v129, v36
	s_wait_loadcnt 0x1
	v_pk_fma_f32 v[14:15], v[34:35], v[118:119], v[14:15] op_sel_hi:[1,0,1]
	v_pk_fma_f32 v[16:17], v[22:23], v[118:119], v[16:17] op_sel_hi:[1,0,1]
	;; [unrolled: 1-line block ×4, first 2 shown]
	s_delay_alu instid0(VALU_DEP_4) | instskip(NEXT) | instid1(VALU_DEP_4)
	v_pk_fma_f32 v[14:15], v[34:35], v[118:119], v[14:15] op_sel:[1,1,0] op_sel_hi:[0,1,1] neg_lo:[1,0,0]
	v_pk_fma_f32 v[16:17], v[22:23], v[118:119], v[16:17] op_sel:[1,1,0] op_sel_hi:[0,1,1] neg_lo:[1,0,0]
	s_delay_alu instid0(VALU_DEP_4) | instskip(NEXT) | instid1(VALU_DEP_4)
	v_pk_fma_f32 v[12:13], v[50:51], v[118:119], v[12:13] op_sel:[1,1,0] op_sel_hi:[0,1,1] neg_lo:[1,0,0]
	v_pk_fma_f32 v[10:11], v[42:43], v[118:119], v[10:11] op_sel:[1,1,0] op_sel_hi:[0,1,1] neg_lo:[1,0,0]
	v_mov_b32_e32 v118, v121
	v_pk_fma_f32 v[130:131], v[36:37], v[120:121], v[14:15] op_sel_hi:[1,0,1]
	v_pk_fma_f32 v[16:17], v[24:25], v[120:121], v[16:17] op_sel_hi:[1,0,1]
	;; [unrolled: 1-line block ×4, first 2 shown]
	s_clause 0x1
	global_load_b128 v[22:25], v[18:19], off offset:1584
	global_load_b128 v[12:15], v[18:19], off offset:1568
	v_pk_fma_f32 v[120:121], v[128:129], v[118:119], v[130:131] op_sel_hi:[1,0,1]
	v_pk_fma_f32 v[16:17], v[126:127], v[118:119], v[16:17] op_sel_hi:[1,0,1]
	;; [unrolled: 1-line block ×4, first 2 shown]
	v_xor_b32_e32 v132, 0x80000000, v41
	s_wait_loadcnt 0x2
	v_pk_fma_f32 v[120:121], v[30:31], v[122:123], v[120:121] op_sel_hi:[1,0,1]
	v_pk_fma_f32 v[16:17], v[26:27], v[122:123], v[16:17] op_sel_hi:[1,0,1]
	v_mov_b32_e32 v133, v40
	v_pk_fma_f32 v[10:11], v[38:39], v[122:123], v[10:11] op_sel_hi:[1,0,1]
	v_xor_b32_e32 v118, 0x80000000, v29
	v_pk_fma_f32 v[30:31], v[30:31], v[122:123], v[120:121] op_sel:[1,1,0] op_sel_hi:[0,1,1] neg_lo:[1,0,0]
	v_pk_fma_f32 v[16:17], v[26:27], v[122:123], v[16:17] op_sel:[1,1,0] op_sel_hi:[0,1,1] neg_lo:[1,0,0]
	v_mov_b32_e32 v119, v28
	v_pk_fma_f32 v[10:11], v[38:39], v[122:123], v[10:11] op_sel:[1,1,0] op_sel_hi:[0,1,1] neg_lo:[1,0,0]
	v_xor_b32_e32 v128, 0x80000000, v33
	v_pk_fma_f32 v[120:121], v[32:33], v[124:125], v[30:31] op_sel_hi:[1,0,1]
	v_pk_fma_f32 v[30:31], v[46:47], v[122:123], v[126:127] op_sel_hi:[1,0,1]
	;; [unrolled: 1-line block ×4, first 2 shown]
	v_dual_mov_b32 v129, v32 :: v_dual_mov_b32 v131, v48
	s_delay_alu instid0(VALU_DEP_4)
	v_pk_fma_f32 v[30:31], v[46:47], v[122:123], v[30:31] op_sel:[1,1,0] op_sel_hi:[0,1,1] neg_lo:[1,0,0]
	v_subrev_nc_u32_e32 v46, s12, v136
	v_mov_b32_e32 v135, v60
	v_subrev_nc_u32_e32 v136, s12, v137
	v_xor_b32_e32 v130, 0x80000000, v49
	v_pk_fma_f32 v[126:127], v[48:49], v[124:125], v[30:31] op_sel_hi:[1,0,1]
	v_dual_mov_b32 v123, v68 :: v_dual_lshlrev_b32 v38, 2, v46
	v_mov_b32_e32 v124, v125
	v_subrev_nc_u32_e32 v137, s12, v138
	v_xor_b32_e32 v122, 0x80000000, v69
	s_delay_alu instid0(VALU_DEP_4)
	v_ashrrev_i32_e32 v39, 31, v38
	s_clause 0x1
	global_load_b128 v[50:53], v[18:19], off offset:1616
	global_load_b128 v[26:29], v[18:19], off offset:1600
	v_pk_fma_f32 v[16:17], v[118:119], v[124:125], v[16:17] op_sel_hi:[1,0,1]
	v_lshlrev_b32_e32 v118, 2, v136
	v_lshl_add_u64 v[46:47], v[38:39], 3, s[4:5]
	v_pk_fma_f32 v[128:129], v[128:129], v[124:125], v[120:121] op_sel_hi:[1,0,1]
	v_pk_fma_f32 v[126:127], v[130:131], v[124:125], v[126:127] op_sel_hi:[1,0,1]
	;; [unrolled: 1-line block ×3, first 2 shown]
	v_mov_b32_e32 v125, v84
	global_load_b128 v[38:41], v[46:47], off
	v_ashrrev_i32_e32 v119, 31, v118
	s_clause 0x2
	global_load_b128 v[34:37], v[18:19], off offset:1552
	global_load_b128 v[42:45], v[18:19], off offset:1536
	;; [unrolled: 1-line block ×3, first 2 shown]
	v_xor_b32_e32 v134, 0x80000000, v61
	v_lshl_add_u64 v[130:131], v[118:119], 3, s[4:5]
	v_xor_b32_e32 v124, 0x80000000, v85
	s_clause 0x1
	global_load_b128 v[118:121], v[130:131], off
	global_load_b128 v[46:49], v[46:47], off offset:16
	v_add_nc_u32_e32 v21, 16, v21
	s_wait_loadcnt 0x5
	v_pk_fma_f32 v[16:17], v[66:67], v[38:39], v[16:17] op_sel_hi:[1,0,1]
	v_pk_fma_f32 v[128:129], v[58:59], v[38:39], v[128:129] op_sel_hi:[1,0,1]
	;; [unrolled: 1-line block ×4, first 2 shown]
	s_delay_alu instid0(VALU_DEP_4)
	v_pk_fma_f32 v[16:17], v[66:67], v[38:39], v[16:17] op_sel:[1,1,0] op_sel_hi:[0,1,1] neg_lo:[1,0,0]
	v_lshlrev_b32_e32 v66, 2, v137
	v_pk_fma_f32 v[58:59], v[58:59], v[38:39], v[128:129] op_sel:[1,1,0] op_sel_hi:[0,1,1] neg_lo:[1,0,0]
	v_pk_fma_f32 v[82:83], v[82:83], v[38:39], v[126:127] op_sel:[1,1,0] op_sel_hi:[0,1,1] neg_lo:[1,0,0]
	;; [unrolled: 1-line block ×3, first 2 shown]
	v_pk_fma_f32 v[16:17], v[68:69], v[40:41], v[16:17] op_sel_hi:[1,0,1]
	v_ashrrev_i32_e32 v67, 31, v66
	v_pk_fma_f32 v[128:129], v[60:61], v[40:41], v[58:59] op_sel_hi:[1,0,1]
	v_pk_fma_f32 v[126:127], v[84:85], v[40:41], v[82:83] op_sel_hi:[1,0,1]
	;; [unrolled: 1-line block ×3, first 2 shown]
	v_mov_b32_e32 v38, v41
	v_lshl_add_u64 v[132:133], v[66:67], 3, s[4:5]
	global_load_b128 v[66:69], v[130:131], off offset:16
	s_wait_xcnt 0x0
	v_xor_b32_e32 v130, 0x80000000, v77
	v_mov_b32_e32 v131, v76
	v_pk_fma_f32 v[16:17], v[122:123], v[38:39], v[16:17] op_sel_hi:[1,0,1]
	global_load_b128 v[58:61], v[132:133], off
	global_load_b128 v[74:77], v[18:19], off offset:1648
	global_load_b128 v[82:85], v[132:133], off offset:16
	v_pk_fma_f32 v[128:129], v[134:135], v[38:39], v[128:129] op_sel_hi:[1,0,1]
	v_pk_fma_f32 v[124:125], v[124:125], v[38:39], v[126:127] op_sel_hi:[1,0,1]
	;; [unrolled: 1-line block ×3, first 2 shown]
	s_wait_loadcnt 0x4
	v_pk_fma_f32 v[16:17], v[62:63], v[46:47], v[16:17] op_sel_hi:[1,0,1]
	v_xor_b32_e32 v40, 0x80000000, v65
	v_pk_fma_f32 v[128:129], v[54:55], v[46:47], v[128:129] op_sel_hi:[1,0,1]
	v_pk_fma_f32 v[124:125], v[78:79], v[46:47], v[124:125] op_sel_hi:[1,0,1]
	;; [unrolled: 1-line block ×3, first 2 shown]
	v_pk_fma_f32 v[16:17], v[62:63], v[46:47], v[16:17] op_sel:[1,1,0] op_sel_hi:[0,1,1] neg_lo:[1,0,0]
	v_dual_mov_b32 v41, v64 :: v_dual_mov_b32 v123, v56
	v_pk_fma_f32 v[54:55], v[54:55], v[46:47], v[128:129] op_sel:[1,1,0] op_sel_hi:[0,1,1] neg_lo:[1,0,0]
	v_pk_fma_f32 v[78:79], v[78:79], v[46:47], v[124:125] op_sel:[1,1,0] op_sel_hi:[0,1,1] neg_lo:[1,0,0]
	;; [unrolled: 1-line block ×3, first 2 shown]
	v_xor_b32_e32 v122, 0x80000000, v57
	s_wait_xcnt 0x0
	v_xor_b32_e32 v132, 0x80000000, v81
	v_dual_mov_b32 v133, v80 :: v_dual_mov_b32 v127, v72
	v_xor_b32_e32 v126, 0x80000000, v73
	v_pk_fma_f32 v[16:17], v[64:65], v[48:49], v[16:17] op_sel_hi:[1,0,1]
	v_pk_fma_f32 v[54:55], v[56:57], v[48:49], v[54:55] op_sel_hi:[1,0,1]
	v_pk_fma_f32 v[78:79], v[80:81], v[48:49], v[78:79] op_sel_hi:[1,0,1]
	v_pk_fma_f32 v[10:11], v[72:73], v[48:49], v[10:11] op_sel_hi:[1,0,1]
	v_dual_mov_b32 v48, v49 :: v_dual_mov_b32 v73, v14
	v_xor_b32_e32 v38, 0x80000000, v101
	v_dual_mov_b32 v39, v100 :: v_dual_mov_b32 v131, v92
	s_delay_alu instid0(VALU_DEP_3)
	v_pk_fma_f32 v[16:17], v[40:41], v[48:49], v[16:17] op_sel_hi:[1,0,1]
	v_pk_fma_f32 v[40:41], v[122:123], v[48:49], v[54:55] op_sel_hi:[1,0,1]
	;; [unrolled: 1-line block ×4, first 2 shown]
	v_xor_b32_e32 v130, 0x80000000, v93
	v_pk_fma_f32 v[16:17], v[98:99], v[118:119], v[16:17] op_sel_hi:[1,0,1]
	v_pk_fma_f32 v[40:41], v[90:91], v[118:119], v[40:41] op_sel_hi:[1,0,1]
	;; [unrolled: 1-line block ×4, first 2 shown]
	v_xor_b32_e32 v62, 0x80000000, v117
	v_pk_fma_f32 v[16:17], v[98:99], v[118:119], v[16:17] op_sel:[1,1,0] op_sel_hi:[0,1,1] neg_lo:[1,0,0]
	v_pk_fma_f32 v[40:41], v[90:91], v[118:119], v[40:41] op_sel:[1,1,0] op_sel_hi:[0,1,1] neg_lo:[1,0,0]
	;; [unrolled: 1-line block ×4, first 2 shown]
	v_dual_mov_b32 v63, v116 :: v_dual_mov_b32 v65, v108
	v_xor_b32_e32 v64, 0x80000000, v109
	v_dual_mov_b32 v78, v121 :: v_dual_mov_b32 v55, v24
	v_pk_fma_f32 v[16:17], v[100:101], v[120:121], v[16:17] op_sel_hi:[1,0,1]
	v_pk_fma_f32 v[40:41], v[92:93], v[120:121], v[40:41] op_sel_hi:[1,0,1]
	;; [unrolled: 1-line block ×4, first 2 shown]
	v_xor_b32_e32 v56, 0x80000000, v97
	v_pk_fma_f32 v[16:17], v[38:39], v[78:79], v[16:17] op_sel_hi:[1,0,1]
	v_pk_fma_f32 v[38:39], v[130:131], v[78:79], v[40:41] op_sel_hi:[1,0,1]
	;; [unrolled: 1-line block ×4, first 2 shown]
	v_dual_mov_b32 v57, v96 :: v_dual_mov_b32 v129, v88
	v_xor_b32_e32 v128, 0x80000000, v89
	v_xor_b32_e32 v80, 0x80000000, v113
	v_dual_mov_b32 v81, v112 :: v_dual_mov_b32 v125, v104
	v_xor_b32_e32 v124, 0x80000000, v105
	v_mov_b32_e32 v49, v28
	v_xor_b32_e32 v46, 0x80000000, v45
	v_dual_mov_b32 v47, v44 :: v_dual_mov_b32 v71, v36
	v_xor_b32_e32 v72, 0x80000000, v15
	v_xor_b32_e32 v48, 0x80000000, v29
	;; [unrolled: 1-line block ×5, first 2 shown]
	v_mov_b32_e32 v65, v52
	v_add_nc_u64_e32 v[18:19], 0x800, v[18:19]
	v_cmp_ge_i32_e32 vcc_lo, v21, v1
	s_or_b32 s10, vcc_lo, s10
	s_wait_loadcnt 0x3
	v_pk_fma_f32 v[16:17], v[94:95], v[66:67], v[16:17] op_sel_hi:[1,0,1]
	v_pk_fma_f32 v[38:39], v[86:87], v[66:67], v[38:39] op_sel_hi:[1,0,1]
	;; [unrolled: 1-line block ×4, first 2 shown]
	v_mov_b32_e32 v62, v69
	v_pk_fma_f32 v[16:17], v[94:95], v[66:67], v[16:17] op_sel:[1,1,0] op_sel_hi:[0,1,1] neg_lo:[1,0,0]
	v_pk_fma_f32 v[38:39], v[86:87], v[66:67], v[38:39] op_sel:[1,1,0] op_sel_hi:[0,1,1] neg_lo:[1,0,0]
	;; [unrolled: 1-line block ×4, first 2 shown]
	s_delay_alu instid0(VALU_DEP_4) | instskip(NEXT) | instid1(VALU_DEP_4)
	v_pk_fma_f32 v[16:17], v[96:97], v[68:69], v[16:17] op_sel_hi:[1,0,1]
	v_pk_fma_f32 v[38:39], v[88:89], v[68:69], v[38:39] op_sel_hi:[1,0,1]
	s_delay_alu instid0(VALU_DEP_4) | instskip(NEXT) | instid1(VALU_DEP_4)
	v_pk_fma_f32 v[40:41], v[112:113], v[68:69], v[40:41] op_sel_hi:[1,0,1]
	v_pk_fma_f32 v[10:11], v[104:105], v[68:69], v[10:11] op_sel_hi:[1,0,1]
	;; [unrolled: 3-line block ×4, first 2 shown]
	v_xor_b32_e32 v56, 0x80000000, v33
	s_wait_loadcnt 0x2
	v_pk_fma_f32 v[16:17], v[42:43], v[58:59], v[16:17] op_sel_hi:[1,0,1]
	v_pk_fma_f32 v[38:39], v[12:13], v[58:59], v[38:39] op_sel_hi:[1,0,1]
	;; [unrolled: 1-line block ×4, first 2 shown]
	v_mov_b32_e32 v57, v32
	v_pk_fma_f32 v[16:17], v[42:43], v[58:59], v[16:17] op_sel:[1,1,0] op_sel_hi:[0,1,1] neg_lo:[1,0,0]
	v_pk_fma_f32 v[12:13], v[12:13], v[58:59], v[38:39] op_sel:[1,1,0] op_sel_hi:[0,1,1] neg_lo:[1,0,0]
	v_pk_fma_f32 v[26:27], v[26:27], v[58:59], v[40:41] op_sel:[1,1,0] op_sel_hi:[0,1,1] neg_lo:[1,0,0]
	v_pk_fma_f32 v[10:11], v[30:31], v[58:59], v[10:11] op_sel:[1,1,0] op_sel_hi:[0,1,1] neg_lo:[1,0,0]
	v_mov_b32_e32 v30, v61
	v_pk_fma_f32 v[16:17], v[44:45], v[60:61], v[16:17] op_sel_hi:[1,0,1]
	v_pk_fma_f32 v[12:13], v[14:15], v[60:61], v[12:13] op_sel_hi:[1,0,1]
	;; [unrolled: 1-line block ×4, first 2 shown]
	s_wait_loadcnt 0x1
	v_xor_b32_e32 v26, 0x80000000, v77
	v_pk_fma_f32 v[16:17], v[46:47], v[30:31], v[16:17] op_sel_hi:[1,0,1]
	v_pk_fma_f32 v[12:13], v[72:73], v[30:31], v[12:13] op_sel_hi:[1,0,1]
	;; [unrolled: 1-line block ×4, first 2 shown]
	v_mov_b32_e32 v27, v76
	s_wait_loadcnt 0x0
	v_pk_fma_f32 v[16:17], v[34:35], v[82:83], v[16:17] op_sel_hi:[1,0,1]
	v_pk_fma_f32 v[12:13], v[22:23], v[82:83], v[12:13] op_sel_hi:[1,0,1]
	;; [unrolled: 1-line block ×4, first 2 shown]
	s_delay_alu instid0(VALU_DEP_4) | instskip(NEXT) | instid1(VALU_DEP_4)
	v_pk_fma_f32 v[16:17], v[34:35], v[82:83], v[16:17] op_sel:[1,1,0] op_sel_hi:[0,1,1] neg_lo:[1,0,0]
	v_pk_fma_f32 v[12:13], v[22:23], v[82:83], v[12:13] op_sel:[1,1,0] op_sel_hi:[0,1,1] neg_lo:[1,0,0]
	s_delay_alu instid0(VALU_DEP_4) | instskip(NEXT) | instid1(VALU_DEP_4)
	v_pk_fma_f32 v[14:15], v[50:51], v[82:83], v[14:15] op_sel:[1,1,0] op_sel_hi:[0,1,1] neg_lo:[1,0,0]
	v_pk_fma_f32 v[10:11], v[74:75], v[82:83], v[10:11] op_sel:[1,1,0] op_sel_hi:[0,1,1] neg_lo:[1,0,0]
	v_mov_b32_e32 v22, v85
	v_pk_fma_f32 v[16:17], v[36:37], v[84:85], v[16:17] op_sel_hi:[1,0,1]
	v_pk_fma_f32 v[12:13], v[24:25], v[84:85], v[12:13] op_sel_hi:[1,0,1]
	;; [unrolled: 1-line block ×4, first 2 shown]
	s_delay_alu instid0(VALU_DEP_4) | instskip(NEXT) | instid1(VALU_DEP_4)
	v_pk_fma_f32 v[16:17], v[70:71], v[22:23], v[16:17] op_sel_hi:[1,0,1]
	v_pk_fma_f32 v[14:15], v[54:55], v[22:23], v[12:13] op_sel_hi:[1,0,1]
	s_delay_alu instid0(VALU_DEP_4) | instskip(NEXT) | instid1(VALU_DEP_4)
	v_pk_fma_f32 v[12:13], v[64:65], v[22:23], v[24:25] op_sel_hi:[1,0,1]
	v_pk_fma_f32 v[10:11], v[26:27], v[22:23], v[10:11] op_sel_hi:[1,0,1]
	s_and_not1_b32 exec_lo, exec_lo, s10
	s_cbranch_execnz .LBB10_17
; %bb.18:
	s_or_b32 exec_lo, exec_lo, s10
.LBB10_19:
	s_delay_alu instid0(SALU_CYCLE_1)
	s_or_b32 exec_lo, exec_lo, s7
.LBB10_20:
	s_delay_alu instid0(SALU_CYCLE_1)
	s_or_b32 exec_lo, exec_lo, s6
	s_cbranch_execz .LBB10_22
	s_branch .LBB10_33
.LBB10_21:
                                        ; implicit-def: $vgpr17
                                        ; implicit-def: $vgpr11
                                        ; implicit-def: $vgpr13
                                        ; implicit-def: $vgpr15
.LBB10_22:
	v_dual_mov_b32 v17, 0 :: v_dual_mov_b32 v16, 0
	v_dual_mov_b32 v11, 0 :: v_dual_mov_b32 v10, 0
	;; [unrolled: 1-line block ×4, first 2 shown]
	s_and_saveexec_b32 s6, s3
	s_cbranch_execz .LBB10_32
; %bb.23:
	v_add_nc_u32_e32 v10, v20, v7
	v_not_b32_e32 v11, v20
	v_mov_b64_e32 v[16:17], 0
	v_mov_b64_e32 v[12:13], 0
	v_mov_b64_e32 v[14:15], 0
	v_subrev_nc_u32_e32 v10, s12, v10
	s_mov_b32 s3, exec_lo
	s_delay_alu instid0(VALU_DEP_1) | instskip(NEXT) | instid1(VALU_DEP_1)
	v_add_max_i32_e64 v10, v10, 4, v1
	v_add3_u32 v10, s12, v10, v11
	s_delay_alu instid0(VALU_DEP_1) | instskip(SKIP_1) | instid1(VALU_DEP_2)
	v_sub_nc_u32_e32 v18, v10, v7
	v_mov_b64_e32 v[10:11], 0
	v_and_b32_e32 v19, 12, v18
	s_delay_alu instid0(VALU_DEP_1)
	v_cmpx_ne_u32_e32 12, v19
	s_cbranch_execz .LBB10_27
; %bb.24:
	v_dual_lshrrev_b32 v10, 2, v18 :: v_dual_mov_b32 v14, 0
	s_mov_b32 s7, 0
	s_delay_alu instid0(VALU_DEP_1) | instskip(SKIP_2) | instid1(VALU_DEP_3)
	v_dual_mov_b32 v15, v14 :: v_dual_add_nc_u32 v10, 1, v10
	v_dual_mov_b32 v12, v14 :: v_dual_mov_b32 v13, v14
	v_dual_mov_b32 v11, v14 :: v_dual_mov_b32 v16, v14
	v_dual_mov_b32 v10, v14 :: v_dual_bitop2_b32 v17, 3, v10 bitop3:0x40
	s_delay_alu instid0(VALU_DEP_1)
	v_dual_sub_nc_u32 v19, 0, v17 :: v_dual_mov_b32 v17, v14
.LBB10_25:                              ; =>This Inner Loop Header: Depth=1
	global_load_b32 v48, v0, s[8:9] scale_offset
	s_clause 0x6
	global_load_b128 v[20:23], v[8:9], off offset:48
	global_load_b128 v[24:27], v[8:9], off offset:32
	;; [unrolled: 1-line block ×3, first 2 shown]
	global_load_b128 v[32:35], v[8:9], off
	global_load_b128 v[36:39], v[8:9], off offset:96
	global_load_b128 v[40:43], v[8:9], off offset:80
	global_load_b128 v[44:47], v[8:9], off offset:64
	s_wait_xcnt 0x7
	v_add_nc_u32_e32 v0, 4, v0
	v_add_co_u32 v19, s10, v19, 1
	s_or_b32 s7, s10, s7
	s_wait_loadcnt 0x7
	v_subrev_nc_u32_e32 v48, s12, v48
	s_wait_loadcnt 0x6
	v_xor_b32_e32 v70, 0x80000000, v23
	s_wait_loadcnt 0x5
	v_xor_b32_e32 v62, 0x80000000, v27
	;; [unrolled: 2-line block ×3, first 2 shown]
	v_dual_mov_b32 v71, v22 :: v_dual_lshlrev_b32 v48, 2, v48
	s_wait_loadcnt 0x2
	v_dual_mov_b32 v67, v38 :: v_dual_mov_b32 v69, v30
	s_wait_loadcnt 0x1
	v_mov_b32_e32 v73, v42
	s_wait_loadcnt 0x0
	v_xor_b32_e32 v64, 0x80000000, v47
	v_dual_ashrrev_i32 v49, 31, v48 :: v_dual_mov_b32 v63, v26
	v_mov_b32_e32 v65, v46
	v_xor_b32_e32 v72, 0x80000000, v43
	v_xor_b32_e32 v66, 0x80000000, v39
	s_wait_kmcnt 0x0
	v_lshl_add_u64 v[60:61], v[48:49], 3, s[4:5]
	s_clause 0x1
	global_load_b128 v[48:51], v[60:61], off offset:16
	global_load_b128 v[52:55], v[60:61], off
	global_load_b128 v[56:59], v[8:9], off offset:112
	s_wait_xcnt 0x1
	v_xor_b32_e32 v60, 0x80000000, v35
	v_mov_b32_e32 v61, v34
	s_wait_xcnt 0x0
	v_add_nc_u64_e32 v[8:9], 0x200, v[8:9]
	s_wait_loadcnt 0x1
	v_pk_fma_f32 v[16:17], v[32:33], v[52:53], v[16:17] op_sel_hi:[1,0,1]
	v_pk_fma_f32 v[14:15], v[34:35], v[52:53], v[14:15] op_sel_hi:[1,0,1]
	;; [unrolled: 1-line block ×4, first 2 shown]
	s_wait_loadcnt 0x0
	v_dual_mov_b32 v75, v58 :: v_dual_mov_b32 v76, v55
	v_pk_fma_f32 v[16:17], v[32:33], v[52:53], v[16:17] op_sel:[1,1,0] op_sel_hi:[0,1,1] neg_lo:[1,0,0]
	v_pk_fma_f32 v[14:15], v[60:61], v[52:53], v[14:15] op_sel:[0,1,0]
	v_pk_fma_f32 v[12:13], v[28:29], v[52:53], v[12:13] op_sel:[1,1,0] op_sel_hi:[0,1,1] neg_lo:[1,0,0]
	v_pk_fma_f32 v[10:11], v[68:69], v[52:53], v[10:11] op_sel:[0,1,0]
	v_xor_b32_e32 v74, 0x80000000, v59
	v_pk_fma_f32 v[16:17], v[24:25], v[54:55], v[16:17] op_sel_hi:[1,0,1]
	v_pk_fma_f32 v[14:15], v[26:27], v[54:55], v[14:15] op_sel_hi:[1,0,1]
	;; [unrolled: 1-line block ×4, first 2 shown]
	v_mov_b32_e32 v30, v51
	v_pk_fma_f32 v[16:17], v[24:25], v[76:77], v[16:17] op_sel:[1,0,0] op_sel_hi:[0,0,1] neg_lo:[1,0,0]
	v_pk_fma_f32 v[14:15], v[62:63], v[76:77], v[14:15] op_sel_hi:[1,0,1]
	v_pk_fma_f32 v[12:13], v[20:21], v[76:77], v[12:13] op_sel:[1,0,0] op_sel_hi:[0,0,1] neg_lo:[1,0,0]
	v_pk_fma_f32 v[10:11], v[70:71], v[76:77], v[10:11] op_sel_hi:[1,0,1]
	s_delay_alu instid0(VALU_DEP_4) | instskip(NEXT) | instid1(VALU_DEP_4)
	v_pk_fma_f32 v[16:17], v[44:45], v[48:49], v[16:17] op_sel_hi:[1,0,1]
	v_pk_fma_f32 v[14:15], v[46:47], v[48:49], v[14:15] op_sel_hi:[1,0,1]
	s_delay_alu instid0(VALU_DEP_4) | instskip(NEXT) | instid1(VALU_DEP_4)
	v_pk_fma_f32 v[12:13], v[40:41], v[48:49], v[12:13] op_sel_hi:[1,0,1]
	v_pk_fma_f32 v[10:11], v[42:43], v[48:49], v[10:11] op_sel_hi:[1,0,1]
	s_delay_alu instid0(VALU_DEP_4) | instskip(NEXT) | instid1(VALU_DEP_4)
	v_pk_fma_f32 v[16:17], v[44:45], v[48:49], v[16:17] op_sel:[1,1,0] op_sel_hi:[0,1,1] neg_lo:[1,0,0]
	v_pk_fma_f32 v[14:15], v[64:65], v[48:49], v[14:15] op_sel:[0,1,0]
	s_delay_alu instid0(VALU_DEP_4) | instskip(NEXT) | instid1(VALU_DEP_4)
	v_pk_fma_f32 v[12:13], v[40:41], v[48:49], v[12:13] op_sel:[1,1,0] op_sel_hi:[0,1,1] neg_lo:[1,0,0]
	v_pk_fma_f32 v[10:11], v[72:73], v[48:49], v[10:11] op_sel:[0,1,0]
	s_delay_alu instid0(VALU_DEP_4) | instskip(NEXT) | instid1(VALU_DEP_4)
	v_pk_fma_f32 v[16:17], v[36:37], v[50:51], v[16:17] op_sel_hi:[1,0,1]
	v_pk_fma_f32 v[14:15], v[38:39], v[50:51], v[14:15] op_sel_hi:[1,0,1]
	s_delay_alu instid0(VALU_DEP_4) | instskip(NEXT) | instid1(VALU_DEP_4)
	v_pk_fma_f32 v[12:13], v[56:57], v[50:51], v[12:13] op_sel_hi:[1,0,1]
	v_pk_fma_f32 v[10:11], v[58:59], v[50:51], v[10:11] op_sel_hi:[1,0,1]
	s_delay_alu instid0(VALU_DEP_4) | instskip(NEXT) | instid1(VALU_DEP_4)
	v_pk_fma_f32 v[16:17], v[36:37], v[30:31], v[16:17] op_sel:[1,0,0] op_sel_hi:[0,0,1] neg_lo:[1,0,0]
	v_pk_fma_f32 v[14:15], v[66:67], v[30:31], v[14:15] op_sel_hi:[1,0,1]
	s_delay_alu instid0(VALU_DEP_4) | instskip(NEXT) | instid1(VALU_DEP_4)
	v_pk_fma_f32 v[12:13], v[56:57], v[30:31], v[12:13] op_sel:[1,0,0] op_sel_hi:[0,0,1] neg_lo:[1,0,0]
	v_pk_fma_f32 v[10:11], v[74:75], v[30:31], v[10:11] op_sel_hi:[1,0,1]
	s_and_not1_b32 exec_lo, exec_lo, s7
	s_cbranch_execnz .LBB10_25
; %bb.26:
	s_or_b32 exec_lo, exec_lo, s7
.LBB10_27:
	s_delay_alu instid0(SALU_CYCLE_1) | instskip(NEXT) | instid1(SALU_CYCLE_1)
	s_or_b32 exec_lo, exec_lo, s3
	s_mov_b32 s3, exec_lo
	v_cmpx_lt_u32_e32 11, v18
	s_cbranch_execz .LBB10_31
; %bb.28:
	s_mov_b32 s7, 0
.LBB10_29:                              ; =>This Inner Loop Header: Depth=1
	global_load_b32 v98, v0, s[8:9] scale_offset
	s_clause 0xb
	global_load_b128 v[18:21], v[8:9], off
	global_load_b128 v[22:25], v[8:9], off offset:16
	global_load_b128 v[26:29], v[8:9], off offset:48
	;; [unrolled: 1-line block ×11, first 2 shown]
	s_clause 0x2
	global_load_b32 v112, v0, s[8:9] offset:16 scale_offset
	global_load_b32 v113, v0, s[8:9] offset:32 scale_offset
	;; [unrolled: 1-line block ×3, first 2 shown]
	s_clause 0x7
	global_load_b128 v[66:69], v[8:9], off offset:624
	global_load_b128 v[70:73], v[8:9], off offset:608
	;; [unrolled: 1-line block ×8, first 2 shown]
	s_wait_xcnt 0x8
	v_add_nc_u32_e32 v0, 16, v0
	s_delay_alu instid0(VALU_DEP_1)
	v_cmp_ge_i32_e32 vcc_lo, v0, v1
	s_or_b32 s7, vcc_lo, s7
	s_wait_loadcnt 0x17
	v_subrev_nc_u32_e32 v98, s12, v98
	s_wait_loadcnt 0x16
	v_mov_b32_e32 v107, v20
	v_xor_b32_e32 v106, 0x80000000, v21
	s_wait_loadcnt 0x13
	v_xor_b32_e32 v110, 0x80000000, v33
	v_dual_mov_b32 v111, v32 :: v_dual_lshlrev_b32 v98, 2, v98
	s_wait_loadcnt 0xd
	s_delay_alu instid0(VALU_DEP_1) | instskip(SKIP_2) | instid1(VALU_DEP_2)
	v_dual_ashrrev_i32 v99, 31, v98 :: v_dual_mov_b32 v115, v56
	v_xor_b32_e32 v114, 0x80000000, v57
	s_wait_kmcnt 0x0
	v_lshl_add_u64 v[108:109], v[98:99], 3, s[4:5]
	s_clause 0x1
	global_load_b128 v[98:101], v[108:109], off
	global_load_b128 v[102:105], v[108:109], off offset:16
	s_wait_loadcnt 0x1
	v_pk_fma_f32 v[16:17], v[18:19], v[98:99], v[16:17] op_sel_hi:[1,0,1]
	v_pk_fma_f32 v[20:21], v[20:21], v[98:99], v[14:15] op_sel_hi:[1,0,1]
	;; [unrolled: 1-line block ×3, first 2 shown]
	s_wait_xcnt 0x0
	s_delay_alu instid0(VALU_DEP_3)
	v_pk_fma_f32 v[108:109], v[18:19], v[98:99], v[16:17] op_sel:[1,1,0] op_sel_hi:[0,1,1] neg_lo:[1,0,0]
	v_xor_b32_e32 v18, 0x80000000, v25
	v_mov_b32_e32 v19, v24
	v_pk_fma_f32 v[24:25], v[24:25], v[98:99], v[10:11] op_sel_hi:[1,0,1]
	v_pk_fma_f32 v[22:23], v[22:23], v[98:99], v[12:13] op_sel:[1,1,0] op_sel_hi:[0,1,1] neg_lo:[1,0,0]
	v_pk_fma_f32 v[106:107], v[106:107], v[98:99], v[20:21] op_sel:[0,1,0]
	s_clause 0x1
	global_load_b128 v[14:17], v[8:9], off offset:1136
	global_load_b128 v[10:13], v[8:9], off offset:1120
	v_pk_fma_f32 v[24:25], v[18:19], v[98:99], v[24:25] op_sel:[0,1,0]
	v_pk_fma_f32 v[98:99], v[30:31], v[100:101], v[108:109] op_sel_hi:[1,0,1]
	v_pk_fma_f32 v[106:107], v[32:33], v[100:101], v[106:107] op_sel_hi:[1,0,1]
	;; [unrolled: 1-line block ×3, first 2 shown]
	v_xor_b32_e32 v32, 0x80000000, v29
	v_pk_fma_f32 v[108:109], v[28:29], v[100:101], v[24:25] op_sel_hi:[1,0,1]
	v_dual_mov_b32 v100, v101 :: v_dual_mov_b32 v33, v28
	global_load_b128 v[18:21], v[8:9], off offset:1104
	v_pk_fma_f32 v[30:31], v[30:31], v[100:101], v[98:99] op_sel:[1,0,0] op_sel_hi:[0,0,1] neg_lo:[1,0,0]
	v_pk_fma_f32 v[98:99], v[26:27], v[100:101], v[22:23] op_sel:[1,0,0] op_sel_hi:[0,0,1] neg_lo:[1,0,0]
	v_pk_fma_f32 v[106:107], v[110:111], v[100:101], v[106:107] op_sel_hi:[1,0,1]
	v_pk_fma_f32 v[100:101], v[32:33], v[100:101], v[108:109] op_sel_hi:[1,0,1]
	v_xor_b32_e32 v108, 0x80000000, v49
	s_wait_loadcnt 0x3
	v_pk_fma_f32 v[30:31], v[46:47], v[102:103], v[30:31] op_sel_hi:[1,0,1]
	v_mov_b32_e32 v109, v48
	v_pk_fma_f32 v[48:49], v[48:49], v[102:103], v[106:107] op_sel_hi:[1,0,1]
	v_pk_fma_f32 v[98:99], v[42:43], v[102:103], v[98:99] op_sel_hi:[1,0,1]
	;; [unrolled: 1-line block ×3, first 2 shown]
	v_pk_fma_f32 v[106:107], v[46:47], v[102:103], v[30:31] op_sel:[1,1,0] op_sel_hi:[0,1,1] neg_lo:[1,0,0]
	v_xor_b32_e32 v46, 0x80000000, v45
	v_mov_b32_e32 v47, v44
	v_pk_fma_f32 v[98:99], v[42:43], v[102:103], v[98:99] op_sel:[1,1,0] op_sel_hi:[0,1,1] neg_lo:[1,0,0]
	v_pk_fma_f32 v[108:109], v[108:109], v[102:103], v[48:49] op_sel:[0,1,0]
	v_xor_b32_e32 v110, 0x80000000, v65
	global_load_b128 v[22:25], v[8:9], off offset:1088
	v_pk_fma_f32 v[100:101], v[46:47], v[102:103], v[100:101] op_sel:[0,1,0]
	v_pk_fma_f32 v[102:103], v[38:39], v[104:105], v[106:107] op_sel_hi:[1,0,1]
	v_pk_fma_f32 v[106:107], v[40:41], v[104:105], v[108:109] op_sel_hi:[1,0,1]
	;; [unrolled: 1-line block ×3, first 2 shown]
	v_xor_b32_e32 v108, 0x80000000, v41
	v_pk_fma_f32 v[100:101], v[36:37], v[104:105], v[100:101] op_sel_hi:[1,0,1]
	v_dual_mov_b32 v104, v105 :: v_dual_mov_b32 v109, v40
	s_clause 0x3
	global_load_b128 v[42:45], v[8:9], off offset:1552
	global_load_b128 v[46:49], v[8:9], off offset:1536
	global_load_b128 v[26:29], v[8:9], off offset:1584
	global_load_b128 v[30:33], v[8:9], off offset:1568
	v_pk_fma_f32 v[102:103], v[38:39], v[104:105], v[102:103] op_sel:[1,0,0] op_sel_hi:[0,0,1] neg_lo:[1,0,0]
	v_xor_b32_e32 v38, 0x80000000, v37
	v_subrev_nc_u32_e32 v37, s12, v112
	v_mov_b32_e32 v111, v64
	v_pk_fma_f32 v[98:99], v[34:35], v[104:105], v[98:99] op_sel:[1,0,0] op_sel_hi:[0,0,1] neg_lo:[1,0,0]
	v_mov_b32_e32 v39, v36
	v_pk_fma_f32 v[106:107], v[108:109], v[104:105], v[106:107] op_sel_hi:[1,0,1]
	v_lshlrev_b32_e32 v34, 2, v37
	s_delay_alu instid0(VALU_DEP_3) | instskip(NEXT) | instid1(VALU_DEP_2)
	v_pk_fma_f32 v[100:101], v[38:39], v[104:105], v[100:101] op_sel_hi:[1,0,1]
	v_ashrrev_i32_e32 v35, 31, v34
	s_delay_alu instid0(VALU_DEP_1)
	v_lshl_add_u64 v[40:41], v[34:35], 3, s[4:5]
	s_clause 0x1
	global_load_b128 v[34:37], v[40:41], off
	global_load_b128 v[38:41], v[40:41], off offset:16
	s_wait_loadcnt 0x1
	v_pk_fma_f32 v[98:99], v[58:59], v[34:35], v[98:99] op_sel_hi:[1,0,1]
	v_pk_fma_f32 v[104:105], v[64:65], v[34:35], v[106:107] op_sel_hi:[1,0,1]
	;; [unrolled: 1-line block ×3, first 2 shown]
	v_xor_b32_e32 v106, 0x80000000, v61
	v_mov_b32_e32 v107, v60
	v_pk_fma_f32 v[108:109], v[58:59], v[34:35], v[98:99] op_sel:[1,1,0] op_sel_hi:[0,1,1] neg_lo:[1,0,0]
	v_subrev_nc_u32_e32 v98, s12, v113
	v_pk_fma_f32 v[104:105], v[110:111], v[34:35], v[104:105] op_sel:[0,1,0]
	v_mov_b32_e32 v110, v37
	v_pk_fma_f32 v[100:101], v[60:61], v[34:35], v[100:101] op_sel_hi:[1,0,1]
	v_pk_fma_f32 v[102:103], v[62:63], v[34:35], v[102:103] op_sel:[1,1,0] op_sel_hi:[0,1,1] neg_lo:[1,0,0]
	v_lshlrev_b32_e32 v98, 2, v98
	global_load_b128 v[62:65], v[8:9], off offset:1632
	v_pk_fma_f32 v[104:105], v[56:57], v[36:37], v[104:105] op_sel_hi:[1,0,1]
	v_pk_fma_f32 v[34:35], v[106:107], v[34:35], v[100:101] op_sel:[0,1,0]
	v_pk_fma_f32 v[102:103], v[54:55], v[36:37], v[102:103] op_sel_hi:[1,0,1]
	v_ashrrev_i32_e32 v99, 31, v98
	v_pk_fma_f32 v[106:107], v[50:51], v[36:37], v[108:109] op_sel_hi:[1,0,1]
	v_mov_b32_e32 v57, v52
	v_pk_fma_f32 v[108:109], v[52:53], v[36:37], v[34:35] op_sel_hi:[1,0,1]
	v_subrev_nc_u32_e32 v52, s12, v116
	v_lshl_add_u64 v[112:113], v[98:99], 3, s[4:5]
	v_xor_b32_e32 v56, 0x80000000, v53
	v_pk_fma_f32 v[106:107], v[50:51], v[110:111], v[106:107] op_sel:[1,0,0] op_sel_hi:[0,0,1] neg_lo:[1,0,0]
	v_pk_fma_f32 v[54:55], v[54:55], v[110:111], v[102:103] op_sel:[1,0,0] op_sel_hi:[0,0,1] neg_lo:[1,0,0]
	v_lshlrev_b32_e32 v50, 2, v52
	s_clause 0x1
	global_load_b128 v[98:101], v[112:113], off
	global_load_b128 v[34:37], v[112:113], off offset:16
	v_mov_b32_e32 v103, v80
	v_pk_fma_f32 v[104:105], v[114:115], v[110:111], v[104:105] op_sel_hi:[1,0,1]
	v_pk_fma_f32 v[108:109], v[56:57], v[110:111], v[108:109] op_sel_hi:[1,0,1]
	v_dual_mov_b32 v111, v76 :: v_dual_ashrrev_i32 v51, 31, v50
	s_wait_loadcnt 0x3
	v_pk_fma_f32 v[54:55], v[78:79], v[38:39], v[54:55] op_sel_hi:[1,0,1]
	global_load_b128 v[58:61], v[8:9], off offset:1600
	v_xor_b32_e32 v102, 0x80000000, v81
	v_pk_fma_f32 v[80:81], v[80:81], v[38:39], v[104:105] op_sel_hi:[1,0,1]
	s_wait_xcnt 0x1
	v_lshl_add_u64 v[112:113], v[50:51], 3, s[4:5]
	v_pk_fma_f32 v[104:105], v[78:79], v[38:39], v[54:55] op_sel:[1,1,0] op_sel_hi:[0,1,1] neg_lo:[1,0,0]
	v_pk_fma_f32 v[78:79], v[74:75], v[38:39], v[106:107] op_sel_hi:[1,0,1]
	global_load_b128 v[54:57], v[8:9], off offset:1616
	v_xor_b32_e32 v110, 0x80000000, v77
	global_load_b128 v[50:53], v[112:113], off
	v_pk_fma_f32 v[106:107], v[76:77], v[38:39], v[108:109] op_sel_hi:[1,0,1]
	v_pk_fma_f32 v[108:109], v[74:75], v[38:39], v[78:79] op_sel:[1,1,0] op_sel_hi:[0,1,1] neg_lo:[1,0,0]
	global_load_b128 v[74:77], v[112:113], off offset:16
	v_pk_fma_f32 v[102:103], v[102:103], v[38:39], v[80:81] op_sel:[0,1,0]
	global_load_b128 v[78:81], v[8:9], off offset:1648
	v_pk_fma_f32 v[38:39], v[110:111], v[38:39], v[106:107] op_sel:[0,1,0]
	v_xor_b32_e32 v106, 0x80000000, v73
	v_mov_b32_e32 v107, v72
	v_pk_fma_f32 v[104:105], v[70:71], v[40:41], v[104:105] op_sel_hi:[1,0,1]
	v_pk_fma_f32 v[72:73], v[72:73], v[40:41], v[102:103] op_sel_hi:[1,0,1]
	;; [unrolled: 1-line block ×4, first 2 shown]
	v_mov_b32_e32 v40, v41
	v_xor_b32_e32 v108, 0x80000000, v69
	v_mov_b32_e32 v109, v68
	v_xor_b32_e32 v110, 0x80000000, v85
	v_mov_b32_e32 v111, v84
	v_pk_fma_f32 v[68:69], v[70:71], v[40:41], v[104:105] op_sel:[1,0,0] op_sel_hi:[0,0,1] neg_lo:[1,0,0]
	v_mov_b32_e32 v71, v96
	v_pk_fma_f32 v[66:67], v[66:67], v[40:41], v[102:103] op_sel:[1,0,0] op_sel_hi:[0,0,1] neg_lo:[1,0,0]
	v_pk_fma_f32 v[72:73], v[106:107], v[40:41], v[72:73] op_sel_hi:[1,0,1]
	v_pk_fma_f32 v[38:39], v[108:109], v[40:41], v[38:39] op_sel_hi:[1,0,1]
	v_xor_b32_e32 v70, 0x80000000, v97
	v_xor_b32_e32 v104, 0x80000000, v93
	v_dual_mov_b32 v105, v92 :: v_dual_mov_b32 v103, v88
	v_xor_b32_e32 v102, 0x80000000, v89
	v_mov_b32_e32 v107, v24
	v_xor_b32_e32 v106, 0x80000000, v25
	v_dual_mov_b32 v41, v12 :: v_dual_mov_b32 v109, v20
	v_xor_b32_e32 v108, 0x80000000, v21
	v_xor_b32_e32 v40, 0x80000000, v13
	s_wait_xcnt 0x0
	v_add_nc_u64_e32 v[8:9], 0x800, v[8:9]
	s_wait_loadcnt 0x6
	v_pk_fma_f32 v[68:69], v[94:95], v[98:99], v[68:69] op_sel_hi:[1,0,1]
	v_pk_fma_f32 v[72:73], v[96:97], v[98:99], v[72:73] op_sel_hi:[1,0,1]
	;; [unrolled: 1-line block ×4, first 2 shown]
	v_mov_b32_e32 v97, v48
	v_pk_fma_f32 v[68:69], v[94:95], v[98:99], v[68:69] op_sel:[1,1,0] op_sel_hi:[0,1,1] neg_lo:[1,0,0]
	v_pk_fma_f32 v[70:71], v[70:71], v[98:99], v[72:73] op_sel:[0,1,0]
	v_pk_fma_f32 v[66:67], v[90:91], v[98:99], v[66:67] op_sel:[1,1,0] op_sel_hi:[0,1,1] neg_lo:[1,0,0]
	v_pk_fma_f32 v[38:39], v[104:105], v[98:99], v[38:39] op_sel:[0,1,0]
	v_dual_mov_b32 v98, v101 :: v_dual_mov_b32 v73, v64
	v_pk_fma_f32 v[68:69], v[86:87], v[100:101], v[68:69] op_sel_hi:[1,0,1]
	v_pk_fma_f32 v[70:71], v[88:89], v[100:101], v[70:71] op_sel_hi:[1,0,1]
	;; [unrolled: 1-line block ×4, first 2 shown]
	v_xor_b32_e32 v94, 0x80000000, v17
	v_pk_fma_f32 v[68:69], v[86:87], v[98:99], v[68:69] op_sel:[1,0,0] op_sel_hi:[0,0,1] neg_lo:[1,0,0]
	v_pk_fma_f32 v[70:71], v[102:103], v[98:99], v[70:71] op_sel_hi:[1,0,1]
	v_pk_fma_f32 v[66:67], v[82:83], v[98:99], v[66:67] op_sel:[1,0,0] op_sel_hi:[0,0,1] neg_lo:[1,0,0]
	v_pk_fma_f32 v[38:39], v[110:111], v[98:99], v[38:39] op_sel_hi:[1,0,1]
	v_mov_b32_e32 v95, v16
	s_wait_loadcnt 0x5
	v_pk_fma_f32 v[68:69], v[22:23], v[34:35], v[68:69] op_sel_hi:[1,0,1]
	v_pk_fma_f32 v[24:25], v[24:25], v[34:35], v[70:71] op_sel_hi:[1,0,1]
	;; [unrolled: 1-line block ×4, first 2 shown]
	v_mov_b32_e32 v83, v44
	v_pk_fma_f32 v[22:23], v[22:23], v[34:35], v[68:69] op_sel:[1,1,0] op_sel_hi:[0,1,1] neg_lo:[1,0,0]
	v_pk_fma_f32 v[24:25], v[106:107], v[34:35], v[24:25] op_sel:[0,1,0]
	v_pk_fma_f32 v[18:19], v[18:19], v[34:35], v[66:67] op_sel:[1,1,0] op_sel_hi:[0,1,1] neg_lo:[1,0,0]
	v_pk_fma_f32 v[20:21], v[108:109], v[34:35], v[20:21] op_sel:[0,1,0]
	v_mov_b32_e32 v34, v37
	v_pk_fma_f32 v[22:23], v[10:11], v[36:37], v[22:23] op_sel_hi:[1,0,1]
	v_pk_fma_f32 v[12:13], v[12:13], v[36:37], v[24:25] op_sel_hi:[1,0,1]
	;; [unrolled: 1-line block ×4, first 2 shown]
	v_xor_b32_e32 v96, 0x80000000, v49
	v_pk_fma_f32 v[10:11], v[10:11], v[34:35], v[22:23] op_sel:[1,0,0] op_sel_hi:[0,0,1] neg_lo:[1,0,0]
	v_pk_fma_f32 v[12:13], v[40:41], v[34:35], v[12:13] op_sel_hi:[1,0,1]
	v_pk_fma_f32 v[14:15], v[14:15], v[34:35], v[18:19] op_sel:[1,0,0] op_sel_hi:[0,0,1] neg_lo:[1,0,0]
	v_pk_fma_f32 v[16:17], v[94:95], v[34:35], v[16:17] op_sel_hi:[1,0,1]
	v_xor_b32_e32 v82, 0x80000000, v45
	s_wait_loadcnt 0x2
	v_pk_fma_f32 v[10:11], v[46:47], v[50:51], v[10:11] op_sel_hi:[1,0,1]
	v_pk_fma_f32 v[12:13], v[48:49], v[50:51], v[12:13] op_sel_hi:[1,0,1]
	v_pk_fma_f32 v[14:15], v[42:43], v[50:51], v[14:15] op_sel_hi:[1,0,1]
	v_pk_fma_f32 v[16:17], v[44:45], v[50:51], v[16:17] op_sel_hi:[1,0,1]
	v_xor_b32_e32 v90, 0x80000000, v33
	v_pk_fma_f32 v[10:11], v[46:47], v[50:51], v[10:11] op_sel:[1,1,0] op_sel_hi:[0,1,1] neg_lo:[1,0,0]
	v_pk_fma_f32 v[12:13], v[96:97], v[50:51], v[12:13] op_sel:[0,1,0]
	v_pk_fma_f32 v[14:15], v[42:43], v[50:51], v[14:15] op_sel:[1,1,0] op_sel_hi:[0,1,1] neg_lo:[1,0,0]
	v_pk_fma_f32 v[16:17], v[82:83], v[50:51], v[16:17] op_sel:[0,1,0]
	v_dual_mov_b32 v91, v32 :: v_dual_mov_b32 v93, v60
	v_xor_b32_e32 v20, 0x80000000, v29
	v_dual_mov_b32 v21, v28 :: v_dual_mov_b32 v22, v53
	v_pk_fma_f32 v[10:11], v[30:31], v[52:53], v[10:11] op_sel_hi:[1,0,1]
	v_pk_fma_f32 v[12:13], v[32:33], v[52:53], v[12:13] op_sel_hi:[1,0,1]
	;; [unrolled: 1-line block ×4, first 2 shown]
	v_xor_b32_e32 v92, 0x80000000, v61
	v_pk_fma_f32 v[10:11], v[30:31], v[22:23], v[10:11] op_sel:[1,0,0] op_sel_hi:[0,0,1] neg_lo:[1,0,0]
	v_pk_fma_f32 v[12:13], v[90:91], v[22:23], v[12:13] op_sel_hi:[1,0,1]
	v_pk_fma_f32 v[14:15], v[26:27], v[22:23], v[14:15] op_sel:[1,0,0] op_sel_hi:[0,0,1] neg_lo:[1,0,0]
	v_pk_fma_f32 v[16:17], v[20:21], v[22:23], v[16:17] op_sel_hi:[1,0,1]
	v_xor_b32_e32 v18, 0x80000000, v57
	s_wait_loadcnt 0x0
	v_dual_mov_b32 v19, v56 :: v_dual_mov_b32 v21, v80
	v_pk_fma_f32 v[10:11], v[58:59], v[74:75], v[10:11] op_sel_hi:[1,0,1]
	v_pk_fma_f32 v[12:13], v[60:61], v[74:75], v[12:13] op_sel_hi:[1,0,1]
	;; [unrolled: 1-line block ×4, first 2 shown]
	v_xor_b32_e32 v72, 0x80000000, v65
	v_pk_fma_f32 v[10:11], v[58:59], v[74:75], v[10:11] op_sel:[1,1,0] op_sel_hi:[0,1,1] neg_lo:[1,0,0]
	v_pk_fma_f32 v[12:13], v[92:93], v[74:75], v[12:13] op_sel:[0,1,0]
	v_pk_fma_f32 v[14:15], v[54:55], v[74:75], v[14:15] op_sel:[1,1,0] op_sel_hi:[0,1,1] neg_lo:[1,0,0]
	v_pk_fma_f32 v[16:17], v[18:19], v[74:75], v[16:17] op_sel:[0,1,0]
	v_xor_b32_e32 v20, 0x80000000, v81
	v_mov_b32_e32 v18, v77
	v_pk_fma_f32 v[10:11], v[62:63], v[76:77], v[10:11] op_sel_hi:[1,0,1]
	v_pk_fma_f32 v[12:13], v[64:65], v[76:77], v[12:13] op_sel_hi:[1,0,1]
	;; [unrolled: 1-line block ×4, first 2 shown]
	s_delay_alu instid0(VALU_DEP_4) | instskip(NEXT) | instid1(VALU_DEP_4)
	v_pk_fma_f32 v[16:17], v[62:63], v[18:19], v[10:11] op_sel:[1,0,0] op_sel_hi:[0,0,1] neg_lo:[1,0,0]
	v_pk_fma_f32 v[14:15], v[72:73], v[18:19], v[12:13] op_sel_hi:[1,0,1]
	s_delay_alu instid0(VALU_DEP_4) | instskip(NEXT) | instid1(VALU_DEP_4)
	v_pk_fma_f32 v[12:13], v[78:79], v[18:19], v[22:23] op_sel:[1,0,0] op_sel_hi:[0,0,1] neg_lo:[1,0,0]
	v_pk_fma_f32 v[10:11], v[20:21], v[18:19], v[24:25] op_sel_hi:[1,0,1]
	s_and_not1_b32 exec_lo, exec_lo, s7
	s_cbranch_execnz .LBB10_29
; %bb.30:
	s_or_b32 exec_lo, exec_lo, s7
.LBB10_31:
	s_delay_alu instid0(SALU_CYCLE_1)
	s_or_b32 exec_lo, exec_lo, s3
.LBB10_32:
	s_delay_alu instid0(SALU_CYCLE_1)
	s_or_b32 exec_lo, exec_lo, s6
.LBB10_33:
	v_mbcnt_lo_u32_b32 v0, -1, 0
	s_delay_alu instid0(VALU_DEP_1) | instskip(NEXT) | instid1(VALU_DEP_1)
	v_xor_b32_e32 v1, 2, v0
	v_cmp_gt_i32_e32 vcc_lo, 32, v1
	v_cndmask_b32_e32 v1, v0, v1, vcc_lo
	s_delay_alu instid0(VALU_DEP_1)
	v_lshlrev_b32_e32 v1, 2, v1
	ds_bpermute_b32 v8, v1, v16
	ds_bpermute_b32 v9, v1, v17
	;; [unrolled: 1-line block ×8, first 2 shown]
	v_xor_b32_e32 v1, 1, v0
	s_delay_alu instid0(VALU_DEP_1) | instskip(SKIP_3) | instid1(VALU_DEP_2)
	v_cmp_gt_i32_e32 vcc_lo, 32, v1
	v_cndmask_b32_e32 v0, v0, v1, vcc_lo
	v_cmp_eq_u32_e32 vcc_lo, 3, v7
	s_wait_dscnt 0x6
	v_dual_add_f32 v1, v17, v9 :: v_dual_lshlrev_b32 v24, 2, v0
	s_wait_dscnt 0x5
	v_dual_add_f32 v0, v16, v8 :: v_dual_add_f32 v8, v14, v18
	s_wait_dscnt 0x3
	v_dual_add_f32 v9, v15, v19 :: v_dual_add_f32 v12, v12, v20
	s_wait_dscnt 0x0
	v_dual_add_f32 v13, v13, v21 :: v_dual_add_f32 v11, v11, v23
	v_add_f32_e32 v14, v10, v22
	ds_bpermute_b32 v10, v24, v0
	ds_bpermute_b32 v15, v24, v1
	;; [unrolled: 1-line block ×8, first 2 shown]
	s_and_b32 exec_lo, exec_lo, vcc_lo
	s_cbranch_execz .LBB10_6
; %bb.34:
	s_load_b64 s[0:1], s[0:1], 0x50
	v_cmp_eq_f32_e32 vcc_lo, 0, v4
	s_wait_dscnt 0x6
	v_dual_add_f32 v0, v0, v10 :: v_dual_add_f32 v22, v1, v15
	s_wait_dscnt 0x4
	v_dual_add_f32 v8, v8, v16 :: v_dual_add_f32 v20, v9, v17
	;; [unrolled: 2-line block ×4, first 2 shown]
	v_xor_b32_e32 v18, 0x80000000, v3
	v_lshlrev_b32_e32 v6, 2, v6
	s_xor_b32 s2, s2, -1
	s_delay_alu instid0(SALU_CYCLE_1) | instskip(NEXT) | instid1(SALU_CYCLE_1)
	s_and_b32 s2, vcc_lo, s2
	s_and_saveexec_b32 s3, s2
	s_delay_alu instid0(SALU_CYCLE_1)
	s_xor_b32 s2, exec_lo, s3
	s_cbranch_execz .LBB10_36
; %bb.35:
	v_dual_mov_b32 v19, v2 :: v_dual_ashrrev_i32 v7, 31, v6
	s_delay_alu instid0(VALU_DEP_1)
	v_pk_mul_f32 v[4:5], v[22:23], v[18:19] op_sel_hi:[0,1]
	v_pk_mul_f32 v[20:21], v[20:21], v[18:19] op_sel_hi:[0,1]
	;; [unrolled: 1-line block ×4, first 2 shown]
	s_wait_kmcnt 0x0
	v_lshl_add_u64 v[18:19], v[6:7], 3, s[0:1]
	v_pk_fma_f32 v[4:5], v[2:3], v[0:1], v[4:5] op_sel_hi:[1,0,1]
	v_pk_fma_f32 v[6:7], v[2:3], v[8:9], v[20:21] op_sel_hi:[1,0,1]
	v_pk_fma_f32 v[0:1], v[2:3], v[10:11], v[16:17] op_sel_hi:[1,0,1]
	v_pk_fma_f32 v[2:3], v[2:3], v[12:13], v[14:15] op_sel_hi:[1,0,1]
                                        ; implicit-def: $vgpr22
                                        ; implicit-def: $vgpr8
                                        ; implicit-def: $vgpr20
                                        ; implicit-def: $vgpr10
                                        ; implicit-def: $vgpr16
                                        ; implicit-def: $vgpr12
                                        ; implicit-def: $vgpr14
	s_clause 0x1
	global_store_b128 v[18:19], v[4:7], off
	global_store_b128 v[18:19], v[0:3], off offset:16
                                        ; implicit-def: $vgpr0
                                        ; implicit-def: $vgpr2_vgpr3
                                        ; implicit-def: $vgpr4_vgpr5
                                        ; implicit-def: $vgpr18
                                        ; implicit-def: $vgpr6
.LBB10_36:
	s_wait_xcnt 0x0
	s_and_not1_saveexec_b32 s2, s2
	s_cbranch_execz .LBB10_6
; %bb.37:
	v_dual_ashrrev_i32 v7, 31, v6 :: v_dual_mov_b32 v19, v2
	s_wait_kmcnt 0x0
	s_delay_alu instid0(VALU_DEP_1) | instskip(NEXT) | instid1(VALU_DEP_2)
	v_lshl_add_u64 v[32:33], v[6:7], 3, s[0:1]
	v_pk_mul_f32 v[6:7], v[22:23], v[18:19] op_sel_hi:[0,1]
	v_pk_mul_f32 v[20:21], v[20:21], v[18:19] op_sel_hi:[0,1]
	v_pk_mul_f32 v[16:17], v[16:17], v[18:19] op_sel_hi:[0,1]
	v_pk_mul_f32 v[14:15], v[14:15], v[18:19] op_sel_hi:[0,1]
	s_clause 0x1
	global_load_b128 v[24:27], v[32:33], off
	global_load_b128 v[28:31], v[32:33], off offset:16
	v_pk_fma_f32 v[0:1], v[2:3], v[0:1], v[6:7] op_sel_hi:[1,0,1]
	v_pk_fma_f32 v[6:7], v[2:3], v[8:9], v[20:21] op_sel_hi:[1,0,1]
	;; [unrolled: 1-line block ×4, first 2 shown]
	v_xor_b32_e32 v22, 0x80000000, v5
	s_wait_loadcnt 0x1
	v_dual_mov_b32 v23, v4 :: v_dual_mov_b32 v10, v27
	v_pk_fma_f32 v[0:1], v[4:5], v[24:25], v[0:1] op_sel_hi:[1,0,1]
	v_pk_fma_f32 v[6:7], v[4:5], v[26:27], v[6:7] op_sel_hi:[1,0,1]
	s_wait_loadcnt 0x0
	v_pk_fma_f32 v[8:9], v[4:5], v[28:29], v[8:9] op_sel_hi:[1,0,1]
	v_pk_fma_f32 v[12:13], v[4:5], v[30:31], v[2:3] op_sel_hi:[1,0,1]
	v_mov_b32_e32 v14, v31
	v_pk_fma_f32 v[0:1], v[22:23], v[24:25], v[0:1] op_sel:[0,1,0]
	v_pk_fma_f32 v[2:3], v[22:23], v[10:11], v[6:7] op_sel_hi:[1,0,1]
	v_pk_fma_f32 v[4:5], v[22:23], v[28:29], v[8:9] op_sel:[0,1,0]
	s_delay_alu instid0(VALU_DEP_4)
	v_pk_fma_f32 v[6:7], v[22:23], v[14:15], v[12:13] op_sel_hi:[1,0,1]
	s_clause 0x1
	global_store_b128 v[32:33], v[0:3], off
	global_store_b128 v[32:33], v[4:7], off offset:16
	s_sendmsg sendmsg(MSG_DEALLOC_VGPRS)
	s_endpgm
	.section	.rodata,"a",@progbits
	.p2align	6, 0x0
	.amdhsa_kernel _ZN9rocsparseL18bsrxmvn_4x4_kernelILj128ELj4E21rocsparse_complex_numIfEiiS2_S2_S2_EEvT3_20rocsparse_direction_NS_24const_host_device_scalarIT1_EES3_PKS3_PKT2_SC_S9_PKT4_PKT5_S7_PT6_21rocsparse_index_base_b
		.amdhsa_group_segment_fixed_size 0
		.amdhsa_private_segment_fixed_size 0
		.amdhsa_kernarg_size 96
		.amdhsa_user_sgpr_count 2
		.amdhsa_user_sgpr_dispatch_ptr 0
		.amdhsa_user_sgpr_queue_ptr 0
		.amdhsa_user_sgpr_kernarg_segment_ptr 1
		.amdhsa_user_sgpr_dispatch_id 0
		.amdhsa_user_sgpr_kernarg_preload_length 0
		.amdhsa_user_sgpr_kernarg_preload_offset 0
		.amdhsa_user_sgpr_private_segment_size 0
		.amdhsa_wavefront_size32 1
		.amdhsa_uses_dynamic_stack 0
		.amdhsa_enable_private_segment 0
		.amdhsa_system_sgpr_workgroup_id_x 1
		.amdhsa_system_sgpr_workgroup_id_y 0
		.amdhsa_system_sgpr_workgroup_id_z 0
		.amdhsa_system_sgpr_workgroup_info 0
		.amdhsa_system_vgpr_workitem_id 0
		.amdhsa_next_free_vgpr 139
		.amdhsa_next_free_sgpr 16
		.amdhsa_named_barrier_count 0
		.amdhsa_reserve_vcc 1
		.amdhsa_float_round_mode_32 0
		.amdhsa_float_round_mode_16_64 0
		.amdhsa_float_denorm_mode_32 3
		.amdhsa_float_denorm_mode_16_64 3
		.amdhsa_fp16_overflow 0
		.amdhsa_memory_ordered 1
		.amdhsa_forward_progress 1
		.amdhsa_inst_pref_size 60
		.amdhsa_round_robin_scheduling 0
		.amdhsa_exception_fp_ieee_invalid_op 0
		.amdhsa_exception_fp_denorm_src 0
		.amdhsa_exception_fp_ieee_div_zero 0
		.amdhsa_exception_fp_ieee_overflow 0
		.amdhsa_exception_fp_ieee_underflow 0
		.amdhsa_exception_fp_ieee_inexact 0
		.amdhsa_exception_int_div_zero 0
	.end_amdhsa_kernel
	.section	.text._ZN9rocsparseL18bsrxmvn_4x4_kernelILj128ELj4E21rocsparse_complex_numIfEiiS2_S2_S2_EEvT3_20rocsparse_direction_NS_24const_host_device_scalarIT1_EES3_PKS3_PKT2_SC_S9_PKT4_PKT5_S7_PT6_21rocsparse_index_base_b,"axG",@progbits,_ZN9rocsparseL18bsrxmvn_4x4_kernelILj128ELj4E21rocsparse_complex_numIfEiiS2_S2_S2_EEvT3_20rocsparse_direction_NS_24const_host_device_scalarIT1_EES3_PKS3_PKT2_SC_S9_PKT4_PKT5_S7_PT6_21rocsparse_index_base_b,comdat
.Lfunc_end10:
	.size	_ZN9rocsparseL18bsrxmvn_4x4_kernelILj128ELj4E21rocsparse_complex_numIfEiiS2_S2_S2_EEvT3_20rocsparse_direction_NS_24const_host_device_scalarIT1_EES3_PKS3_PKT2_SC_S9_PKT4_PKT5_S7_PT6_21rocsparse_index_base_b, .Lfunc_end10-_ZN9rocsparseL18bsrxmvn_4x4_kernelILj128ELj4E21rocsparse_complex_numIfEiiS2_S2_S2_EEvT3_20rocsparse_direction_NS_24const_host_device_scalarIT1_EES3_PKS3_PKT2_SC_S9_PKT4_PKT5_S7_PT6_21rocsparse_index_base_b
                                        ; -- End function
	.set _ZN9rocsparseL18bsrxmvn_4x4_kernelILj128ELj4E21rocsparse_complex_numIfEiiS2_S2_S2_EEvT3_20rocsparse_direction_NS_24const_host_device_scalarIT1_EES3_PKS3_PKT2_SC_S9_PKT4_PKT5_S7_PT6_21rocsparse_index_base_b.num_vgpr, 139
	.set _ZN9rocsparseL18bsrxmvn_4x4_kernelILj128ELj4E21rocsparse_complex_numIfEiiS2_S2_S2_EEvT3_20rocsparse_direction_NS_24const_host_device_scalarIT1_EES3_PKS3_PKT2_SC_S9_PKT4_PKT5_S7_PT6_21rocsparse_index_base_b.num_agpr, 0
	.set _ZN9rocsparseL18bsrxmvn_4x4_kernelILj128ELj4E21rocsparse_complex_numIfEiiS2_S2_S2_EEvT3_20rocsparse_direction_NS_24const_host_device_scalarIT1_EES3_PKS3_PKT2_SC_S9_PKT4_PKT5_S7_PT6_21rocsparse_index_base_b.numbered_sgpr, 16
	.set _ZN9rocsparseL18bsrxmvn_4x4_kernelILj128ELj4E21rocsparse_complex_numIfEiiS2_S2_S2_EEvT3_20rocsparse_direction_NS_24const_host_device_scalarIT1_EES3_PKS3_PKT2_SC_S9_PKT4_PKT5_S7_PT6_21rocsparse_index_base_b.num_named_barrier, 0
	.set _ZN9rocsparseL18bsrxmvn_4x4_kernelILj128ELj4E21rocsparse_complex_numIfEiiS2_S2_S2_EEvT3_20rocsparse_direction_NS_24const_host_device_scalarIT1_EES3_PKS3_PKT2_SC_S9_PKT4_PKT5_S7_PT6_21rocsparse_index_base_b.private_seg_size, 0
	.set _ZN9rocsparseL18bsrxmvn_4x4_kernelILj128ELj4E21rocsparse_complex_numIfEiiS2_S2_S2_EEvT3_20rocsparse_direction_NS_24const_host_device_scalarIT1_EES3_PKS3_PKT2_SC_S9_PKT4_PKT5_S7_PT6_21rocsparse_index_base_b.uses_vcc, 1
	.set _ZN9rocsparseL18bsrxmvn_4x4_kernelILj128ELj4E21rocsparse_complex_numIfEiiS2_S2_S2_EEvT3_20rocsparse_direction_NS_24const_host_device_scalarIT1_EES3_PKS3_PKT2_SC_S9_PKT4_PKT5_S7_PT6_21rocsparse_index_base_b.uses_flat_scratch, 1
	.set _ZN9rocsparseL18bsrxmvn_4x4_kernelILj128ELj4E21rocsparse_complex_numIfEiiS2_S2_S2_EEvT3_20rocsparse_direction_NS_24const_host_device_scalarIT1_EES3_PKS3_PKT2_SC_S9_PKT4_PKT5_S7_PT6_21rocsparse_index_base_b.has_dyn_sized_stack, 0
	.set _ZN9rocsparseL18bsrxmvn_4x4_kernelILj128ELj4E21rocsparse_complex_numIfEiiS2_S2_S2_EEvT3_20rocsparse_direction_NS_24const_host_device_scalarIT1_EES3_PKS3_PKT2_SC_S9_PKT4_PKT5_S7_PT6_21rocsparse_index_base_b.has_recursion, 0
	.set _ZN9rocsparseL18bsrxmvn_4x4_kernelILj128ELj4E21rocsparse_complex_numIfEiiS2_S2_S2_EEvT3_20rocsparse_direction_NS_24const_host_device_scalarIT1_EES3_PKS3_PKT2_SC_S9_PKT4_PKT5_S7_PT6_21rocsparse_index_base_b.has_indirect_call, 0
	.section	.AMDGPU.csdata,"",@progbits
; Kernel info:
; codeLenInByte = 7592
; TotalNumSgprs: 18
; NumVgprs: 139
; ScratchSize: 0
; MemoryBound: 0
; FloatMode: 240
; IeeeMode: 1
; LDSByteSize: 0 bytes/workgroup (compile time only)
; SGPRBlocks: 0
; VGPRBlocks: 8
; NumSGPRsForWavesPerEU: 18
; NumVGPRsForWavesPerEU: 139
; NamedBarCnt: 0
; Occupancy: 7
; WaveLimiterHint : 1
; COMPUTE_PGM_RSRC2:SCRATCH_EN: 0
; COMPUTE_PGM_RSRC2:USER_SGPR: 2
; COMPUTE_PGM_RSRC2:TRAP_HANDLER: 0
; COMPUTE_PGM_RSRC2:TGID_X_EN: 1
; COMPUTE_PGM_RSRC2:TGID_Y_EN: 0
; COMPUTE_PGM_RSRC2:TGID_Z_EN: 0
; COMPUTE_PGM_RSRC2:TIDIG_COMP_CNT: 0
	.section	.text._ZN9rocsparseL18bsrxmvn_4x4_kernelILj128ELj8E21rocsparse_complex_numIfEiiS2_S2_S2_EEvT3_20rocsparse_direction_NS_24const_host_device_scalarIT1_EES3_PKS3_PKT2_SC_S9_PKT4_PKT5_S7_PT6_21rocsparse_index_base_b,"axG",@progbits,_ZN9rocsparseL18bsrxmvn_4x4_kernelILj128ELj8E21rocsparse_complex_numIfEiiS2_S2_S2_EEvT3_20rocsparse_direction_NS_24const_host_device_scalarIT1_EES3_PKS3_PKT2_SC_S9_PKT4_PKT5_S7_PT6_21rocsparse_index_base_b,comdat
	.globl	_ZN9rocsparseL18bsrxmvn_4x4_kernelILj128ELj8E21rocsparse_complex_numIfEiiS2_S2_S2_EEvT3_20rocsparse_direction_NS_24const_host_device_scalarIT1_EES3_PKS3_PKT2_SC_S9_PKT4_PKT5_S7_PT6_21rocsparse_index_base_b ; -- Begin function _ZN9rocsparseL18bsrxmvn_4x4_kernelILj128ELj8E21rocsparse_complex_numIfEiiS2_S2_S2_EEvT3_20rocsparse_direction_NS_24const_host_device_scalarIT1_EES3_PKS3_PKT2_SC_S9_PKT4_PKT5_S7_PT6_21rocsparse_index_base_b
	.p2align	8
	.type	_ZN9rocsparseL18bsrxmvn_4x4_kernelILj128ELj8E21rocsparse_complex_numIfEiiS2_S2_S2_EEvT3_20rocsparse_direction_NS_24const_host_device_scalarIT1_EES3_PKS3_PKT2_SC_S9_PKT4_PKT5_S7_PT6_21rocsparse_index_base_b,@function
_ZN9rocsparseL18bsrxmvn_4x4_kernelILj128ELj8E21rocsparse_complex_numIfEiiS2_S2_S2_EEvT3_20rocsparse_direction_NS_24const_host_device_scalarIT1_EES3_PKS3_PKT2_SC_S9_PKT4_PKT5_S7_PT6_21rocsparse_index_base_b: ; @_ZN9rocsparseL18bsrxmvn_4x4_kernelILj128ELj8E21rocsparse_complex_numIfEiiS2_S2_S2_EEvT3_20rocsparse_direction_NS_24const_host_device_scalarIT1_EES3_PKS3_PKT2_SC_S9_PKT4_PKT5_S7_PT6_21rocsparse_index_base_b
; %bb.0:
	s_clause 0x2
	s_load_b64 s[12:13], s[0:1], 0x58
	s_load_b64 s[2:3], s[0:1], 0x8
	s_load_b64 s[4:5], s[0:1], 0x48
	v_mov_b32_e32 v1, 0
	s_add_nc_u64 s[6:7], s[0:1], 8
	s_add_nc_u64 s[8:9], s[0:1], 0x48
	s_wait_kmcnt 0x0
	s_bitcmp1_b32 s13, 0
	s_cselect_b32 s3, s7, s3
	s_cselect_b32 s2, s6, s2
	;; [unrolled: 1-line block ×4, first 2 shown]
	s_clause 0x1
	flat_load_b64 v[2:3], v1, s[2:3]
	flat_load_b64 v[4:5], v1, s[4:5]
	s_wait_loadcnt_dscnt 0x101
	v_cmp_neq_f32_e32 vcc_lo, 0, v2
	v_cmp_neq_f32_e64 s3, 0, v3
	s_wait_loadcnt_dscnt 0x0
	v_cmp_neq_f32_e64 s4, 1.0, v4
	v_cmp_neq_f32_e64 s2, 0, v5
	s_or_b32 s5, vcc_lo, s3
	s_mov_b32 s3, 0
	s_or_b32 s4, s4, s2
	s_delay_alu instid0(SALU_CYCLE_1) | instskip(NEXT) | instid1(SALU_CYCLE_1)
	s_or_b32 s4, s5, s4
	s_and_saveexec_b32 s5, s4
	s_cbranch_execz .LBB11_6
; %bb.1:
	s_clause 0x1
	s_load_b64 s[4:5], s[0:1], 0x18
	s_load_b64 s[14:15], s[0:1], 0x0
	s_bfe_u32 s6, ttmp6, 0x4000c
	s_and_b32 s7, ttmp6, 15
	s_add_co_i32 s6, s6, 1
	s_getreg_b32 s8, hwreg(HW_REG_IB_STS2, 6, 4)
	s_mul_i32 s6, ttmp9, s6
	v_lshrrev_b32_e32 v1, 3, v0
	s_add_co_i32 s7, s7, s6
	s_cmp_eq_u32 s8, 0
	s_cselect_b32 s6, ttmp9, s7
	s_delay_alu instid0(VALU_DEP_1) | instid1(SALU_CYCLE_1)
	v_lshl_or_b32 v6, s6, 4, v1
	s_wait_kmcnt 0x0
	s_cmp_lg_u64 s[4:5], 0
	s_cbranch_scc0 .LBB11_7
; %bb.2:
	s_load_b32 s3, s[0:1], 0x10
	s_mov_b32 s6, 0
                                        ; implicit-def: $vgpr1
	s_wait_kmcnt 0x0
	v_cmp_gt_i32_e32 vcc_lo, s3, v6
	s_mov_b32 s3, 0
	s_and_saveexec_b32 s7, vcc_lo
	s_delay_alu instid0(SALU_CYCLE_1)
	s_xor_b32 s7, exec_lo, s7
	s_cbranch_execz .LBB11_4
; %bb.3:
	global_load_b32 v1, v6, s[4:5] scale_offset
	s_mov_b32 s3, exec_lo
	s_wait_loadcnt 0x0
	v_subrev_nc_u32_e32 v1, s12, v1
.LBB11_4:
	s_or_b32 exec_lo, exec_lo, s7
	s_delay_alu instid0(SALU_CYCLE_1)
	s_and_b32 vcc_lo, exec_lo, s6
	s_cbranch_vccz .LBB11_8
.LBB11_5:
	v_cmp_gt_i32_e32 vcc_lo, s14, v6
	s_and_not1_b32 s3, s3, exec_lo
	s_and_b32 s4, vcc_lo, exec_lo
	s_delay_alu instid0(SALU_CYCLE_1) | instskip(NEXT) | instid1(SALU_CYCLE_1)
	s_or_b32 s3, s3, s4
	s_and_b32 exec_lo, exec_lo, s3
	s_cbranch_execnz .LBB11_9
.LBB11_6:
	s_sendmsg sendmsg(MSG_DEALLOC_VGPRS)
	s_endpgm
.LBB11_7:
                                        ; implicit-def: $vgpr1
	s_cbranch_execnz .LBB11_5
.LBB11_8:
	s_delay_alu instid0(VALU_DEP_1)
	v_mov_b32_e32 v6, v1
	s_and_b32 exec_lo, exec_lo, s3
	s_cbranch_execz .LBB11_6
.LBB11_9:
	s_load_b256 s[4:11], s[0:1], 0x20
	s_wait_kmcnt 0x0
	s_cmp_eq_u64 s[6:7], 0
	global_load_b32 v20, v6, s[4:5] scale_offset
	s_cselect_b32 vcc_lo, -1, 0
	v_ashrrev_i32_e32 v7, 31, v6
	s_cmp_eq_u32 s15, 1
	s_delay_alu instid0(VALU_DEP_1) | instskip(SKIP_1) | instid1(VALU_DEP_2)
	v_lshlrev_b64_e32 v[8:9], 2, v[6:7]
	v_and_b32_e32 v7, 7, v0
	v_add_nc_u64_e32 v[10:11], s[4:5], v[8:9]
	v_add_nc_u64_e32 v[8:9], s[6:7], v[8:9]
	s_wait_xcnt 0x0
	s_load_b64 s[4:5], s[0:1], 0x40
	s_delay_alu instid0(VALU_DEP_2) | instskip(NEXT) | instid1(VALU_DEP_1)
	v_add_nc_u64_e32 v[10:11], 4, v[10:11]
	v_dual_cndmask_b32 v9, v9, v11 :: v_dual_cndmask_b32 v8, v8, v10
	global_load_b32 v10, v[8:9], off
	s_wait_loadcnt 0x1
	v_subrev_nc_u32_e32 v0, s12, v20
	s_delay_alu instid0(VALU_DEP_1) | instskip(NEXT) | instid1(VALU_DEP_1)
	v_add_nc_u32_e32 v0, v0, v7
	v_ashrrev_i32_e32 v1, 31, v0
	s_wait_xcnt 0x0
	s_delay_alu instid0(VALU_DEP_1) | instskip(NEXT) | instid1(VALU_DEP_1)
	v_lshlrev_b64_e32 v[8:9], 7, v[0:1]
	v_add_nc_u64_e32 v[8:9], s[10:11], v[8:9]
	s_wait_loadcnt 0x0
	v_subrev_nc_u32_e32 v1, s12, v10
	s_delay_alu instid0(VALU_DEP_1)
	v_cmp_lt_i32_e64 s3, v0, v1
	s_cbranch_scc1 .LBB11_21
; %bb.10:
	v_dual_mov_b32 v17, 0 :: v_dual_mov_b32 v16, 0
	v_dual_mov_b32 v11, 0 :: v_dual_mov_b32 v10, 0
	;; [unrolled: 1-line block ×4, first 2 shown]
	s_and_saveexec_b32 s6, s3
	s_cbranch_execz .LBB11_20
; %bb.11:
	v_add_nc_u32_e32 v10, v20, v7
	v_not_b32_e32 v11, v20
	v_mov_b64_e32 v[16:17], 0
	v_mov_b64_e32 v[12:13], 0
	;; [unrolled: 1-line block ×3, first 2 shown]
	v_subrev_nc_u32_e32 v10, s12, v10
	v_mov_b64_e32 v[18:19], v[8:9]
	s_delay_alu instid0(VALU_DEP_2) | instskip(NEXT) | instid1(VALU_DEP_1)
	v_add_max_i32_e64 v10, v10, 8, v1
	v_add3_u32 v10, s12, v10, v11
	s_delay_alu instid0(VALU_DEP_1) | instskip(SKIP_1) | instid1(VALU_DEP_2)
	v_sub_nc_u32_e32 v22, v10, v7
	v_mov_b64_e32 v[10:11], 0
	v_and_b32_e32 v21, 24, v22
	s_delay_alu instid0(VALU_DEP_1)
	v_cmp_ne_u32_e32 vcc_lo, 24, v21
	v_mov_b32_e32 v21, v0
	s_and_saveexec_b32 s7, vcc_lo
	s_cbranch_execz .LBB11_15
; %bb.12:
	v_dual_lshrrev_b32 v10, 3, v22 :: v_dual_mov_b32 v14, 0
	v_mov_b64_e32 v[18:19], v[8:9]
	s_mov_b32 s10, 0
	s_delay_alu instid0(VALU_DEP_2) | instskip(NEXT) | instid1(VALU_DEP_3)
	v_dual_mov_b32 v21, v0 :: v_dual_add_nc_u32 v10, 1, v10
	v_dual_mov_b32 v15, v14 :: v_dual_mov_b32 v12, v14
	v_dual_mov_b32 v13, v14 :: v_dual_mov_b32 v11, v14
	s_delay_alu instid0(VALU_DEP_3) | instskip(NEXT) | instid1(VALU_DEP_1)
	v_dual_mov_b32 v10, v14 :: v_dual_bitop2_b32 v17, 3, v10 bitop3:0x40
	v_dual_mov_b32 v16, v14 :: v_dual_sub_nc_u32 v23, 0, v17
	v_mov_b32_e32 v17, v14
.LBB11_13:                              ; =>This Inner Loop Header: Depth=1
	global_load_b32 v56, v21, s[8:9] scale_offset
	s_clause 0x7
	global_load_b128 v[24:27], v[18:19], off offset:48
	global_load_b128 v[28:31], v[18:19], off offset:32
	;; [unrolled: 1-line block ×3, first 2 shown]
	global_load_b128 v[36:39], v[18:19], off
	global_load_b128 v[40:43], v[18:19], off offset:112
	global_load_b128 v[44:47], v[18:19], off offset:96
	;; [unrolled: 1-line block ×4, first 2 shown]
	s_wait_xcnt 0x0
	v_add_nc_u64_e32 v[18:19], 0x400, v[18:19]
	v_add_co_u32 v23, s11, v23, 1
	s_or_b32 s10, s11, s10
	v_add_nc_u32_e32 v21, 8, v21
	s_wait_loadcnt 0x8
	v_subrev_nc_u32_e32 v56, s12, v56
	s_wait_loadcnt 0x7
	v_mov_b32_e32 v71, v26
	s_wait_loadcnt 0x6
	v_xor_b32_e32 v68, 0x80000000, v31
	s_wait_loadcnt 0x5
	v_dual_mov_b32 v67, v34 :: v_dual_mov_b32 v69, v30
	v_lshlrev_b32_e32 v56, 2, v56
	s_wait_loadcnt 0x2
	v_xor_b32_e32 v76, 0x80000000, v47
	s_wait_loadcnt 0x1
	v_dual_mov_b32 v75, v50 :: v_dual_mov_b32 v77, v46
	s_wait_loadcnt 0x0
	v_xor_b32_e32 v72, 0x80000000, v55
	v_dual_ashrrev_i32 v57, 31, v56 :: v_dual_mov_b32 v73, v54
	v_xor_b32_e32 v66, 0x80000000, v35
	v_xor_b32_e32 v70, 0x80000000, v27
	;; [unrolled: 1-line block ×3, first 2 shown]
	s_wait_kmcnt 0x0
	v_lshl_add_u64 v[64:65], v[56:57], 3, s[4:5]
	v_xor_b32_e32 v78, 0x80000000, v43
	s_clause 0x1
	global_load_b128 v[56:59], v[64:65], off
	global_load_b128 v[60:63], v[64:65], off offset:16
	s_wait_xcnt 0x0
	v_xor_b32_e32 v64, 0x80000000, v39
	v_dual_mov_b32 v65, v38 :: v_dual_mov_b32 v79, v42
	s_wait_loadcnt 0x1
	v_mov_b32_e32 v80, v59
	v_pk_fma_f32 v[16:17], v[36:37], v[56:57], v[16:17] op_sel_hi:[1,0,1]
	v_pk_fma_f32 v[14:15], v[28:29], v[56:57], v[14:15] op_sel_hi:[1,0,1]
	;; [unrolled: 1-line block ×4, first 2 shown]
	s_wait_loadcnt 0x0
	v_mov_b32_e32 v82, v63
	v_pk_fma_f32 v[16:17], v[36:37], v[56:57], v[16:17] op_sel:[1,1,0] op_sel_hi:[0,1,1] neg_lo:[1,0,0]
	v_pk_fma_f32 v[14:15], v[28:29], v[56:57], v[14:15] op_sel:[1,1,0] op_sel_hi:[0,1,1] neg_lo:[1,0,0]
	;; [unrolled: 1-line block ×4, first 2 shown]
	s_delay_alu instid0(VALU_DEP_4) | instskip(NEXT) | instid1(VALU_DEP_4)
	v_pk_fma_f32 v[16:17], v[38:39], v[58:59], v[16:17] op_sel_hi:[1,0,1]
	v_pk_fma_f32 v[14:15], v[30:31], v[58:59], v[14:15] op_sel_hi:[1,0,1]
	s_delay_alu instid0(VALU_DEP_4) | instskip(NEXT) | instid1(VALU_DEP_4)
	v_pk_fma_f32 v[12:13], v[54:55], v[58:59], v[12:13] op_sel_hi:[1,0,1]
	v_pk_fma_f32 v[10:11], v[46:47], v[58:59], v[10:11] op_sel_hi:[1,0,1]
	;; [unrolled: 3-line block ×6, first 2 shown]
	s_delay_alu instid0(VALU_DEP_4) | instskip(NEXT) | instid1(VALU_DEP_4)
	v_pk_fma_f32 v[16:17], v[32:33], v[60:61], v[16:17] op_sel:[1,1,0] op_sel_hi:[0,1,1] neg_lo:[1,0,0]
	v_pk_fma_f32 v[14:15], v[24:25], v[60:61], v[14:15] op_sel:[1,1,0] op_sel_hi:[0,1,1] neg_lo:[1,0,0]
	s_delay_alu instid0(VALU_DEP_4) | instskip(NEXT) | instid1(VALU_DEP_4)
	v_pk_fma_f32 v[12:13], v[48:49], v[60:61], v[12:13] op_sel:[1,1,0] op_sel_hi:[0,1,1] neg_lo:[1,0,0]
	v_pk_fma_f32 v[10:11], v[40:41], v[60:61], v[10:11] op_sel:[1,1,0] op_sel_hi:[0,1,1] neg_lo:[1,0,0]
	s_delay_alu instid0(VALU_DEP_4) | instskip(NEXT) | instid1(VALU_DEP_4)
	v_pk_fma_f32 v[16:17], v[34:35], v[62:63], v[16:17] op_sel_hi:[1,0,1]
	v_pk_fma_f32 v[14:15], v[26:27], v[62:63], v[14:15] op_sel_hi:[1,0,1]
	s_delay_alu instid0(VALU_DEP_4) | instskip(NEXT) | instid1(VALU_DEP_4)
	v_pk_fma_f32 v[12:13], v[50:51], v[62:63], v[12:13] op_sel_hi:[1,0,1]
	v_pk_fma_f32 v[10:11], v[42:43], v[62:63], v[10:11] op_sel_hi:[1,0,1]
	;; [unrolled: 3-line block ×4, first 2 shown]
	s_and_not1_b32 exec_lo, exec_lo, s10
	s_cbranch_execnz .LBB11_13
; %bb.14:
	s_or_b32 exec_lo, exec_lo, s10
.LBB11_15:
	s_delay_alu instid0(SALU_CYCLE_1) | instskip(NEXT) | instid1(SALU_CYCLE_1)
	s_or_b32 exec_lo, exec_lo, s7
	s_mov_b32 s7, exec_lo
	v_cmpx_lt_u32_e32 23, v22
	s_cbranch_execz .LBB11_19
; %bb.16:
	s_mov_b32 s10, 0
.LBB11_17:                              ; =>This Inner Loop Header: Depth=1
	global_load_b32 v118, v21, s[8:9] scale_offset
	s_clause 0xf
	global_load_b128 v[22:25], v[18:19], off
	global_load_b128 v[26:29], v[18:19], off offset:16
	global_load_b128 v[30:33], v[18:19], off offset:48
	;; [unrolled: 1-line block ×15, first 2 shown]
	s_clause 0x2
	global_load_b32 v136, v21, s[8:9] offset:32 scale_offset
	global_load_b32 v137, v21, s[8:9] offset:64 scale_offset
	;; [unrolled: 1-line block ×3, first 2 shown]
	s_clause 0x7
	global_load_b128 v[86:89], v[18:19], off offset:2096
	global_load_b128 v[90:93], v[18:19], off offset:2080
	;; [unrolled: 1-line block ×8, first 2 shown]
	s_wait_loadcnt 0x1b
	v_subrev_nc_u32_e32 v118, s12, v118
	s_wait_loadcnt 0x1a
	v_mov_b32_e32 v127, v24
	v_xor_b32_e32 v126, 0x80000000, v25
	s_delay_alu instid0(VALU_DEP_3)
	v_lshlrev_b32_e32 v118, 2, v118
	s_wait_loadcnt 0x15
	v_xor_b32_e32 v134, 0x80000000, v45
	s_wait_loadcnt 0x13
	v_dual_mov_b32 v135, v44 :: v_dual_mov_b32 v133, v52
	v_xor_b32_e32 v132, 0x80000000, v53
	v_ashrrev_i32_e32 v119, 31, v118
	s_wait_kmcnt 0x0
	s_delay_alu instid0(VALU_DEP_1)
	v_lshl_add_u64 v[128:129], v[118:119], 3, s[4:5]
	s_clause 0x1
	global_load_b128 v[118:121], v[128:129], off
	global_load_b128 v[122:125], v[128:129], off offset:16
	s_wait_xcnt 0x0
	v_xor_b32_e32 v128, 0x80000000, v37
	v_mov_b32_e32 v129, v36
	s_wait_loadcnt 0x1
	v_pk_fma_f32 v[14:15], v[34:35], v[118:119], v[14:15] op_sel_hi:[1,0,1]
	v_pk_fma_f32 v[16:17], v[22:23], v[118:119], v[16:17] op_sel_hi:[1,0,1]
	;; [unrolled: 1-line block ×4, first 2 shown]
	s_delay_alu instid0(VALU_DEP_4) | instskip(NEXT) | instid1(VALU_DEP_4)
	v_pk_fma_f32 v[14:15], v[34:35], v[118:119], v[14:15] op_sel:[1,1,0] op_sel_hi:[0,1,1] neg_lo:[1,0,0]
	v_pk_fma_f32 v[16:17], v[22:23], v[118:119], v[16:17] op_sel:[1,1,0] op_sel_hi:[0,1,1] neg_lo:[1,0,0]
	s_delay_alu instid0(VALU_DEP_4) | instskip(NEXT) | instid1(VALU_DEP_4)
	v_pk_fma_f32 v[12:13], v[50:51], v[118:119], v[12:13] op_sel:[1,1,0] op_sel_hi:[0,1,1] neg_lo:[1,0,0]
	v_pk_fma_f32 v[10:11], v[42:43], v[118:119], v[10:11] op_sel:[1,1,0] op_sel_hi:[0,1,1] neg_lo:[1,0,0]
	v_mov_b32_e32 v118, v121
	v_pk_fma_f32 v[130:131], v[36:37], v[120:121], v[14:15] op_sel_hi:[1,0,1]
	v_pk_fma_f32 v[16:17], v[24:25], v[120:121], v[16:17] op_sel_hi:[1,0,1]
	;; [unrolled: 1-line block ×4, first 2 shown]
	s_clause 0x1
	global_load_b128 v[22:25], v[18:19], off offset:3120
	global_load_b128 v[12:15], v[18:19], off offset:3104
	v_pk_fma_f32 v[120:121], v[128:129], v[118:119], v[130:131] op_sel_hi:[1,0,1]
	v_pk_fma_f32 v[16:17], v[126:127], v[118:119], v[16:17] op_sel_hi:[1,0,1]
	;; [unrolled: 1-line block ×4, first 2 shown]
	v_xor_b32_e32 v132, 0x80000000, v41
	s_wait_loadcnt 0x2
	v_pk_fma_f32 v[120:121], v[30:31], v[122:123], v[120:121] op_sel_hi:[1,0,1]
	v_pk_fma_f32 v[16:17], v[26:27], v[122:123], v[16:17] op_sel_hi:[1,0,1]
	v_mov_b32_e32 v133, v40
	v_pk_fma_f32 v[10:11], v[38:39], v[122:123], v[10:11] op_sel_hi:[1,0,1]
	v_xor_b32_e32 v118, 0x80000000, v29
	v_pk_fma_f32 v[30:31], v[30:31], v[122:123], v[120:121] op_sel:[1,1,0] op_sel_hi:[0,1,1] neg_lo:[1,0,0]
	v_pk_fma_f32 v[16:17], v[26:27], v[122:123], v[16:17] op_sel:[1,1,0] op_sel_hi:[0,1,1] neg_lo:[1,0,0]
	v_mov_b32_e32 v119, v28
	v_pk_fma_f32 v[10:11], v[38:39], v[122:123], v[10:11] op_sel:[1,1,0] op_sel_hi:[0,1,1] neg_lo:[1,0,0]
	v_xor_b32_e32 v128, 0x80000000, v33
	v_pk_fma_f32 v[120:121], v[32:33], v[124:125], v[30:31] op_sel_hi:[1,0,1]
	v_pk_fma_f32 v[30:31], v[46:47], v[122:123], v[126:127] op_sel_hi:[1,0,1]
	;; [unrolled: 1-line block ×4, first 2 shown]
	v_dual_mov_b32 v129, v32 :: v_dual_mov_b32 v131, v48
	s_delay_alu instid0(VALU_DEP_4)
	v_pk_fma_f32 v[30:31], v[46:47], v[122:123], v[30:31] op_sel:[1,1,0] op_sel_hi:[0,1,1] neg_lo:[1,0,0]
	v_subrev_nc_u32_e32 v46, s12, v136
	v_mov_b32_e32 v135, v60
	v_subrev_nc_u32_e32 v136, s12, v137
	v_xor_b32_e32 v130, 0x80000000, v49
	v_pk_fma_f32 v[126:127], v[48:49], v[124:125], v[30:31] op_sel_hi:[1,0,1]
	v_dual_mov_b32 v123, v68 :: v_dual_lshlrev_b32 v38, 2, v46
	v_mov_b32_e32 v124, v125
	v_subrev_nc_u32_e32 v137, s12, v138
	v_xor_b32_e32 v122, 0x80000000, v69
	s_delay_alu instid0(VALU_DEP_4)
	v_ashrrev_i32_e32 v39, 31, v38
	s_clause 0x1
	global_load_b128 v[50:53], v[18:19], off offset:3152
	global_load_b128 v[26:29], v[18:19], off offset:3136
	v_pk_fma_f32 v[16:17], v[118:119], v[124:125], v[16:17] op_sel_hi:[1,0,1]
	v_lshlrev_b32_e32 v118, 2, v136
	v_lshl_add_u64 v[46:47], v[38:39], 3, s[4:5]
	v_pk_fma_f32 v[128:129], v[128:129], v[124:125], v[120:121] op_sel_hi:[1,0,1]
	v_pk_fma_f32 v[126:127], v[130:131], v[124:125], v[126:127] op_sel_hi:[1,0,1]
	;; [unrolled: 1-line block ×3, first 2 shown]
	v_mov_b32_e32 v125, v84
	global_load_b128 v[38:41], v[46:47], off
	v_ashrrev_i32_e32 v119, 31, v118
	s_clause 0x2
	global_load_b128 v[34:37], v[18:19], off offset:3088
	global_load_b128 v[42:45], v[18:19], off offset:3072
	;; [unrolled: 1-line block ×3, first 2 shown]
	v_xor_b32_e32 v134, 0x80000000, v61
	v_lshl_add_u64 v[130:131], v[118:119], 3, s[4:5]
	v_xor_b32_e32 v124, 0x80000000, v85
	s_clause 0x1
	global_load_b128 v[118:121], v[130:131], off
	global_load_b128 v[46:49], v[46:47], off offset:16
	v_add_nc_u32_e32 v21, 32, v21
	s_wait_loadcnt 0x5
	v_pk_fma_f32 v[16:17], v[66:67], v[38:39], v[16:17] op_sel_hi:[1,0,1]
	v_pk_fma_f32 v[128:129], v[58:59], v[38:39], v[128:129] op_sel_hi:[1,0,1]
	;; [unrolled: 1-line block ×4, first 2 shown]
	s_delay_alu instid0(VALU_DEP_4)
	v_pk_fma_f32 v[16:17], v[66:67], v[38:39], v[16:17] op_sel:[1,1,0] op_sel_hi:[0,1,1] neg_lo:[1,0,0]
	v_lshlrev_b32_e32 v66, 2, v137
	v_pk_fma_f32 v[58:59], v[58:59], v[38:39], v[128:129] op_sel:[1,1,0] op_sel_hi:[0,1,1] neg_lo:[1,0,0]
	v_pk_fma_f32 v[82:83], v[82:83], v[38:39], v[126:127] op_sel:[1,1,0] op_sel_hi:[0,1,1] neg_lo:[1,0,0]
	;; [unrolled: 1-line block ×3, first 2 shown]
	v_pk_fma_f32 v[16:17], v[68:69], v[40:41], v[16:17] op_sel_hi:[1,0,1]
	v_ashrrev_i32_e32 v67, 31, v66
	v_pk_fma_f32 v[128:129], v[60:61], v[40:41], v[58:59] op_sel_hi:[1,0,1]
	v_pk_fma_f32 v[126:127], v[84:85], v[40:41], v[82:83] op_sel_hi:[1,0,1]
	;; [unrolled: 1-line block ×3, first 2 shown]
	v_mov_b32_e32 v38, v41
	v_lshl_add_u64 v[132:133], v[66:67], 3, s[4:5]
	global_load_b128 v[66:69], v[130:131], off offset:16
	s_wait_xcnt 0x0
	v_xor_b32_e32 v130, 0x80000000, v77
	v_mov_b32_e32 v131, v76
	v_pk_fma_f32 v[16:17], v[122:123], v[38:39], v[16:17] op_sel_hi:[1,0,1]
	global_load_b128 v[58:61], v[132:133], off
	global_load_b128 v[74:77], v[18:19], off offset:3184
	global_load_b128 v[82:85], v[132:133], off offset:16
	v_pk_fma_f32 v[128:129], v[134:135], v[38:39], v[128:129] op_sel_hi:[1,0,1]
	v_pk_fma_f32 v[124:125], v[124:125], v[38:39], v[126:127] op_sel_hi:[1,0,1]
	;; [unrolled: 1-line block ×3, first 2 shown]
	s_wait_loadcnt 0x4
	v_pk_fma_f32 v[16:17], v[62:63], v[46:47], v[16:17] op_sel_hi:[1,0,1]
	v_xor_b32_e32 v40, 0x80000000, v65
	v_pk_fma_f32 v[128:129], v[54:55], v[46:47], v[128:129] op_sel_hi:[1,0,1]
	v_pk_fma_f32 v[124:125], v[78:79], v[46:47], v[124:125] op_sel_hi:[1,0,1]
	v_pk_fma_f32 v[10:11], v[70:71], v[46:47], v[10:11] op_sel_hi:[1,0,1]
	v_pk_fma_f32 v[16:17], v[62:63], v[46:47], v[16:17] op_sel:[1,1,0] op_sel_hi:[0,1,1] neg_lo:[1,0,0]
	v_dual_mov_b32 v41, v64 :: v_dual_mov_b32 v123, v56
	v_pk_fma_f32 v[54:55], v[54:55], v[46:47], v[128:129] op_sel:[1,1,0] op_sel_hi:[0,1,1] neg_lo:[1,0,0]
	v_pk_fma_f32 v[78:79], v[78:79], v[46:47], v[124:125] op_sel:[1,1,0] op_sel_hi:[0,1,1] neg_lo:[1,0,0]
	;; [unrolled: 1-line block ×3, first 2 shown]
	v_xor_b32_e32 v122, 0x80000000, v57
	s_wait_xcnt 0x0
	v_xor_b32_e32 v132, 0x80000000, v81
	v_dual_mov_b32 v133, v80 :: v_dual_mov_b32 v127, v72
	v_xor_b32_e32 v126, 0x80000000, v73
	v_pk_fma_f32 v[16:17], v[64:65], v[48:49], v[16:17] op_sel_hi:[1,0,1]
	v_pk_fma_f32 v[54:55], v[56:57], v[48:49], v[54:55] op_sel_hi:[1,0,1]
	;; [unrolled: 1-line block ×4, first 2 shown]
	v_dual_mov_b32 v48, v49 :: v_dual_mov_b32 v73, v14
	v_xor_b32_e32 v38, 0x80000000, v101
	v_dual_mov_b32 v39, v100 :: v_dual_mov_b32 v131, v92
	s_delay_alu instid0(VALU_DEP_3)
	v_pk_fma_f32 v[16:17], v[40:41], v[48:49], v[16:17] op_sel_hi:[1,0,1]
	v_pk_fma_f32 v[40:41], v[122:123], v[48:49], v[54:55] op_sel_hi:[1,0,1]
	v_pk_fma_f32 v[54:55], v[132:133], v[48:49], v[78:79] op_sel_hi:[1,0,1]
	v_pk_fma_f32 v[10:11], v[126:127], v[48:49], v[10:11] op_sel_hi:[1,0,1]
	v_xor_b32_e32 v130, 0x80000000, v93
	v_pk_fma_f32 v[16:17], v[98:99], v[118:119], v[16:17] op_sel_hi:[1,0,1]
	v_pk_fma_f32 v[40:41], v[90:91], v[118:119], v[40:41] op_sel_hi:[1,0,1]
	;; [unrolled: 1-line block ×4, first 2 shown]
	v_xor_b32_e32 v62, 0x80000000, v117
	v_pk_fma_f32 v[16:17], v[98:99], v[118:119], v[16:17] op_sel:[1,1,0] op_sel_hi:[0,1,1] neg_lo:[1,0,0]
	v_pk_fma_f32 v[40:41], v[90:91], v[118:119], v[40:41] op_sel:[1,1,0] op_sel_hi:[0,1,1] neg_lo:[1,0,0]
	;; [unrolled: 1-line block ×4, first 2 shown]
	v_dual_mov_b32 v63, v116 :: v_dual_mov_b32 v65, v108
	v_xor_b32_e32 v64, 0x80000000, v109
	v_dual_mov_b32 v78, v121 :: v_dual_mov_b32 v55, v24
	v_pk_fma_f32 v[16:17], v[100:101], v[120:121], v[16:17] op_sel_hi:[1,0,1]
	v_pk_fma_f32 v[40:41], v[92:93], v[120:121], v[40:41] op_sel_hi:[1,0,1]
	;; [unrolled: 1-line block ×4, first 2 shown]
	v_xor_b32_e32 v56, 0x80000000, v97
	v_pk_fma_f32 v[16:17], v[38:39], v[78:79], v[16:17] op_sel_hi:[1,0,1]
	v_pk_fma_f32 v[38:39], v[130:131], v[78:79], v[40:41] op_sel_hi:[1,0,1]
	;; [unrolled: 1-line block ×4, first 2 shown]
	v_dual_mov_b32 v57, v96 :: v_dual_mov_b32 v129, v88
	v_xor_b32_e32 v128, 0x80000000, v89
	v_xor_b32_e32 v80, 0x80000000, v113
	v_dual_mov_b32 v81, v112 :: v_dual_mov_b32 v125, v104
	v_xor_b32_e32 v124, 0x80000000, v105
	v_mov_b32_e32 v49, v28
	v_xor_b32_e32 v46, 0x80000000, v45
	v_dual_mov_b32 v47, v44 :: v_dual_mov_b32 v71, v36
	v_xor_b32_e32 v72, 0x80000000, v15
	v_xor_b32_e32 v48, 0x80000000, v29
	;; [unrolled: 1-line block ×5, first 2 shown]
	v_mov_b32_e32 v65, v52
	v_add_nc_u64_e32 v[18:19], 0x1000, v[18:19]
	v_cmp_ge_i32_e32 vcc_lo, v21, v1
	s_or_b32 s10, vcc_lo, s10
	s_wait_loadcnt 0x3
	v_pk_fma_f32 v[16:17], v[94:95], v[66:67], v[16:17] op_sel_hi:[1,0,1]
	v_pk_fma_f32 v[38:39], v[86:87], v[66:67], v[38:39] op_sel_hi:[1,0,1]
	;; [unrolled: 1-line block ×4, first 2 shown]
	v_mov_b32_e32 v62, v69
	v_pk_fma_f32 v[16:17], v[94:95], v[66:67], v[16:17] op_sel:[1,1,0] op_sel_hi:[0,1,1] neg_lo:[1,0,0]
	v_pk_fma_f32 v[38:39], v[86:87], v[66:67], v[38:39] op_sel:[1,1,0] op_sel_hi:[0,1,1] neg_lo:[1,0,0]
	;; [unrolled: 1-line block ×4, first 2 shown]
	s_delay_alu instid0(VALU_DEP_4) | instskip(NEXT) | instid1(VALU_DEP_4)
	v_pk_fma_f32 v[16:17], v[96:97], v[68:69], v[16:17] op_sel_hi:[1,0,1]
	v_pk_fma_f32 v[38:39], v[88:89], v[68:69], v[38:39] op_sel_hi:[1,0,1]
	s_delay_alu instid0(VALU_DEP_4) | instskip(NEXT) | instid1(VALU_DEP_4)
	v_pk_fma_f32 v[40:41], v[112:113], v[68:69], v[40:41] op_sel_hi:[1,0,1]
	v_pk_fma_f32 v[10:11], v[104:105], v[68:69], v[10:11] op_sel_hi:[1,0,1]
	;; [unrolled: 3-line block ×4, first 2 shown]
	v_xor_b32_e32 v56, 0x80000000, v33
	s_wait_loadcnt 0x2
	v_pk_fma_f32 v[16:17], v[42:43], v[58:59], v[16:17] op_sel_hi:[1,0,1]
	v_pk_fma_f32 v[38:39], v[12:13], v[58:59], v[38:39] op_sel_hi:[1,0,1]
	;; [unrolled: 1-line block ×4, first 2 shown]
	v_mov_b32_e32 v57, v32
	v_pk_fma_f32 v[16:17], v[42:43], v[58:59], v[16:17] op_sel:[1,1,0] op_sel_hi:[0,1,1] neg_lo:[1,0,0]
	v_pk_fma_f32 v[12:13], v[12:13], v[58:59], v[38:39] op_sel:[1,1,0] op_sel_hi:[0,1,1] neg_lo:[1,0,0]
	;; [unrolled: 1-line block ×4, first 2 shown]
	v_mov_b32_e32 v30, v61
	v_pk_fma_f32 v[16:17], v[44:45], v[60:61], v[16:17] op_sel_hi:[1,0,1]
	v_pk_fma_f32 v[12:13], v[14:15], v[60:61], v[12:13] op_sel_hi:[1,0,1]
	;; [unrolled: 1-line block ×4, first 2 shown]
	s_wait_loadcnt 0x1
	v_xor_b32_e32 v26, 0x80000000, v77
	v_pk_fma_f32 v[16:17], v[46:47], v[30:31], v[16:17] op_sel_hi:[1,0,1]
	v_pk_fma_f32 v[12:13], v[72:73], v[30:31], v[12:13] op_sel_hi:[1,0,1]
	;; [unrolled: 1-line block ×4, first 2 shown]
	v_mov_b32_e32 v27, v76
	s_wait_loadcnt 0x0
	v_pk_fma_f32 v[16:17], v[34:35], v[82:83], v[16:17] op_sel_hi:[1,0,1]
	v_pk_fma_f32 v[12:13], v[22:23], v[82:83], v[12:13] op_sel_hi:[1,0,1]
	;; [unrolled: 1-line block ×4, first 2 shown]
	s_delay_alu instid0(VALU_DEP_4) | instskip(NEXT) | instid1(VALU_DEP_4)
	v_pk_fma_f32 v[16:17], v[34:35], v[82:83], v[16:17] op_sel:[1,1,0] op_sel_hi:[0,1,1] neg_lo:[1,0,0]
	v_pk_fma_f32 v[12:13], v[22:23], v[82:83], v[12:13] op_sel:[1,1,0] op_sel_hi:[0,1,1] neg_lo:[1,0,0]
	s_delay_alu instid0(VALU_DEP_4) | instskip(NEXT) | instid1(VALU_DEP_4)
	v_pk_fma_f32 v[14:15], v[50:51], v[82:83], v[14:15] op_sel:[1,1,0] op_sel_hi:[0,1,1] neg_lo:[1,0,0]
	v_pk_fma_f32 v[10:11], v[74:75], v[82:83], v[10:11] op_sel:[1,1,0] op_sel_hi:[0,1,1] neg_lo:[1,0,0]
	v_mov_b32_e32 v22, v85
	v_pk_fma_f32 v[16:17], v[36:37], v[84:85], v[16:17] op_sel_hi:[1,0,1]
	v_pk_fma_f32 v[12:13], v[24:25], v[84:85], v[12:13] op_sel_hi:[1,0,1]
	;; [unrolled: 1-line block ×4, first 2 shown]
	s_delay_alu instid0(VALU_DEP_4) | instskip(NEXT) | instid1(VALU_DEP_4)
	v_pk_fma_f32 v[16:17], v[70:71], v[22:23], v[16:17] op_sel_hi:[1,0,1]
	v_pk_fma_f32 v[14:15], v[54:55], v[22:23], v[12:13] op_sel_hi:[1,0,1]
	s_delay_alu instid0(VALU_DEP_4) | instskip(NEXT) | instid1(VALU_DEP_4)
	v_pk_fma_f32 v[12:13], v[64:65], v[22:23], v[24:25] op_sel_hi:[1,0,1]
	v_pk_fma_f32 v[10:11], v[26:27], v[22:23], v[10:11] op_sel_hi:[1,0,1]
	s_and_not1_b32 exec_lo, exec_lo, s10
	s_cbranch_execnz .LBB11_17
; %bb.18:
	s_or_b32 exec_lo, exec_lo, s10
.LBB11_19:
	s_delay_alu instid0(SALU_CYCLE_1)
	s_or_b32 exec_lo, exec_lo, s7
.LBB11_20:
	s_delay_alu instid0(SALU_CYCLE_1)
	s_or_b32 exec_lo, exec_lo, s6
	s_cbranch_execz .LBB11_22
	s_branch .LBB11_33
.LBB11_21:
                                        ; implicit-def: $vgpr17
                                        ; implicit-def: $vgpr11
                                        ; implicit-def: $vgpr13
                                        ; implicit-def: $vgpr15
.LBB11_22:
	v_dual_mov_b32 v17, 0 :: v_dual_mov_b32 v16, 0
	v_dual_mov_b32 v11, 0 :: v_dual_mov_b32 v10, 0
	;; [unrolled: 1-line block ×4, first 2 shown]
	s_and_saveexec_b32 s6, s3
	s_cbranch_execz .LBB11_32
; %bb.23:
	v_add_nc_u32_e32 v10, v20, v7
	v_not_b32_e32 v11, v20
	v_mov_b64_e32 v[16:17], 0
	v_mov_b64_e32 v[12:13], 0
	;; [unrolled: 1-line block ×3, first 2 shown]
	v_subrev_nc_u32_e32 v10, s12, v10
	s_mov_b32 s3, exec_lo
	s_delay_alu instid0(VALU_DEP_1) | instskip(NEXT) | instid1(VALU_DEP_1)
	v_add_max_i32_e64 v10, v10, 8, v1
	v_add3_u32 v10, s12, v10, v11
	s_delay_alu instid0(VALU_DEP_1) | instskip(SKIP_1) | instid1(VALU_DEP_2)
	v_sub_nc_u32_e32 v18, v10, v7
	v_mov_b64_e32 v[10:11], 0
	v_and_b32_e32 v19, 24, v18
	s_delay_alu instid0(VALU_DEP_1)
	v_cmpx_ne_u32_e32 24, v19
	s_cbranch_execz .LBB11_27
; %bb.24:
	v_dual_lshrrev_b32 v10, 3, v18 :: v_dual_mov_b32 v14, 0
	s_mov_b32 s7, 0
	s_delay_alu instid0(VALU_DEP_1) | instskip(SKIP_2) | instid1(VALU_DEP_3)
	v_dual_mov_b32 v15, v14 :: v_dual_add_nc_u32 v10, 1, v10
	v_dual_mov_b32 v12, v14 :: v_dual_mov_b32 v13, v14
	v_dual_mov_b32 v11, v14 :: v_dual_mov_b32 v16, v14
	v_dual_mov_b32 v10, v14 :: v_dual_bitop2_b32 v17, 3, v10 bitop3:0x40
	s_delay_alu instid0(VALU_DEP_1)
	v_dual_sub_nc_u32 v19, 0, v17 :: v_dual_mov_b32 v17, v14
.LBB11_25:                              ; =>This Inner Loop Header: Depth=1
	global_load_b32 v48, v0, s[8:9] scale_offset
	s_clause 0x6
	global_load_b128 v[20:23], v[8:9], off offset:48
	global_load_b128 v[24:27], v[8:9], off offset:32
	;; [unrolled: 1-line block ×3, first 2 shown]
	global_load_b128 v[32:35], v[8:9], off
	global_load_b128 v[36:39], v[8:9], off offset:96
	global_load_b128 v[40:43], v[8:9], off offset:80
	;; [unrolled: 1-line block ×3, first 2 shown]
	s_wait_xcnt 0x7
	v_add_nc_u32_e32 v0, 8, v0
	v_add_co_u32 v19, s10, v19, 1
	s_or_b32 s7, s10, s7
	s_wait_loadcnt 0x7
	v_subrev_nc_u32_e32 v48, s12, v48
	s_wait_loadcnt 0x6
	v_xor_b32_e32 v70, 0x80000000, v23
	s_wait_loadcnt 0x5
	v_xor_b32_e32 v62, 0x80000000, v27
	;; [unrolled: 2-line block ×3, first 2 shown]
	v_dual_mov_b32 v71, v22 :: v_dual_lshlrev_b32 v48, 2, v48
	s_wait_loadcnt 0x2
	v_dual_mov_b32 v67, v38 :: v_dual_mov_b32 v69, v30
	s_wait_loadcnt 0x1
	v_mov_b32_e32 v73, v42
	s_wait_loadcnt 0x0
	v_xor_b32_e32 v64, 0x80000000, v47
	v_dual_ashrrev_i32 v49, 31, v48 :: v_dual_mov_b32 v63, v26
	v_mov_b32_e32 v65, v46
	v_xor_b32_e32 v72, 0x80000000, v43
	v_xor_b32_e32 v66, 0x80000000, v39
	s_wait_kmcnt 0x0
	v_lshl_add_u64 v[60:61], v[48:49], 3, s[4:5]
	s_clause 0x1
	global_load_b128 v[48:51], v[60:61], off offset:16
	global_load_b128 v[52:55], v[60:61], off
	global_load_b128 v[56:59], v[8:9], off offset:112
	s_wait_xcnt 0x1
	v_xor_b32_e32 v60, 0x80000000, v35
	v_mov_b32_e32 v61, v34
	s_wait_xcnt 0x0
	v_add_nc_u64_e32 v[8:9], 0x400, v[8:9]
	s_wait_loadcnt 0x1
	v_pk_fma_f32 v[16:17], v[32:33], v[52:53], v[16:17] op_sel_hi:[1,0,1]
	v_pk_fma_f32 v[14:15], v[34:35], v[52:53], v[14:15] op_sel_hi:[1,0,1]
	;; [unrolled: 1-line block ×4, first 2 shown]
	s_wait_loadcnt 0x0
	v_dual_mov_b32 v75, v58 :: v_dual_mov_b32 v76, v55
	v_pk_fma_f32 v[16:17], v[32:33], v[52:53], v[16:17] op_sel:[1,1,0] op_sel_hi:[0,1,1] neg_lo:[1,0,0]
	v_pk_fma_f32 v[14:15], v[60:61], v[52:53], v[14:15] op_sel:[0,1,0]
	v_pk_fma_f32 v[12:13], v[28:29], v[52:53], v[12:13] op_sel:[1,1,0] op_sel_hi:[0,1,1] neg_lo:[1,0,0]
	v_pk_fma_f32 v[10:11], v[68:69], v[52:53], v[10:11] op_sel:[0,1,0]
	v_xor_b32_e32 v74, 0x80000000, v59
	v_pk_fma_f32 v[16:17], v[24:25], v[54:55], v[16:17] op_sel_hi:[1,0,1]
	v_pk_fma_f32 v[14:15], v[26:27], v[54:55], v[14:15] op_sel_hi:[1,0,1]
	;; [unrolled: 1-line block ×4, first 2 shown]
	v_mov_b32_e32 v30, v51
	v_pk_fma_f32 v[16:17], v[24:25], v[76:77], v[16:17] op_sel:[1,0,0] op_sel_hi:[0,0,1] neg_lo:[1,0,0]
	v_pk_fma_f32 v[14:15], v[62:63], v[76:77], v[14:15] op_sel_hi:[1,0,1]
	v_pk_fma_f32 v[12:13], v[20:21], v[76:77], v[12:13] op_sel:[1,0,0] op_sel_hi:[0,0,1] neg_lo:[1,0,0]
	v_pk_fma_f32 v[10:11], v[70:71], v[76:77], v[10:11] op_sel_hi:[1,0,1]
	s_delay_alu instid0(VALU_DEP_4) | instskip(NEXT) | instid1(VALU_DEP_4)
	v_pk_fma_f32 v[16:17], v[44:45], v[48:49], v[16:17] op_sel_hi:[1,0,1]
	v_pk_fma_f32 v[14:15], v[46:47], v[48:49], v[14:15] op_sel_hi:[1,0,1]
	s_delay_alu instid0(VALU_DEP_4) | instskip(NEXT) | instid1(VALU_DEP_4)
	v_pk_fma_f32 v[12:13], v[40:41], v[48:49], v[12:13] op_sel_hi:[1,0,1]
	v_pk_fma_f32 v[10:11], v[42:43], v[48:49], v[10:11] op_sel_hi:[1,0,1]
	s_delay_alu instid0(VALU_DEP_4) | instskip(NEXT) | instid1(VALU_DEP_4)
	v_pk_fma_f32 v[16:17], v[44:45], v[48:49], v[16:17] op_sel:[1,1,0] op_sel_hi:[0,1,1] neg_lo:[1,0,0]
	v_pk_fma_f32 v[14:15], v[64:65], v[48:49], v[14:15] op_sel:[0,1,0]
	s_delay_alu instid0(VALU_DEP_4) | instskip(NEXT) | instid1(VALU_DEP_4)
	v_pk_fma_f32 v[12:13], v[40:41], v[48:49], v[12:13] op_sel:[1,1,0] op_sel_hi:[0,1,1] neg_lo:[1,0,0]
	v_pk_fma_f32 v[10:11], v[72:73], v[48:49], v[10:11] op_sel:[0,1,0]
	s_delay_alu instid0(VALU_DEP_4) | instskip(NEXT) | instid1(VALU_DEP_4)
	v_pk_fma_f32 v[16:17], v[36:37], v[50:51], v[16:17] op_sel_hi:[1,0,1]
	v_pk_fma_f32 v[14:15], v[38:39], v[50:51], v[14:15] op_sel_hi:[1,0,1]
	s_delay_alu instid0(VALU_DEP_4) | instskip(NEXT) | instid1(VALU_DEP_4)
	v_pk_fma_f32 v[12:13], v[56:57], v[50:51], v[12:13] op_sel_hi:[1,0,1]
	v_pk_fma_f32 v[10:11], v[58:59], v[50:51], v[10:11] op_sel_hi:[1,0,1]
	s_delay_alu instid0(VALU_DEP_4) | instskip(NEXT) | instid1(VALU_DEP_4)
	v_pk_fma_f32 v[16:17], v[36:37], v[30:31], v[16:17] op_sel:[1,0,0] op_sel_hi:[0,0,1] neg_lo:[1,0,0]
	v_pk_fma_f32 v[14:15], v[66:67], v[30:31], v[14:15] op_sel_hi:[1,0,1]
	s_delay_alu instid0(VALU_DEP_4) | instskip(NEXT) | instid1(VALU_DEP_4)
	v_pk_fma_f32 v[12:13], v[56:57], v[30:31], v[12:13] op_sel:[1,0,0] op_sel_hi:[0,0,1] neg_lo:[1,0,0]
	v_pk_fma_f32 v[10:11], v[74:75], v[30:31], v[10:11] op_sel_hi:[1,0,1]
	s_and_not1_b32 exec_lo, exec_lo, s7
	s_cbranch_execnz .LBB11_25
; %bb.26:
	s_or_b32 exec_lo, exec_lo, s7
.LBB11_27:
	s_delay_alu instid0(SALU_CYCLE_1) | instskip(NEXT) | instid1(SALU_CYCLE_1)
	s_or_b32 exec_lo, exec_lo, s3
	s_mov_b32 s3, exec_lo
	v_cmpx_lt_u32_e32 23, v18
	s_cbranch_execz .LBB11_31
; %bb.28:
	s_mov_b32 s7, 0
.LBB11_29:                              ; =>This Inner Loop Header: Depth=1
	global_load_b32 v98, v0, s[8:9] scale_offset
	s_clause 0xb
	global_load_b128 v[18:21], v[8:9], off
	global_load_b128 v[22:25], v[8:9], off offset:16
	global_load_b128 v[26:29], v[8:9], off offset:48
	;; [unrolled: 1-line block ×11, first 2 shown]
	s_clause 0x2
	global_load_b32 v112, v0, s[8:9] offset:32 scale_offset
	global_load_b32 v113, v0, s[8:9] offset:64 scale_offset
	;; [unrolled: 1-line block ×3, first 2 shown]
	s_clause 0x7
	global_load_b128 v[66:69], v[8:9], off offset:1136
	global_load_b128 v[70:73], v[8:9], off offset:1120
	;; [unrolled: 1-line block ×8, first 2 shown]
	s_wait_xcnt 0x8
	v_add_nc_u32_e32 v0, 32, v0
	s_delay_alu instid0(VALU_DEP_1)
	v_cmp_ge_i32_e32 vcc_lo, v0, v1
	s_or_b32 s7, vcc_lo, s7
	s_wait_loadcnt 0x17
	v_subrev_nc_u32_e32 v98, s12, v98
	s_wait_loadcnt 0x16
	v_mov_b32_e32 v107, v20
	v_xor_b32_e32 v106, 0x80000000, v21
	s_wait_loadcnt 0x13
	v_xor_b32_e32 v110, 0x80000000, v33
	v_dual_mov_b32 v111, v32 :: v_dual_lshlrev_b32 v98, 2, v98
	s_wait_loadcnt 0xd
	s_delay_alu instid0(VALU_DEP_1) | instskip(SKIP_2) | instid1(VALU_DEP_2)
	v_dual_ashrrev_i32 v99, 31, v98 :: v_dual_mov_b32 v115, v56
	v_xor_b32_e32 v114, 0x80000000, v57
	s_wait_kmcnt 0x0
	v_lshl_add_u64 v[108:109], v[98:99], 3, s[4:5]
	s_clause 0x1
	global_load_b128 v[98:101], v[108:109], off
	global_load_b128 v[102:105], v[108:109], off offset:16
	s_wait_loadcnt 0x1
	v_pk_fma_f32 v[16:17], v[18:19], v[98:99], v[16:17] op_sel_hi:[1,0,1]
	v_pk_fma_f32 v[20:21], v[20:21], v[98:99], v[14:15] op_sel_hi:[1,0,1]
	;; [unrolled: 1-line block ×3, first 2 shown]
	s_wait_xcnt 0x0
	s_delay_alu instid0(VALU_DEP_3)
	v_pk_fma_f32 v[108:109], v[18:19], v[98:99], v[16:17] op_sel:[1,1,0] op_sel_hi:[0,1,1] neg_lo:[1,0,0]
	v_xor_b32_e32 v18, 0x80000000, v25
	v_mov_b32_e32 v19, v24
	v_pk_fma_f32 v[24:25], v[24:25], v[98:99], v[10:11] op_sel_hi:[1,0,1]
	v_pk_fma_f32 v[22:23], v[22:23], v[98:99], v[12:13] op_sel:[1,1,0] op_sel_hi:[0,1,1] neg_lo:[1,0,0]
	v_pk_fma_f32 v[106:107], v[106:107], v[98:99], v[20:21] op_sel:[0,1,0]
	s_clause 0x1
	global_load_b128 v[14:17], v[8:9], off offset:2160
	global_load_b128 v[10:13], v[8:9], off offset:2144
	v_pk_fma_f32 v[24:25], v[18:19], v[98:99], v[24:25] op_sel:[0,1,0]
	v_pk_fma_f32 v[98:99], v[30:31], v[100:101], v[108:109] op_sel_hi:[1,0,1]
	v_pk_fma_f32 v[106:107], v[32:33], v[100:101], v[106:107] op_sel_hi:[1,0,1]
	;; [unrolled: 1-line block ×3, first 2 shown]
	v_xor_b32_e32 v32, 0x80000000, v29
	v_pk_fma_f32 v[108:109], v[28:29], v[100:101], v[24:25] op_sel_hi:[1,0,1]
	v_dual_mov_b32 v100, v101 :: v_dual_mov_b32 v33, v28
	global_load_b128 v[18:21], v[8:9], off offset:2128
	v_pk_fma_f32 v[30:31], v[30:31], v[100:101], v[98:99] op_sel:[1,0,0] op_sel_hi:[0,0,1] neg_lo:[1,0,0]
	v_pk_fma_f32 v[98:99], v[26:27], v[100:101], v[22:23] op_sel:[1,0,0] op_sel_hi:[0,0,1] neg_lo:[1,0,0]
	v_pk_fma_f32 v[106:107], v[110:111], v[100:101], v[106:107] op_sel_hi:[1,0,1]
	v_pk_fma_f32 v[100:101], v[32:33], v[100:101], v[108:109] op_sel_hi:[1,0,1]
	v_xor_b32_e32 v108, 0x80000000, v49
	s_wait_loadcnt 0x3
	v_pk_fma_f32 v[30:31], v[46:47], v[102:103], v[30:31] op_sel_hi:[1,0,1]
	v_mov_b32_e32 v109, v48
	v_pk_fma_f32 v[48:49], v[48:49], v[102:103], v[106:107] op_sel_hi:[1,0,1]
	v_pk_fma_f32 v[98:99], v[42:43], v[102:103], v[98:99] op_sel_hi:[1,0,1]
	;; [unrolled: 1-line block ×3, first 2 shown]
	v_pk_fma_f32 v[106:107], v[46:47], v[102:103], v[30:31] op_sel:[1,1,0] op_sel_hi:[0,1,1] neg_lo:[1,0,0]
	v_xor_b32_e32 v46, 0x80000000, v45
	v_mov_b32_e32 v47, v44
	v_pk_fma_f32 v[98:99], v[42:43], v[102:103], v[98:99] op_sel:[1,1,0] op_sel_hi:[0,1,1] neg_lo:[1,0,0]
	v_pk_fma_f32 v[108:109], v[108:109], v[102:103], v[48:49] op_sel:[0,1,0]
	v_xor_b32_e32 v110, 0x80000000, v65
	global_load_b128 v[22:25], v[8:9], off offset:2112
	v_pk_fma_f32 v[100:101], v[46:47], v[102:103], v[100:101] op_sel:[0,1,0]
	v_pk_fma_f32 v[102:103], v[38:39], v[104:105], v[106:107] op_sel_hi:[1,0,1]
	v_pk_fma_f32 v[106:107], v[40:41], v[104:105], v[108:109] op_sel_hi:[1,0,1]
	v_pk_fma_f32 v[98:99], v[34:35], v[104:105], v[98:99] op_sel_hi:[1,0,1]
	v_xor_b32_e32 v108, 0x80000000, v41
	v_pk_fma_f32 v[100:101], v[36:37], v[104:105], v[100:101] op_sel_hi:[1,0,1]
	v_dual_mov_b32 v104, v105 :: v_dual_mov_b32 v109, v40
	s_clause 0x3
	global_load_b128 v[42:45], v[8:9], off offset:3088
	global_load_b128 v[46:49], v[8:9], off offset:3072
	;; [unrolled: 1-line block ×4, first 2 shown]
	v_pk_fma_f32 v[102:103], v[38:39], v[104:105], v[102:103] op_sel:[1,0,0] op_sel_hi:[0,0,1] neg_lo:[1,0,0]
	v_xor_b32_e32 v38, 0x80000000, v37
	v_subrev_nc_u32_e32 v37, s12, v112
	v_mov_b32_e32 v111, v64
	v_pk_fma_f32 v[98:99], v[34:35], v[104:105], v[98:99] op_sel:[1,0,0] op_sel_hi:[0,0,1] neg_lo:[1,0,0]
	v_mov_b32_e32 v39, v36
	v_pk_fma_f32 v[106:107], v[108:109], v[104:105], v[106:107] op_sel_hi:[1,0,1]
	v_lshlrev_b32_e32 v34, 2, v37
	s_delay_alu instid0(VALU_DEP_3) | instskip(NEXT) | instid1(VALU_DEP_2)
	v_pk_fma_f32 v[100:101], v[38:39], v[104:105], v[100:101] op_sel_hi:[1,0,1]
	v_ashrrev_i32_e32 v35, 31, v34
	s_delay_alu instid0(VALU_DEP_1)
	v_lshl_add_u64 v[40:41], v[34:35], 3, s[4:5]
	s_clause 0x1
	global_load_b128 v[34:37], v[40:41], off
	global_load_b128 v[38:41], v[40:41], off offset:16
	s_wait_loadcnt 0x1
	v_pk_fma_f32 v[98:99], v[58:59], v[34:35], v[98:99] op_sel_hi:[1,0,1]
	v_pk_fma_f32 v[104:105], v[64:65], v[34:35], v[106:107] op_sel_hi:[1,0,1]
	;; [unrolled: 1-line block ×3, first 2 shown]
	v_xor_b32_e32 v106, 0x80000000, v61
	v_mov_b32_e32 v107, v60
	v_pk_fma_f32 v[108:109], v[58:59], v[34:35], v[98:99] op_sel:[1,1,0] op_sel_hi:[0,1,1] neg_lo:[1,0,0]
	v_subrev_nc_u32_e32 v98, s12, v113
	v_pk_fma_f32 v[104:105], v[110:111], v[34:35], v[104:105] op_sel:[0,1,0]
	v_mov_b32_e32 v110, v37
	v_pk_fma_f32 v[100:101], v[60:61], v[34:35], v[100:101] op_sel_hi:[1,0,1]
	v_pk_fma_f32 v[102:103], v[62:63], v[34:35], v[102:103] op_sel:[1,1,0] op_sel_hi:[0,1,1] neg_lo:[1,0,0]
	v_lshlrev_b32_e32 v98, 2, v98
	global_load_b128 v[62:65], v[8:9], off offset:3168
	v_pk_fma_f32 v[104:105], v[56:57], v[36:37], v[104:105] op_sel_hi:[1,0,1]
	v_pk_fma_f32 v[34:35], v[106:107], v[34:35], v[100:101] op_sel:[0,1,0]
	v_pk_fma_f32 v[102:103], v[54:55], v[36:37], v[102:103] op_sel_hi:[1,0,1]
	v_ashrrev_i32_e32 v99, 31, v98
	v_pk_fma_f32 v[106:107], v[50:51], v[36:37], v[108:109] op_sel_hi:[1,0,1]
	v_mov_b32_e32 v57, v52
	v_pk_fma_f32 v[108:109], v[52:53], v[36:37], v[34:35] op_sel_hi:[1,0,1]
	v_subrev_nc_u32_e32 v52, s12, v116
	v_lshl_add_u64 v[112:113], v[98:99], 3, s[4:5]
	v_xor_b32_e32 v56, 0x80000000, v53
	v_pk_fma_f32 v[106:107], v[50:51], v[110:111], v[106:107] op_sel:[1,0,0] op_sel_hi:[0,0,1] neg_lo:[1,0,0]
	v_pk_fma_f32 v[54:55], v[54:55], v[110:111], v[102:103] op_sel:[1,0,0] op_sel_hi:[0,0,1] neg_lo:[1,0,0]
	v_lshlrev_b32_e32 v50, 2, v52
	s_clause 0x1
	global_load_b128 v[98:101], v[112:113], off
	global_load_b128 v[34:37], v[112:113], off offset:16
	v_mov_b32_e32 v103, v80
	v_pk_fma_f32 v[104:105], v[114:115], v[110:111], v[104:105] op_sel_hi:[1,0,1]
	v_pk_fma_f32 v[108:109], v[56:57], v[110:111], v[108:109] op_sel_hi:[1,0,1]
	v_dual_mov_b32 v111, v76 :: v_dual_ashrrev_i32 v51, 31, v50
	s_wait_loadcnt 0x3
	v_pk_fma_f32 v[54:55], v[78:79], v[38:39], v[54:55] op_sel_hi:[1,0,1]
	global_load_b128 v[58:61], v[8:9], off offset:3136
	v_xor_b32_e32 v102, 0x80000000, v81
	v_pk_fma_f32 v[80:81], v[80:81], v[38:39], v[104:105] op_sel_hi:[1,0,1]
	s_wait_xcnt 0x1
	v_lshl_add_u64 v[112:113], v[50:51], 3, s[4:5]
	v_pk_fma_f32 v[104:105], v[78:79], v[38:39], v[54:55] op_sel:[1,1,0] op_sel_hi:[0,1,1] neg_lo:[1,0,0]
	v_pk_fma_f32 v[78:79], v[74:75], v[38:39], v[106:107] op_sel_hi:[1,0,1]
	global_load_b128 v[54:57], v[8:9], off offset:3152
	v_xor_b32_e32 v110, 0x80000000, v77
	global_load_b128 v[50:53], v[112:113], off
	v_pk_fma_f32 v[106:107], v[76:77], v[38:39], v[108:109] op_sel_hi:[1,0,1]
	v_pk_fma_f32 v[108:109], v[74:75], v[38:39], v[78:79] op_sel:[1,1,0] op_sel_hi:[0,1,1] neg_lo:[1,0,0]
	global_load_b128 v[74:77], v[112:113], off offset:16
	v_pk_fma_f32 v[102:103], v[102:103], v[38:39], v[80:81] op_sel:[0,1,0]
	global_load_b128 v[78:81], v[8:9], off offset:3184
	v_pk_fma_f32 v[38:39], v[110:111], v[38:39], v[106:107] op_sel:[0,1,0]
	v_xor_b32_e32 v106, 0x80000000, v73
	v_mov_b32_e32 v107, v72
	v_pk_fma_f32 v[104:105], v[70:71], v[40:41], v[104:105] op_sel_hi:[1,0,1]
	v_pk_fma_f32 v[72:73], v[72:73], v[40:41], v[102:103] op_sel_hi:[1,0,1]
	;; [unrolled: 1-line block ×4, first 2 shown]
	v_mov_b32_e32 v40, v41
	v_xor_b32_e32 v108, 0x80000000, v69
	v_mov_b32_e32 v109, v68
	v_xor_b32_e32 v110, 0x80000000, v85
	v_mov_b32_e32 v111, v84
	v_pk_fma_f32 v[68:69], v[70:71], v[40:41], v[104:105] op_sel:[1,0,0] op_sel_hi:[0,0,1] neg_lo:[1,0,0]
	v_mov_b32_e32 v71, v96
	v_pk_fma_f32 v[66:67], v[66:67], v[40:41], v[102:103] op_sel:[1,0,0] op_sel_hi:[0,0,1] neg_lo:[1,0,0]
	v_pk_fma_f32 v[72:73], v[106:107], v[40:41], v[72:73] op_sel_hi:[1,0,1]
	v_pk_fma_f32 v[38:39], v[108:109], v[40:41], v[38:39] op_sel_hi:[1,0,1]
	v_xor_b32_e32 v70, 0x80000000, v97
	v_xor_b32_e32 v104, 0x80000000, v93
	v_dual_mov_b32 v105, v92 :: v_dual_mov_b32 v103, v88
	v_xor_b32_e32 v102, 0x80000000, v89
	v_mov_b32_e32 v107, v24
	v_xor_b32_e32 v106, 0x80000000, v25
	v_dual_mov_b32 v41, v12 :: v_dual_mov_b32 v109, v20
	v_xor_b32_e32 v108, 0x80000000, v21
	v_xor_b32_e32 v40, 0x80000000, v13
	s_wait_xcnt 0x0
	v_add_nc_u64_e32 v[8:9], 0x1000, v[8:9]
	s_wait_loadcnt 0x6
	v_pk_fma_f32 v[68:69], v[94:95], v[98:99], v[68:69] op_sel_hi:[1,0,1]
	v_pk_fma_f32 v[72:73], v[96:97], v[98:99], v[72:73] op_sel_hi:[1,0,1]
	;; [unrolled: 1-line block ×4, first 2 shown]
	v_mov_b32_e32 v97, v48
	v_pk_fma_f32 v[68:69], v[94:95], v[98:99], v[68:69] op_sel:[1,1,0] op_sel_hi:[0,1,1] neg_lo:[1,0,0]
	v_pk_fma_f32 v[70:71], v[70:71], v[98:99], v[72:73] op_sel:[0,1,0]
	v_pk_fma_f32 v[66:67], v[90:91], v[98:99], v[66:67] op_sel:[1,1,0] op_sel_hi:[0,1,1] neg_lo:[1,0,0]
	v_pk_fma_f32 v[38:39], v[104:105], v[98:99], v[38:39] op_sel:[0,1,0]
	v_dual_mov_b32 v98, v101 :: v_dual_mov_b32 v73, v64
	v_pk_fma_f32 v[68:69], v[86:87], v[100:101], v[68:69] op_sel_hi:[1,0,1]
	v_pk_fma_f32 v[70:71], v[88:89], v[100:101], v[70:71] op_sel_hi:[1,0,1]
	;; [unrolled: 1-line block ×4, first 2 shown]
	v_xor_b32_e32 v94, 0x80000000, v17
	v_pk_fma_f32 v[68:69], v[86:87], v[98:99], v[68:69] op_sel:[1,0,0] op_sel_hi:[0,0,1] neg_lo:[1,0,0]
	v_pk_fma_f32 v[70:71], v[102:103], v[98:99], v[70:71] op_sel_hi:[1,0,1]
	v_pk_fma_f32 v[66:67], v[82:83], v[98:99], v[66:67] op_sel:[1,0,0] op_sel_hi:[0,0,1] neg_lo:[1,0,0]
	v_pk_fma_f32 v[38:39], v[110:111], v[98:99], v[38:39] op_sel_hi:[1,0,1]
	v_mov_b32_e32 v95, v16
	s_wait_loadcnt 0x5
	v_pk_fma_f32 v[68:69], v[22:23], v[34:35], v[68:69] op_sel_hi:[1,0,1]
	v_pk_fma_f32 v[24:25], v[24:25], v[34:35], v[70:71] op_sel_hi:[1,0,1]
	;; [unrolled: 1-line block ×4, first 2 shown]
	v_mov_b32_e32 v83, v44
	v_pk_fma_f32 v[22:23], v[22:23], v[34:35], v[68:69] op_sel:[1,1,0] op_sel_hi:[0,1,1] neg_lo:[1,0,0]
	v_pk_fma_f32 v[24:25], v[106:107], v[34:35], v[24:25] op_sel:[0,1,0]
	v_pk_fma_f32 v[18:19], v[18:19], v[34:35], v[66:67] op_sel:[1,1,0] op_sel_hi:[0,1,1] neg_lo:[1,0,0]
	v_pk_fma_f32 v[20:21], v[108:109], v[34:35], v[20:21] op_sel:[0,1,0]
	v_mov_b32_e32 v34, v37
	v_pk_fma_f32 v[22:23], v[10:11], v[36:37], v[22:23] op_sel_hi:[1,0,1]
	v_pk_fma_f32 v[12:13], v[12:13], v[36:37], v[24:25] op_sel_hi:[1,0,1]
	;; [unrolled: 1-line block ×4, first 2 shown]
	v_xor_b32_e32 v96, 0x80000000, v49
	v_pk_fma_f32 v[10:11], v[10:11], v[34:35], v[22:23] op_sel:[1,0,0] op_sel_hi:[0,0,1] neg_lo:[1,0,0]
	v_pk_fma_f32 v[12:13], v[40:41], v[34:35], v[12:13] op_sel_hi:[1,0,1]
	v_pk_fma_f32 v[14:15], v[14:15], v[34:35], v[18:19] op_sel:[1,0,0] op_sel_hi:[0,0,1] neg_lo:[1,0,0]
	v_pk_fma_f32 v[16:17], v[94:95], v[34:35], v[16:17] op_sel_hi:[1,0,1]
	v_xor_b32_e32 v82, 0x80000000, v45
	s_wait_loadcnt 0x2
	v_pk_fma_f32 v[10:11], v[46:47], v[50:51], v[10:11] op_sel_hi:[1,0,1]
	v_pk_fma_f32 v[12:13], v[48:49], v[50:51], v[12:13] op_sel_hi:[1,0,1]
	;; [unrolled: 1-line block ×4, first 2 shown]
	v_xor_b32_e32 v90, 0x80000000, v33
	v_pk_fma_f32 v[10:11], v[46:47], v[50:51], v[10:11] op_sel:[1,1,0] op_sel_hi:[0,1,1] neg_lo:[1,0,0]
	v_pk_fma_f32 v[12:13], v[96:97], v[50:51], v[12:13] op_sel:[0,1,0]
	v_pk_fma_f32 v[14:15], v[42:43], v[50:51], v[14:15] op_sel:[1,1,0] op_sel_hi:[0,1,1] neg_lo:[1,0,0]
	v_pk_fma_f32 v[16:17], v[82:83], v[50:51], v[16:17] op_sel:[0,1,0]
	v_dual_mov_b32 v91, v32 :: v_dual_mov_b32 v93, v60
	v_xor_b32_e32 v20, 0x80000000, v29
	v_dual_mov_b32 v21, v28 :: v_dual_mov_b32 v22, v53
	v_pk_fma_f32 v[10:11], v[30:31], v[52:53], v[10:11] op_sel_hi:[1,0,1]
	v_pk_fma_f32 v[12:13], v[32:33], v[52:53], v[12:13] op_sel_hi:[1,0,1]
	;; [unrolled: 1-line block ×4, first 2 shown]
	v_xor_b32_e32 v92, 0x80000000, v61
	v_pk_fma_f32 v[10:11], v[30:31], v[22:23], v[10:11] op_sel:[1,0,0] op_sel_hi:[0,0,1] neg_lo:[1,0,0]
	v_pk_fma_f32 v[12:13], v[90:91], v[22:23], v[12:13] op_sel_hi:[1,0,1]
	v_pk_fma_f32 v[14:15], v[26:27], v[22:23], v[14:15] op_sel:[1,0,0] op_sel_hi:[0,0,1] neg_lo:[1,0,0]
	v_pk_fma_f32 v[16:17], v[20:21], v[22:23], v[16:17] op_sel_hi:[1,0,1]
	v_xor_b32_e32 v18, 0x80000000, v57
	s_wait_loadcnt 0x0
	v_dual_mov_b32 v19, v56 :: v_dual_mov_b32 v21, v80
	v_pk_fma_f32 v[10:11], v[58:59], v[74:75], v[10:11] op_sel_hi:[1,0,1]
	v_pk_fma_f32 v[12:13], v[60:61], v[74:75], v[12:13] op_sel_hi:[1,0,1]
	;; [unrolled: 1-line block ×4, first 2 shown]
	v_xor_b32_e32 v72, 0x80000000, v65
	v_pk_fma_f32 v[10:11], v[58:59], v[74:75], v[10:11] op_sel:[1,1,0] op_sel_hi:[0,1,1] neg_lo:[1,0,0]
	v_pk_fma_f32 v[12:13], v[92:93], v[74:75], v[12:13] op_sel:[0,1,0]
	v_pk_fma_f32 v[14:15], v[54:55], v[74:75], v[14:15] op_sel:[1,1,0] op_sel_hi:[0,1,1] neg_lo:[1,0,0]
	v_pk_fma_f32 v[16:17], v[18:19], v[74:75], v[16:17] op_sel:[0,1,0]
	v_xor_b32_e32 v20, 0x80000000, v81
	v_mov_b32_e32 v18, v77
	v_pk_fma_f32 v[10:11], v[62:63], v[76:77], v[10:11] op_sel_hi:[1,0,1]
	v_pk_fma_f32 v[12:13], v[64:65], v[76:77], v[12:13] op_sel_hi:[1,0,1]
	;; [unrolled: 1-line block ×4, first 2 shown]
	s_delay_alu instid0(VALU_DEP_4) | instskip(NEXT) | instid1(VALU_DEP_4)
	v_pk_fma_f32 v[16:17], v[62:63], v[18:19], v[10:11] op_sel:[1,0,0] op_sel_hi:[0,0,1] neg_lo:[1,0,0]
	v_pk_fma_f32 v[14:15], v[72:73], v[18:19], v[12:13] op_sel_hi:[1,0,1]
	s_delay_alu instid0(VALU_DEP_4) | instskip(NEXT) | instid1(VALU_DEP_4)
	v_pk_fma_f32 v[12:13], v[78:79], v[18:19], v[22:23] op_sel:[1,0,0] op_sel_hi:[0,0,1] neg_lo:[1,0,0]
	v_pk_fma_f32 v[10:11], v[20:21], v[18:19], v[24:25] op_sel_hi:[1,0,1]
	s_and_not1_b32 exec_lo, exec_lo, s7
	s_cbranch_execnz .LBB11_29
; %bb.30:
	s_or_b32 exec_lo, exec_lo, s7
.LBB11_31:
	s_delay_alu instid0(SALU_CYCLE_1)
	s_or_b32 exec_lo, exec_lo, s3
.LBB11_32:
	s_delay_alu instid0(SALU_CYCLE_1)
	s_or_b32 exec_lo, exec_lo, s6
.LBB11_33:
	v_mbcnt_lo_u32_b32 v0, -1, 0
	s_delay_alu instid0(VALU_DEP_1) | instskip(SKIP_1) | instid1(VALU_DEP_1)
	v_xor_b32_e32 v23, 2, v0
	v_xor_b32_e32 v1, 4, v0
	v_cmp_gt_i32_e32 vcc_lo, 32, v1
	v_cndmask_b32_e32 v1, v0, v1, vcc_lo
	s_delay_alu instid0(VALU_DEP_4) | instskip(SKIP_1) | instid1(VALU_DEP_1)
	v_cmp_gt_i32_e32 vcc_lo, 32, v23
	v_cndmask_b32_e32 v23, v0, v23, vcc_lo
	v_dual_lshlrev_b32 v23, 2, v23 :: v_dual_lshlrev_b32 v1, 2, v1
	ds_bpermute_b32 v8, v1, v16
	s_wait_dscnt 0x0
	v_add_f32_e32 v8, v16, v8
	ds_bpermute_b32 v9, v1, v17
	ds_bpermute_b32 v18, v1, v14
	;; [unrolled: 1-line block ×7, first 2 shown]
	s_wait_dscnt 0x5
	v_dual_add_f32 v9, v17, v9 :: v_dual_add_f32 v14, v14, v18
	s_wait_dscnt 0x3
	v_dual_add_f32 v15, v15, v19 :: v_dual_add_f32 v12, v12, v20
	;; [unrolled: 2-line block ×3, first 2 shown]
	s_wait_dscnt 0x0
	v_add_f32_e32 v17, v11, v1
	ds_bpermute_b32 v1, v23, v8
	ds_bpermute_b32 v10, v23, v9
	;; [unrolled: 1-line block ×8, first 2 shown]
	v_xor_b32_e32 v23, 1, v0
	s_delay_alu instid0(VALU_DEP_1) | instskip(SKIP_3) | instid1(VALU_DEP_2)
	v_cmp_gt_i32_e32 vcc_lo, 32, v23
	v_cndmask_b32_e32 v0, v0, v23, vcc_lo
	v_cmp_eq_u32_e32 vcc_lo, 7, v7
	s_wait_dscnt 0x7
	v_dual_add_f32 v0, v8, v1 :: v_dual_lshlrev_b32 v23, 2, v0
	s_wait_dscnt 0x5
	v_dual_add_f32 v1, v9, v10 :: v_dual_add_f32 v8, v14, v11
	s_wait_dscnt 0x3
	v_dual_add_f32 v9, v15, v18 :: v_dual_add_f32 v10, v12, v19
	;; [unrolled: 2-line block ×3, first 2 shown]
	s_wait_dscnt 0x0
	v_add_f32_e32 v13, v17, v22
	ds_bpermute_b32 v14, v23, v0
	ds_bpermute_b32 v15, v23, v1
	ds_bpermute_b32 v16, v23, v8
	ds_bpermute_b32 v17, v23, v9
	ds_bpermute_b32 v18, v23, v10
	ds_bpermute_b32 v19, v23, v11
	ds_bpermute_b32 v21, v23, v12
	ds_bpermute_b32 v23, v23, v13
	s_and_b32 exec_lo, exec_lo, vcc_lo
	s_cbranch_execz .LBB11_6
; %bb.34:
	s_load_b64 s[0:1], s[0:1], 0x50
	v_cmp_eq_f32_e32 vcc_lo, 0, v4
	s_wait_dscnt 0x6
	v_dual_add_f32 v0, v0, v14 :: v_dual_add_f32 v22, v1, v15
	s_wait_dscnt 0x4
	v_dual_add_f32 v8, v8, v16 :: v_dual_add_f32 v20, v9, v17
	;; [unrolled: 2-line block ×4, first 2 shown]
	v_xor_b32_e32 v18, 0x80000000, v3
	v_lshlrev_b32_e32 v6, 2, v6
	s_xor_b32 s2, s2, -1
	s_delay_alu instid0(SALU_CYCLE_1) | instskip(NEXT) | instid1(SALU_CYCLE_1)
	s_and_b32 s2, vcc_lo, s2
	s_and_saveexec_b32 s3, s2
	s_delay_alu instid0(SALU_CYCLE_1)
	s_xor_b32 s2, exec_lo, s3
	s_cbranch_execz .LBB11_36
; %bb.35:
	v_dual_mov_b32 v19, v2 :: v_dual_ashrrev_i32 v7, 31, v6
	s_delay_alu instid0(VALU_DEP_1)
	v_pk_mul_f32 v[4:5], v[22:23], v[18:19] op_sel_hi:[0,1]
	v_pk_mul_f32 v[20:21], v[20:21], v[18:19] op_sel_hi:[0,1]
	;; [unrolled: 1-line block ×4, first 2 shown]
	s_wait_kmcnt 0x0
	v_lshl_add_u64 v[18:19], v[6:7], 3, s[0:1]
	v_pk_fma_f32 v[4:5], v[2:3], v[0:1], v[4:5] op_sel_hi:[1,0,1]
	v_pk_fma_f32 v[6:7], v[2:3], v[8:9], v[20:21] op_sel_hi:[1,0,1]
	;; [unrolled: 1-line block ×4, first 2 shown]
                                        ; implicit-def: $vgpr22
                                        ; implicit-def: $vgpr8
                                        ; implicit-def: $vgpr20
                                        ; implicit-def: $vgpr10
                                        ; implicit-def: $vgpr16
                                        ; implicit-def: $vgpr12
                                        ; implicit-def: $vgpr14
	s_clause 0x1
	global_store_b128 v[18:19], v[4:7], off
	global_store_b128 v[18:19], v[0:3], off offset:16
                                        ; implicit-def: $vgpr0
                                        ; implicit-def: $vgpr2_vgpr3
                                        ; implicit-def: $vgpr4_vgpr5
                                        ; implicit-def: $vgpr18
                                        ; implicit-def: $vgpr6
.LBB11_36:
	s_wait_xcnt 0x0
	s_and_not1_saveexec_b32 s2, s2
	s_cbranch_execz .LBB11_6
; %bb.37:
	v_dual_ashrrev_i32 v7, 31, v6 :: v_dual_mov_b32 v19, v2
	s_wait_kmcnt 0x0
	s_delay_alu instid0(VALU_DEP_1) | instskip(NEXT) | instid1(VALU_DEP_2)
	v_lshl_add_u64 v[32:33], v[6:7], 3, s[0:1]
	v_pk_mul_f32 v[6:7], v[22:23], v[18:19] op_sel_hi:[0,1]
	v_pk_mul_f32 v[20:21], v[20:21], v[18:19] op_sel_hi:[0,1]
	v_pk_mul_f32 v[16:17], v[16:17], v[18:19] op_sel_hi:[0,1]
	v_pk_mul_f32 v[14:15], v[14:15], v[18:19] op_sel_hi:[0,1]
	s_clause 0x1
	global_load_b128 v[24:27], v[32:33], off
	global_load_b128 v[28:31], v[32:33], off offset:16
	v_pk_fma_f32 v[0:1], v[2:3], v[0:1], v[6:7] op_sel_hi:[1,0,1]
	v_pk_fma_f32 v[6:7], v[2:3], v[8:9], v[20:21] op_sel_hi:[1,0,1]
	;; [unrolled: 1-line block ×4, first 2 shown]
	v_xor_b32_e32 v22, 0x80000000, v5
	s_wait_loadcnt 0x1
	v_dual_mov_b32 v23, v4 :: v_dual_mov_b32 v10, v27
	v_pk_fma_f32 v[0:1], v[4:5], v[24:25], v[0:1] op_sel_hi:[1,0,1]
	v_pk_fma_f32 v[6:7], v[4:5], v[26:27], v[6:7] op_sel_hi:[1,0,1]
	s_wait_loadcnt 0x0
	v_pk_fma_f32 v[8:9], v[4:5], v[28:29], v[8:9] op_sel_hi:[1,0,1]
	v_pk_fma_f32 v[12:13], v[4:5], v[30:31], v[2:3] op_sel_hi:[1,0,1]
	v_mov_b32_e32 v14, v31
	v_pk_fma_f32 v[0:1], v[22:23], v[24:25], v[0:1] op_sel:[0,1,0]
	v_pk_fma_f32 v[2:3], v[22:23], v[10:11], v[6:7] op_sel_hi:[1,0,1]
	v_pk_fma_f32 v[4:5], v[22:23], v[28:29], v[8:9] op_sel:[0,1,0]
	s_delay_alu instid0(VALU_DEP_4)
	v_pk_fma_f32 v[6:7], v[22:23], v[14:15], v[12:13] op_sel_hi:[1,0,1]
	s_clause 0x1
	global_store_b128 v[32:33], v[0:3], off
	global_store_b128 v[32:33], v[4:7], off offset:16
	s_sendmsg sendmsg(MSG_DEALLOC_VGPRS)
	s_endpgm
	.section	.rodata,"a",@progbits
	.p2align	6, 0x0
	.amdhsa_kernel _ZN9rocsparseL18bsrxmvn_4x4_kernelILj128ELj8E21rocsparse_complex_numIfEiiS2_S2_S2_EEvT3_20rocsparse_direction_NS_24const_host_device_scalarIT1_EES3_PKS3_PKT2_SC_S9_PKT4_PKT5_S7_PT6_21rocsparse_index_base_b
		.amdhsa_group_segment_fixed_size 0
		.amdhsa_private_segment_fixed_size 0
		.amdhsa_kernarg_size 96
		.amdhsa_user_sgpr_count 2
		.amdhsa_user_sgpr_dispatch_ptr 0
		.amdhsa_user_sgpr_queue_ptr 0
		.amdhsa_user_sgpr_kernarg_segment_ptr 1
		.amdhsa_user_sgpr_dispatch_id 0
		.amdhsa_user_sgpr_kernarg_preload_length 0
		.amdhsa_user_sgpr_kernarg_preload_offset 0
		.amdhsa_user_sgpr_private_segment_size 0
		.amdhsa_wavefront_size32 1
		.amdhsa_uses_dynamic_stack 0
		.amdhsa_enable_private_segment 0
		.amdhsa_system_sgpr_workgroup_id_x 1
		.amdhsa_system_sgpr_workgroup_id_y 0
		.amdhsa_system_sgpr_workgroup_id_z 0
		.amdhsa_system_sgpr_workgroup_info 0
		.amdhsa_system_vgpr_workitem_id 0
		.amdhsa_next_free_vgpr 139
		.amdhsa_next_free_sgpr 16
		.amdhsa_named_barrier_count 0
		.amdhsa_reserve_vcc 1
		.amdhsa_float_round_mode_32 0
		.amdhsa_float_round_mode_16_64 0
		.amdhsa_float_denorm_mode_32 3
		.amdhsa_float_denorm_mode_16_64 3
		.amdhsa_fp16_overflow 0
		.amdhsa_memory_ordered 1
		.amdhsa_forward_progress 1
		.amdhsa_inst_pref_size 61
		.amdhsa_round_robin_scheduling 0
		.amdhsa_exception_fp_ieee_invalid_op 0
		.amdhsa_exception_fp_denorm_src 0
		.amdhsa_exception_fp_ieee_div_zero 0
		.amdhsa_exception_fp_ieee_overflow 0
		.amdhsa_exception_fp_ieee_underflow 0
		.amdhsa_exception_fp_ieee_inexact 0
		.amdhsa_exception_int_div_zero 0
	.end_amdhsa_kernel
	.section	.text._ZN9rocsparseL18bsrxmvn_4x4_kernelILj128ELj8E21rocsparse_complex_numIfEiiS2_S2_S2_EEvT3_20rocsparse_direction_NS_24const_host_device_scalarIT1_EES3_PKS3_PKT2_SC_S9_PKT4_PKT5_S7_PT6_21rocsparse_index_base_b,"axG",@progbits,_ZN9rocsparseL18bsrxmvn_4x4_kernelILj128ELj8E21rocsparse_complex_numIfEiiS2_S2_S2_EEvT3_20rocsparse_direction_NS_24const_host_device_scalarIT1_EES3_PKS3_PKT2_SC_S9_PKT4_PKT5_S7_PT6_21rocsparse_index_base_b,comdat
.Lfunc_end11:
	.size	_ZN9rocsparseL18bsrxmvn_4x4_kernelILj128ELj8E21rocsparse_complex_numIfEiiS2_S2_S2_EEvT3_20rocsparse_direction_NS_24const_host_device_scalarIT1_EES3_PKS3_PKT2_SC_S9_PKT4_PKT5_S7_PT6_21rocsparse_index_base_b, .Lfunc_end11-_ZN9rocsparseL18bsrxmvn_4x4_kernelILj128ELj8E21rocsparse_complex_numIfEiiS2_S2_S2_EEvT3_20rocsparse_direction_NS_24const_host_device_scalarIT1_EES3_PKS3_PKT2_SC_S9_PKT4_PKT5_S7_PT6_21rocsparse_index_base_b
                                        ; -- End function
	.set _ZN9rocsparseL18bsrxmvn_4x4_kernelILj128ELj8E21rocsparse_complex_numIfEiiS2_S2_S2_EEvT3_20rocsparse_direction_NS_24const_host_device_scalarIT1_EES3_PKS3_PKT2_SC_S9_PKT4_PKT5_S7_PT6_21rocsparse_index_base_b.num_vgpr, 139
	.set _ZN9rocsparseL18bsrxmvn_4x4_kernelILj128ELj8E21rocsparse_complex_numIfEiiS2_S2_S2_EEvT3_20rocsparse_direction_NS_24const_host_device_scalarIT1_EES3_PKS3_PKT2_SC_S9_PKT4_PKT5_S7_PT6_21rocsparse_index_base_b.num_agpr, 0
	.set _ZN9rocsparseL18bsrxmvn_4x4_kernelILj128ELj8E21rocsparse_complex_numIfEiiS2_S2_S2_EEvT3_20rocsparse_direction_NS_24const_host_device_scalarIT1_EES3_PKS3_PKT2_SC_S9_PKT4_PKT5_S7_PT6_21rocsparse_index_base_b.numbered_sgpr, 16
	.set _ZN9rocsparseL18bsrxmvn_4x4_kernelILj128ELj8E21rocsparse_complex_numIfEiiS2_S2_S2_EEvT3_20rocsparse_direction_NS_24const_host_device_scalarIT1_EES3_PKS3_PKT2_SC_S9_PKT4_PKT5_S7_PT6_21rocsparse_index_base_b.num_named_barrier, 0
	.set _ZN9rocsparseL18bsrxmvn_4x4_kernelILj128ELj8E21rocsparse_complex_numIfEiiS2_S2_S2_EEvT3_20rocsparse_direction_NS_24const_host_device_scalarIT1_EES3_PKS3_PKT2_SC_S9_PKT4_PKT5_S7_PT6_21rocsparse_index_base_b.private_seg_size, 0
	.set _ZN9rocsparseL18bsrxmvn_4x4_kernelILj128ELj8E21rocsparse_complex_numIfEiiS2_S2_S2_EEvT3_20rocsparse_direction_NS_24const_host_device_scalarIT1_EES3_PKS3_PKT2_SC_S9_PKT4_PKT5_S7_PT6_21rocsparse_index_base_b.uses_vcc, 1
	.set _ZN9rocsparseL18bsrxmvn_4x4_kernelILj128ELj8E21rocsparse_complex_numIfEiiS2_S2_S2_EEvT3_20rocsparse_direction_NS_24const_host_device_scalarIT1_EES3_PKS3_PKT2_SC_S9_PKT4_PKT5_S7_PT6_21rocsparse_index_base_b.uses_flat_scratch, 1
	.set _ZN9rocsparseL18bsrxmvn_4x4_kernelILj128ELj8E21rocsparse_complex_numIfEiiS2_S2_S2_EEvT3_20rocsparse_direction_NS_24const_host_device_scalarIT1_EES3_PKS3_PKT2_SC_S9_PKT4_PKT5_S7_PT6_21rocsparse_index_base_b.has_dyn_sized_stack, 0
	.set _ZN9rocsparseL18bsrxmvn_4x4_kernelILj128ELj8E21rocsparse_complex_numIfEiiS2_S2_S2_EEvT3_20rocsparse_direction_NS_24const_host_device_scalarIT1_EES3_PKS3_PKT2_SC_S9_PKT4_PKT5_S7_PT6_21rocsparse_index_base_b.has_recursion, 0
	.set _ZN9rocsparseL18bsrxmvn_4x4_kernelILj128ELj8E21rocsparse_complex_numIfEiiS2_S2_S2_EEvT3_20rocsparse_direction_NS_24const_host_device_scalarIT1_EES3_PKS3_PKT2_SC_S9_PKT4_PKT5_S7_PT6_21rocsparse_index_base_b.has_indirect_call, 0
	.section	.AMDGPU.csdata,"",@progbits
; Kernel info:
; codeLenInByte = 7724
; TotalNumSgprs: 18
; NumVgprs: 139
; ScratchSize: 0
; MemoryBound: 0
; FloatMode: 240
; IeeeMode: 1
; LDSByteSize: 0 bytes/workgroup (compile time only)
; SGPRBlocks: 0
; VGPRBlocks: 8
; NumSGPRsForWavesPerEU: 18
; NumVGPRsForWavesPerEU: 139
; NamedBarCnt: 0
; Occupancy: 7
; WaveLimiterHint : 1
; COMPUTE_PGM_RSRC2:SCRATCH_EN: 0
; COMPUTE_PGM_RSRC2:USER_SGPR: 2
; COMPUTE_PGM_RSRC2:TRAP_HANDLER: 0
; COMPUTE_PGM_RSRC2:TGID_X_EN: 1
; COMPUTE_PGM_RSRC2:TGID_Y_EN: 0
; COMPUTE_PGM_RSRC2:TGID_Z_EN: 0
; COMPUTE_PGM_RSRC2:TIDIG_COMP_CNT: 0
	.section	.text._ZN9rocsparseL18bsrxmvn_4x4_kernelILj128ELj16E21rocsparse_complex_numIfEiiS2_S2_S2_EEvT3_20rocsparse_direction_NS_24const_host_device_scalarIT1_EES3_PKS3_PKT2_SC_S9_PKT4_PKT5_S7_PT6_21rocsparse_index_base_b,"axG",@progbits,_ZN9rocsparseL18bsrxmvn_4x4_kernelILj128ELj16E21rocsparse_complex_numIfEiiS2_S2_S2_EEvT3_20rocsparse_direction_NS_24const_host_device_scalarIT1_EES3_PKS3_PKT2_SC_S9_PKT4_PKT5_S7_PT6_21rocsparse_index_base_b,comdat
	.globl	_ZN9rocsparseL18bsrxmvn_4x4_kernelILj128ELj16E21rocsparse_complex_numIfEiiS2_S2_S2_EEvT3_20rocsparse_direction_NS_24const_host_device_scalarIT1_EES3_PKS3_PKT2_SC_S9_PKT4_PKT5_S7_PT6_21rocsparse_index_base_b ; -- Begin function _ZN9rocsparseL18bsrxmvn_4x4_kernelILj128ELj16E21rocsparse_complex_numIfEiiS2_S2_S2_EEvT3_20rocsparse_direction_NS_24const_host_device_scalarIT1_EES3_PKS3_PKT2_SC_S9_PKT4_PKT5_S7_PT6_21rocsparse_index_base_b
	.p2align	8
	.type	_ZN9rocsparseL18bsrxmvn_4x4_kernelILj128ELj16E21rocsparse_complex_numIfEiiS2_S2_S2_EEvT3_20rocsparse_direction_NS_24const_host_device_scalarIT1_EES3_PKS3_PKT2_SC_S9_PKT4_PKT5_S7_PT6_21rocsparse_index_base_b,@function
_ZN9rocsparseL18bsrxmvn_4x4_kernelILj128ELj16E21rocsparse_complex_numIfEiiS2_S2_S2_EEvT3_20rocsparse_direction_NS_24const_host_device_scalarIT1_EES3_PKS3_PKT2_SC_S9_PKT4_PKT5_S7_PT6_21rocsparse_index_base_b: ; @_ZN9rocsparseL18bsrxmvn_4x4_kernelILj128ELj16E21rocsparse_complex_numIfEiiS2_S2_S2_EEvT3_20rocsparse_direction_NS_24const_host_device_scalarIT1_EES3_PKS3_PKT2_SC_S9_PKT4_PKT5_S7_PT6_21rocsparse_index_base_b
; %bb.0:
	s_clause 0x2
	s_load_b64 s[12:13], s[0:1], 0x58
	s_load_b64 s[2:3], s[0:1], 0x8
	;; [unrolled: 1-line block ×3, first 2 shown]
	v_mov_b32_e32 v1, 0
	s_add_nc_u64 s[6:7], s[0:1], 8
	s_add_nc_u64 s[8:9], s[0:1], 0x48
	s_wait_kmcnt 0x0
	s_bitcmp1_b32 s13, 0
	s_cselect_b32 s3, s7, s3
	s_cselect_b32 s2, s6, s2
	;; [unrolled: 1-line block ×4, first 2 shown]
	s_clause 0x1
	flat_load_b64 v[2:3], v1, s[2:3]
	flat_load_b64 v[4:5], v1, s[4:5]
	s_wait_loadcnt_dscnt 0x101
	v_cmp_neq_f32_e32 vcc_lo, 0, v2
	v_cmp_neq_f32_e64 s3, 0, v3
	s_wait_loadcnt_dscnt 0x0
	v_cmp_neq_f32_e64 s4, 1.0, v4
	v_cmp_neq_f32_e64 s2, 0, v5
	s_or_b32 s5, vcc_lo, s3
	s_mov_b32 s3, 0
	s_or_b32 s4, s4, s2
	s_delay_alu instid0(SALU_CYCLE_1) | instskip(NEXT) | instid1(SALU_CYCLE_1)
	s_or_b32 s4, s5, s4
	s_and_saveexec_b32 s5, s4
	s_cbranch_execz .LBB12_6
; %bb.1:
	s_clause 0x1
	s_load_b64 s[4:5], s[0:1], 0x18
	s_load_b64 s[14:15], s[0:1], 0x0
	s_bfe_u32 s6, ttmp6, 0x4000c
	s_and_b32 s7, ttmp6, 15
	s_add_co_i32 s6, s6, 1
	s_getreg_b32 s8, hwreg(HW_REG_IB_STS2, 6, 4)
	s_mul_i32 s6, ttmp9, s6
	v_lshrrev_b32_e32 v1, 4, v0
	s_add_co_i32 s7, s7, s6
	s_cmp_eq_u32 s8, 0
	s_cselect_b32 s6, ttmp9, s7
	s_delay_alu instid0(VALU_DEP_1) | instid1(SALU_CYCLE_1)
	v_lshl_or_b32 v6, s6, 3, v1
	s_wait_kmcnt 0x0
	s_cmp_lg_u64 s[4:5], 0
	s_cbranch_scc0 .LBB12_7
; %bb.2:
	s_load_b32 s3, s[0:1], 0x10
	s_mov_b32 s6, 0
                                        ; implicit-def: $vgpr1
	s_wait_kmcnt 0x0
	v_cmp_gt_i32_e32 vcc_lo, s3, v6
	s_mov_b32 s3, 0
	s_and_saveexec_b32 s7, vcc_lo
	s_delay_alu instid0(SALU_CYCLE_1)
	s_xor_b32 s7, exec_lo, s7
	s_cbranch_execz .LBB12_4
; %bb.3:
	global_load_b32 v1, v6, s[4:5] scale_offset
	s_mov_b32 s3, exec_lo
	s_wait_loadcnt 0x0
	v_subrev_nc_u32_e32 v1, s12, v1
.LBB12_4:
	s_or_b32 exec_lo, exec_lo, s7
	s_delay_alu instid0(SALU_CYCLE_1)
	s_and_b32 vcc_lo, exec_lo, s6
	s_cbranch_vccz .LBB12_8
.LBB12_5:
	v_cmp_gt_i32_e32 vcc_lo, s14, v6
	s_and_not1_b32 s3, s3, exec_lo
	s_and_b32 s4, vcc_lo, exec_lo
	s_delay_alu instid0(SALU_CYCLE_1) | instskip(NEXT) | instid1(SALU_CYCLE_1)
	s_or_b32 s3, s3, s4
	s_and_b32 exec_lo, exec_lo, s3
	s_cbranch_execnz .LBB12_9
.LBB12_6:
	s_sendmsg sendmsg(MSG_DEALLOC_VGPRS)
	s_endpgm
.LBB12_7:
                                        ; implicit-def: $vgpr1
	s_cbranch_execnz .LBB12_5
.LBB12_8:
	s_delay_alu instid0(VALU_DEP_1)
	v_mov_b32_e32 v6, v1
	s_and_b32 exec_lo, exec_lo, s3
	s_cbranch_execz .LBB12_6
.LBB12_9:
	s_load_b256 s[4:11], s[0:1], 0x20
	s_wait_kmcnt 0x0
	s_cmp_eq_u64 s[6:7], 0
	global_load_b32 v20, v6, s[4:5] scale_offset
	s_cselect_b32 vcc_lo, -1, 0
	v_ashrrev_i32_e32 v7, 31, v6
	s_cmp_eq_u32 s15, 1
	s_delay_alu instid0(VALU_DEP_1) | instskip(SKIP_1) | instid1(VALU_DEP_2)
	v_lshlrev_b64_e32 v[8:9], 2, v[6:7]
	v_and_b32_e32 v7, 15, v0
	v_add_nc_u64_e32 v[10:11], s[4:5], v[8:9]
	v_add_nc_u64_e32 v[8:9], s[6:7], v[8:9]
	s_wait_xcnt 0x0
	s_load_b64 s[4:5], s[0:1], 0x40
	s_delay_alu instid0(VALU_DEP_2) | instskip(NEXT) | instid1(VALU_DEP_1)
	v_add_nc_u64_e32 v[10:11], 4, v[10:11]
	v_dual_cndmask_b32 v9, v9, v11 :: v_dual_cndmask_b32 v8, v8, v10
	global_load_b32 v10, v[8:9], off
	s_wait_loadcnt 0x1
	v_subrev_nc_u32_e32 v0, s12, v20
	s_delay_alu instid0(VALU_DEP_1) | instskip(NEXT) | instid1(VALU_DEP_1)
	v_add_nc_u32_e32 v0, v0, v7
	v_ashrrev_i32_e32 v1, 31, v0
	s_wait_xcnt 0x0
	s_delay_alu instid0(VALU_DEP_1) | instskip(NEXT) | instid1(VALU_DEP_1)
	v_lshlrev_b64_e32 v[8:9], 7, v[0:1]
	v_add_nc_u64_e32 v[8:9], s[10:11], v[8:9]
	s_wait_loadcnt 0x0
	v_subrev_nc_u32_e32 v1, s12, v10
	s_delay_alu instid0(VALU_DEP_1)
	v_cmp_lt_i32_e64 s3, v0, v1
	s_cbranch_scc1 .LBB12_21
; %bb.10:
	v_dual_mov_b32 v17, 0 :: v_dual_mov_b32 v16, 0
	v_dual_mov_b32 v11, 0 :: v_dual_mov_b32 v10, 0
	;; [unrolled: 1-line block ×4, first 2 shown]
	s_and_saveexec_b32 s6, s3
	s_cbranch_execz .LBB12_20
; %bb.11:
	v_add_nc_u32_e32 v10, v20, v7
	v_not_b32_e32 v11, v20
	v_mov_b64_e32 v[16:17], 0
	v_mov_b64_e32 v[12:13], 0
	;; [unrolled: 1-line block ×3, first 2 shown]
	v_subrev_nc_u32_e32 v10, s12, v10
	v_mov_b64_e32 v[18:19], v[8:9]
	s_delay_alu instid0(VALU_DEP_2) | instskip(NEXT) | instid1(VALU_DEP_1)
	v_add_max_i32_e64 v10, v10, 16, v1
	v_add3_u32 v10, s12, v10, v11
	s_delay_alu instid0(VALU_DEP_1) | instskip(SKIP_1) | instid1(VALU_DEP_2)
	v_sub_nc_u32_e32 v22, v10, v7
	v_mov_b64_e32 v[10:11], 0
	v_and_b32_e32 v21, 48, v22
	s_delay_alu instid0(VALU_DEP_1)
	v_cmp_ne_u32_e32 vcc_lo, 48, v21
	v_mov_b32_e32 v21, v0
	s_and_saveexec_b32 s7, vcc_lo
	s_cbranch_execz .LBB12_15
; %bb.12:
	v_dual_lshrrev_b32 v10, 4, v22 :: v_dual_mov_b32 v14, 0
	v_mov_b64_e32 v[18:19], v[8:9]
	s_mov_b32 s10, 0
	s_delay_alu instid0(VALU_DEP_2) | instskip(NEXT) | instid1(VALU_DEP_3)
	v_dual_mov_b32 v21, v0 :: v_dual_add_nc_u32 v10, 1, v10
	v_dual_mov_b32 v15, v14 :: v_dual_mov_b32 v12, v14
	v_dual_mov_b32 v13, v14 :: v_dual_mov_b32 v11, v14
	s_delay_alu instid0(VALU_DEP_3) | instskip(NEXT) | instid1(VALU_DEP_1)
	v_dual_mov_b32 v10, v14 :: v_dual_bitop2_b32 v17, 3, v10 bitop3:0x40
	v_dual_mov_b32 v16, v14 :: v_dual_sub_nc_u32 v23, 0, v17
	v_mov_b32_e32 v17, v14
.LBB12_13:                              ; =>This Inner Loop Header: Depth=1
	global_load_b32 v56, v21, s[8:9] scale_offset
	s_clause 0x7
	global_load_b128 v[24:27], v[18:19], off offset:48
	global_load_b128 v[28:31], v[18:19], off offset:32
	;; [unrolled: 1-line block ×3, first 2 shown]
	global_load_b128 v[36:39], v[18:19], off
	global_load_b128 v[40:43], v[18:19], off offset:112
	global_load_b128 v[44:47], v[18:19], off offset:96
	;; [unrolled: 1-line block ×4, first 2 shown]
	s_wait_xcnt 0x0
	v_add_nc_u64_e32 v[18:19], 0x800, v[18:19]
	v_add_co_u32 v23, s11, v23, 1
	s_or_b32 s10, s11, s10
	v_add_nc_u32_e32 v21, 16, v21
	s_wait_loadcnt 0x8
	v_subrev_nc_u32_e32 v56, s12, v56
	s_wait_loadcnt 0x7
	v_mov_b32_e32 v71, v26
	s_wait_loadcnt 0x6
	v_xor_b32_e32 v68, 0x80000000, v31
	s_wait_loadcnt 0x5
	v_dual_mov_b32 v67, v34 :: v_dual_mov_b32 v69, v30
	v_lshlrev_b32_e32 v56, 2, v56
	s_wait_loadcnt 0x2
	v_xor_b32_e32 v76, 0x80000000, v47
	s_wait_loadcnt 0x1
	v_dual_mov_b32 v75, v50 :: v_dual_mov_b32 v77, v46
	s_wait_loadcnt 0x0
	v_xor_b32_e32 v72, 0x80000000, v55
	v_dual_ashrrev_i32 v57, 31, v56 :: v_dual_mov_b32 v73, v54
	v_xor_b32_e32 v66, 0x80000000, v35
	v_xor_b32_e32 v70, 0x80000000, v27
	;; [unrolled: 1-line block ×3, first 2 shown]
	s_wait_kmcnt 0x0
	v_lshl_add_u64 v[64:65], v[56:57], 3, s[4:5]
	v_xor_b32_e32 v78, 0x80000000, v43
	s_clause 0x1
	global_load_b128 v[56:59], v[64:65], off
	global_load_b128 v[60:63], v[64:65], off offset:16
	s_wait_xcnt 0x0
	v_xor_b32_e32 v64, 0x80000000, v39
	v_dual_mov_b32 v65, v38 :: v_dual_mov_b32 v79, v42
	s_wait_loadcnt 0x1
	v_mov_b32_e32 v80, v59
	v_pk_fma_f32 v[16:17], v[36:37], v[56:57], v[16:17] op_sel_hi:[1,0,1]
	v_pk_fma_f32 v[14:15], v[28:29], v[56:57], v[14:15] op_sel_hi:[1,0,1]
	;; [unrolled: 1-line block ×4, first 2 shown]
	s_wait_loadcnt 0x0
	v_mov_b32_e32 v82, v63
	v_pk_fma_f32 v[16:17], v[36:37], v[56:57], v[16:17] op_sel:[1,1,0] op_sel_hi:[0,1,1] neg_lo:[1,0,0]
	v_pk_fma_f32 v[14:15], v[28:29], v[56:57], v[14:15] op_sel:[1,1,0] op_sel_hi:[0,1,1] neg_lo:[1,0,0]
	;; [unrolled: 1-line block ×4, first 2 shown]
	s_delay_alu instid0(VALU_DEP_4) | instskip(NEXT) | instid1(VALU_DEP_4)
	v_pk_fma_f32 v[16:17], v[38:39], v[58:59], v[16:17] op_sel_hi:[1,0,1]
	v_pk_fma_f32 v[14:15], v[30:31], v[58:59], v[14:15] op_sel_hi:[1,0,1]
	s_delay_alu instid0(VALU_DEP_4) | instskip(NEXT) | instid1(VALU_DEP_4)
	v_pk_fma_f32 v[12:13], v[54:55], v[58:59], v[12:13] op_sel_hi:[1,0,1]
	v_pk_fma_f32 v[10:11], v[46:47], v[58:59], v[10:11] op_sel_hi:[1,0,1]
	;; [unrolled: 3-line block ×6, first 2 shown]
	s_delay_alu instid0(VALU_DEP_4) | instskip(NEXT) | instid1(VALU_DEP_4)
	v_pk_fma_f32 v[16:17], v[32:33], v[60:61], v[16:17] op_sel:[1,1,0] op_sel_hi:[0,1,1] neg_lo:[1,0,0]
	v_pk_fma_f32 v[14:15], v[24:25], v[60:61], v[14:15] op_sel:[1,1,0] op_sel_hi:[0,1,1] neg_lo:[1,0,0]
	s_delay_alu instid0(VALU_DEP_4) | instskip(NEXT) | instid1(VALU_DEP_4)
	v_pk_fma_f32 v[12:13], v[48:49], v[60:61], v[12:13] op_sel:[1,1,0] op_sel_hi:[0,1,1] neg_lo:[1,0,0]
	v_pk_fma_f32 v[10:11], v[40:41], v[60:61], v[10:11] op_sel:[1,1,0] op_sel_hi:[0,1,1] neg_lo:[1,0,0]
	s_delay_alu instid0(VALU_DEP_4) | instskip(NEXT) | instid1(VALU_DEP_4)
	v_pk_fma_f32 v[16:17], v[34:35], v[62:63], v[16:17] op_sel_hi:[1,0,1]
	v_pk_fma_f32 v[14:15], v[26:27], v[62:63], v[14:15] op_sel_hi:[1,0,1]
	s_delay_alu instid0(VALU_DEP_4) | instskip(NEXT) | instid1(VALU_DEP_4)
	v_pk_fma_f32 v[12:13], v[50:51], v[62:63], v[12:13] op_sel_hi:[1,0,1]
	v_pk_fma_f32 v[10:11], v[42:43], v[62:63], v[10:11] op_sel_hi:[1,0,1]
	;; [unrolled: 3-line block ×4, first 2 shown]
	s_and_not1_b32 exec_lo, exec_lo, s10
	s_cbranch_execnz .LBB12_13
; %bb.14:
	s_or_b32 exec_lo, exec_lo, s10
.LBB12_15:
	s_delay_alu instid0(SALU_CYCLE_1) | instskip(NEXT) | instid1(SALU_CYCLE_1)
	s_or_b32 exec_lo, exec_lo, s7
	s_mov_b32 s7, exec_lo
	v_cmpx_lt_u32_e32 47, v22
	s_cbranch_execz .LBB12_19
; %bb.16:
	s_mov_b32 s10, 0
.LBB12_17:                              ; =>This Inner Loop Header: Depth=1
	global_load_b32 v118, v21, s[8:9] scale_offset
	s_clause 0xf
	global_load_b128 v[22:25], v[18:19], off
	global_load_b128 v[26:29], v[18:19], off offset:16
	global_load_b128 v[30:33], v[18:19], off offset:48
	;; [unrolled: 1-line block ×15, first 2 shown]
	s_clause 0x2
	global_load_b32 v136, v21, s[8:9] offset:64 scale_offset
	global_load_b32 v137, v21, s[8:9] offset:128 scale_offset
	;; [unrolled: 1-line block ×3, first 2 shown]
	s_clause 0x7
	global_load_b128 v[86:89], v[18:19], off offset:4144
	global_load_b128 v[90:93], v[18:19], off offset:4128
	;; [unrolled: 1-line block ×8, first 2 shown]
	s_wait_loadcnt 0x1b
	v_subrev_nc_u32_e32 v118, s12, v118
	s_wait_loadcnt 0x1a
	v_mov_b32_e32 v127, v24
	v_xor_b32_e32 v126, 0x80000000, v25
	s_delay_alu instid0(VALU_DEP_3)
	v_lshlrev_b32_e32 v118, 2, v118
	s_wait_loadcnt 0x15
	v_xor_b32_e32 v134, 0x80000000, v45
	s_wait_loadcnt 0x13
	v_dual_mov_b32 v135, v44 :: v_dual_mov_b32 v133, v52
	v_xor_b32_e32 v132, 0x80000000, v53
	v_ashrrev_i32_e32 v119, 31, v118
	s_wait_kmcnt 0x0
	s_delay_alu instid0(VALU_DEP_1)
	v_lshl_add_u64 v[128:129], v[118:119], 3, s[4:5]
	s_clause 0x1
	global_load_b128 v[118:121], v[128:129], off
	global_load_b128 v[122:125], v[128:129], off offset:16
	s_wait_xcnt 0x0
	v_xor_b32_e32 v128, 0x80000000, v37
	v_mov_b32_e32 v129, v36
	s_wait_loadcnt 0x1
	v_pk_fma_f32 v[14:15], v[34:35], v[118:119], v[14:15] op_sel_hi:[1,0,1]
	v_pk_fma_f32 v[16:17], v[22:23], v[118:119], v[16:17] op_sel_hi:[1,0,1]
	v_pk_fma_f32 v[12:13], v[50:51], v[118:119], v[12:13] op_sel_hi:[1,0,1]
	v_pk_fma_f32 v[10:11], v[42:43], v[118:119], v[10:11] op_sel_hi:[1,0,1]
	s_delay_alu instid0(VALU_DEP_4) | instskip(NEXT) | instid1(VALU_DEP_4)
	v_pk_fma_f32 v[14:15], v[34:35], v[118:119], v[14:15] op_sel:[1,1,0] op_sel_hi:[0,1,1] neg_lo:[1,0,0]
	v_pk_fma_f32 v[16:17], v[22:23], v[118:119], v[16:17] op_sel:[1,1,0] op_sel_hi:[0,1,1] neg_lo:[1,0,0]
	s_delay_alu instid0(VALU_DEP_4) | instskip(NEXT) | instid1(VALU_DEP_4)
	v_pk_fma_f32 v[12:13], v[50:51], v[118:119], v[12:13] op_sel:[1,1,0] op_sel_hi:[0,1,1] neg_lo:[1,0,0]
	v_pk_fma_f32 v[10:11], v[42:43], v[118:119], v[10:11] op_sel:[1,1,0] op_sel_hi:[0,1,1] neg_lo:[1,0,0]
	v_mov_b32_e32 v118, v121
	v_pk_fma_f32 v[130:131], v[36:37], v[120:121], v[14:15] op_sel_hi:[1,0,1]
	v_pk_fma_f32 v[16:17], v[24:25], v[120:121], v[16:17] op_sel_hi:[1,0,1]
	;; [unrolled: 1-line block ×4, first 2 shown]
	s_clause 0x1
	global_load_b128 v[22:25], v[18:19], off offset:6192
	global_load_b128 v[12:15], v[18:19], off offset:6176
	v_pk_fma_f32 v[120:121], v[128:129], v[118:119], v[130:131] op_sel_hi:[1,0,1]
	v_pk_fma_f32 v[16:17], v[126:127], v[118:119], v[16:17] op_sel_hi:[1,0,1]
	;; [unrolled: 1-line block ×4, first 2 shown]
	v_xor_b32_e32 v132, 0x80000000, v41
	s_wait_loadcnt 0x2
	v_pk_fma_f32 v[120:121], v[30:31], v[122:123], v[120:121] op_sel_hi:[1,0,1]
	v_pk_fma_f32 v[16:17], v[26:27], v[122:123], v[16:17] op_sel_hi:[1,0,1]
	v_mov_b32_e32 v133, v40
	v_pk_fma_f32 v[10:11], v[38:39], v[122:123], v[10:11] op_sel_hi:[1,0,1]
	v_xor_b32_e32 v118, 0x80000000, v29
	v_pk_fma_f32 v[30:31], v[30:31], v[122:123], v[120:121] op_sel:[1,1,0] op_sel_hi:[0,1,1] neg_lo:[1,0,0]
	v_pk_fma_f32 v[16:17], v[26:27], v[122:123], v[16:17] op_sel:[1,1,0] op_sel_hi:[0,1,1] neg_lo:[1,0,0]
	v_mov_b32_e32 v119, v28
	v_pk_fma_f32 v[10:11], v[38:39], v[122:123], v[10:11] op_sel:[1,1,0] op_sel_hi:[0,1,1] neg_lo:[1,0,0]
	v_xor_b32_e32 v128, 0x80000000, v33
	v_pk_fma_f32 v[120:121], v[32:33], v[124:125], v[30:31] op_sel_hi:[1,0,1]
	v_pk_fma_f32 v[30:31], v[46:47], v[122:123], v[126:127] op_sel_hi:[1,0,1]
	;; [unrolled: 1-line block ×4, first 2 shown]
	v_dual_mov_b32 v129, v32 :: v_dual_mov_b32 v131, v48
	s_delay_alu instid0(VALU_DEP_4)
	v_pk_fma_f32 v[30:31], v[46:47], v[122:123], v[30:31] op_sel:[1,1,0] op_sel_hi:[0,1,1] neg_lo:[1,0,0]
	v_subrev_nc_u32_e32 v46, s12, v136
	v_mov_b32_e32 v135, v60
	v_subrev_nc_u32_e32 v136, s12, v137
	v_xor_b32_e32 v130, 0x80000000, v49
	v_pk_fma_f32 v[126:127], v[48:49], v[124:125], v[30:31] op_sel_hi:[1,0,1]
	v_dual_mov_b32 v123, v68 :: v_dual_lshlrev_b32 v38, 2, v46
	v_mov_b32_e32 v124, v125
	v_subrev_nc_u32_e32 v137, s12, v138
	v_xor_b32_e32 v122, 0x80000000, v69
	s_delay_alu instid0(VALU_DEP_4)
	v_ashrrev_i32_e32 v39, 31, v38
	s_clause 0x1
	global_load_b128 v[50:53], v[18:19], off offset:6224
	global_load_b128 v[26:29], v[18:19], off offset:6208
	v_pk_fma_f32 v[16:17], v[118:119], v[124:125], v[16:17] op_sel_hi:[1,0,1]
	v_lshlrev_b32_e32 v118, 2, v136
	v_lshl_add_u64 v[46:47], v[38:39], 3, s[4:5]
	v_pk_fma_f32 v[128:129], v[128:129], v[124:125], v[120:121] op_sel_hi:[1,0,1]
	v_pk_fma_f32 v[126:127], v[130:131], v[124:125], v[126:127] op_sel_hi:[1,0,1]
	;; [unrolled: 1-line block ×3, first 2 shown]
	v_mov_b32_e32 v125, v84
	global_load_b128 v[38:41], v[46:47], off
	v_ashrrev_i32_e32 v119, 31, v118
	s_clause 0x2
	global_load_b128 v[34:37], v[18:19], off offset:6160
	global_load_b128 v[42:45], v[18:19], off offset:6144
	;; [unrolled: 1-line block ×3, first 2 shown]
	v_xor_b32_e32 v134, 0x80000000, v61
	v_lshl_add_u64 v[130:131], v[118:119], 3, s[4:5]
	v_xor_b32_e32 v124, 0x80000000, v85
	s_clause 0x1
	global_load_b128 v[118:121], v[130:131], off
	global_load_b128 v[46:49], v[46:47], off offset:16
	v_add_nc_u32_e32 v21, 64, v21
	s_wait_loadcnt 0x5
	v_pk_fma_f32 v[16:17], v[66:67], v[38:39], v[16:17] op_sel_hi:[1,0,1]
	v_pk_fma_f32 v[128:129], v[58:59], v[38:39], v[128:129] op_sel_hi:[1,0,1]
	;; [unrolled: 1-line block ×4, first 2 shown]
	s_delay_alu instid0(VALU_DEP_4)
	v_pk_fma_f32 v[16:17], v[66:67], v[38:39], v[16:17] op_sel:[1,1,0] op_sel_hi:[0,1,1] neg_lo:[1,0,0]
	v_lshlrev_b32_e32 v66, 2, v137
	v_pk_fma_f32 v[58:59], v[58:59], v[38:39], v[128:129] op_sel:[1,1,0] op_sel_hi:[0,1,1] neg_lo:[1,0,0]
	v_pk_fma_f32 v[82:83], v[82:83], v[38:39], v[126:127] op_sel:[1,1,0] op_sel_hi:[0,1,1] neg_lo:[1,0,0]
	;; [unrolled: 1-line block ×3, first 2 shown]
	v_pk_fma_f32 v[16:17], v[68:69], v[40:41], v[16:17] op_sel_hi:[1,0,1]
	v_ashrrev_i32_e32 v67, 31, v66
	v_pk_fma_f32 v[128:129], v[60:61], v[40:41], v[58:59] op_sel_hi:[1,0,1]
	v_pk_fma_f32 v[126:127], v[84:85], v[40:41], v[82:83] op_sel_hi:[1,0,1]
	;; [unrolled: 1-line block ×3, first 2 shown]
	v_mov_b32_e32 v38, v41
	v_lshl_add_u64 v[132:133], v[66:67], 3, s[4:5]
	global_load_b128 v[66:69], v[130:131], off offset:16
	s_wait_xcnt 0x0
	v_xor_b32_e32 v130, 0x80000000, v77
	v_mov_b32_e32 v131, v76
	v_pk_fma_f32 v[16:17], v[122:123], v[38:39], v[16:17] op_sel_hi:[1,0,1]
	global_load_b128 v[58:61], v[132:133], off
	global_load_b128 v[74:77], v[18:19], off offset:6256
	global_load_b128 v[82:85], v[132:133], off offset:16
	v_pk_fma_f32 v[128:129], v[134:135], v[38:39], v[128:129] op_sel_hi:[1,0,1]
	v_pk_fma_f32 v[124:125], v[124:125], v[38:39], v[126:127] op_sel_hi:[1,0,1]
	;; [unrolled: 1-line block ×3, first 2 shown]
	s_wait_loadcnt 0x4
	v_pk_fma_f32 v[16:17], v[62:63], v[46:47], v[16:17] op_sel_hi:[1,0,1]
	v_xor_b32_e32 v40, 0x80000000, v65
	v_pk_fma_f32 v[128:129], v[54:55], v[46:47], v[128:129] op_sel_hi:[1,0,1]
	v_pk_fma_f32 v[124:125], v[78:79], v[46:47], v[124:125] op_sel_hi:[1,0,1]
	;; [unrolled: 1-line block ×3, first 2 shown]
	v_pk_fma_f32 v[16:17], v[62:63], v[46:47], v[16:17] op_sel:[1,1,0] op_sel_hi:[0,1,1] neg_lo:[1,0,0]
	v_dual_mov_b32 v41, v64 :: v_dual_mov_b32 v123, v56
	v_pk_fma_f32 v[54:55], v[54:55], v[46:47], v[128:129] op_sel:[1,1,0] op_sel_hi:[0,1,1] neg_lo:[1,0,0]
	v_pk_fma_f32 v[78:79], v[78:79], v[46:47], v[124:125] op_sel:[1,1,0] op_sel_hi:[0,1,1] neg_lo:[1,0,0]
	;; [unrolled: 1-line block ×3, first 2 shown]
	v_xor_b32_e32 v122, 0x80000000, v57
	s_wait_xcnt 0x0
	v_xor_b32_e32 v132, 0x80000000, v81
	v_dual_mov_b32 v133, v80 :: v_dual_mov_b32 v127, v72
	v_xor_b32_e32 v126, 0x80000000, v73
	v_pk_fma_f32 v[16:17], v[64:65], v[48:49], v[16:17] op_sel_hi:[1,0,1]
	v_pk_fma_f32 v[54:55], v[56:57], v[48:49], v[54:55] op_sel_hi:[1,0,1]
	;; [unrolled: 1-line block ×4, first 2 shown]
	v_dual_mov_b32 v48, v49 :: v_dual_mov_b32 v73, v14
	v_xor_b32_e32 v38, 0x80000000, v101
	v_dual_mov_b32 v39, v100 :: v_dual_mov_b32 v131, v92
	s_delay_alu instid0(VALU_DEP_3)
	v_pk_fma_f32 v[16:17], v[40:41], v[48:49], v[16:17] op_sel_hi:[1,0,1]
	v_pk_fma_f32 v[40:41], v[122:123], v[48:49], v[54:55] op_sel_hi:[1,0,1]
	;; [unrolled: 1-line block ×4, first 2 shown]
	v_xor_b32_e32 v130, 0x80000000, v93
	v_pk_fma_f32 v[16:17], v[98:99], v[118:119], v[16:17] op_sel_hi:[1,0,1]
	v_pk_fma_f32 v[40:41], v[90:91], v[118:119], v[40:41] op_sel_hi:[1,0,1]
	v_pk_fma_f32 v[48:49], v[114:115], v[118:119], v[54:55] op_sel_hi:[1,0,1]
	v_pk_fma_f32 v[10:11], v[106:107], v[118:119], v[10:11] op_sel_hi:[1,0,1]
	v_xor_b32_e32 v62, 0x80000000, v117
	v_pk_fma_f32 v[16:17], v[98:99], v[118:119], v[16:17] op_sel:[1,1,0] op_sel_hi:[0,1,1] neg_lo:[1,0,0]
	v_pk_fma_f32 v[40:41], v[90:91], v[118:119], v[40:41] op_sel:[1,1,0] op_sel_hi:[0,1,1] neg_lo:[1,0,0]
	;; [unrolled: 1-line block ×4, first 2 shown]
	v_dual_mov_b32 v63, v116 :: v_dual_mov_b32 v65, v108
	v_xor_b32_e32 v64, 0x80000000, v109
	v_dual_mov_b32 v78, v121 :: v_dual_mov_b32 v55, v24
	v_pk_fma_f32 v[16:17], v[100:101], v[120:121], v[16:17] op_sel_hi:[1,0,1]
	v_pk_fma_f32 v[40:41], v[92:93], v[120:121], v[40:41] op_sel_hi:[1,0,1]
	;; [unrolled: 1-line block ×4, first 2 shown]
	v_xor_b32_e32 v56, 0x80000000, v97
	v_pk_fma_f32 v[16:17], v[38:39], v[78:79], v[16:17] op_sel_hi:[1,0,1]
	v_pk_fma_f32 v[38:39], v[130:131], v[78:79], v[40:41] op_sel_hi:[1,0,1]
	;; [unrolled: 1-line block ×4, first 2 shown]
	v_dual_mov_b32 v57, v96 :: v_dual_mov_b32 v129, v88
	v_xor_b32_e32 v128, 0x80000000, v89
	v_xor_b32_e32 v80, 0x80000000, v113
	v_dual_mov_b32 v81, v112 :: v_dual_mov_b32 v125, v104
	v_xor_b32_e32 v124, 0x80000000, v105
	v_mov_b32_e32 v49, v28
	v_xor_b32_e32 v46, 0x80000000, v45
	v_dual_mov_b32 v47, v44 :: v_dual_mov_b32 v71, v36
	v_xor_b32_e32 v72, 0x80000000, v15
	v_xor_b32_e32 v48, 0x80000000, v29
	;; [unrolled: 1-line block ×5, first 2 shown]
	v_mov_b32_e32 v65, v52
	v_add_nc_u64_e32 v[18:19], 0x2000, v[18:19]
	v_cmp_ge_i32_e32 vcc_lo, v21, v1
	s_or_b32 s10, vcc_lo, s10
	s_wait_loadcnt 0x3
	v_pk_fma_f32 v[16:17], v[94:95], v[66:67], v[16:17] op_sel_hi:[1,0,1]
	v_pk_fma_f32 v[38:39], v[86:87], v[66:67], v[38:39] op_sel_hi:[1,0,1]
	;; [unrolled: 1-line block ×4, first 2 shown]
	v_mov_b32_e32 v62, v69
	v_pk_fma_f32 v[16:17], v[94:95], v[66:67], v[16:17] op_sel:[1,1,0] op_sel_hi:[0,1,1] neg_lo:[1,0,0]
	v_pk_fma_f32 v[38:39], v[86:87], v[66:67], v[38:39] op_sel:[1,1,0] op_sel_hi:[0,1,1] neg_lo:[1,0,0]
	;; [unrolled: 1-line block ×4, first 2 shown]
	s_delay_alu instid0(VALU_DEP_4) | instskip(NEXT) | instid1(VALU_DEP_4)
	v_pk_fma_f32 v[16:17], v[96:97], v[68:69], v[16:17] op_sel_hi:[1,0,1]
	v_pk_fma_f32 v[38:39], v[88:89], v[68:69], v[38:39] op_sel_hi:[1,0,1]
	s_delay_alu instid0(VALU_DEP_4) | instskip(NEXT) | instid1(VALU_DEP_4)
	v_pk_fma_f32 v[40:41], v[112:113], v[68:69], v[40:41] op_sel_hi:[1,0,1]
	v_pk_fma_f32 v[10:11], v[104:105], v[68:69], v[10:11] op_sel_hi:[1,0,1]
	;; [unrolled: 3-line block ×4, first 2 shown]
	v_xor_b32_e32 v56, 0x80000000, v33
	s_wait_loadcnt 0x2
	v_pk_fma_f32 v[16:17], v[42:43], v[58:59], v[16:17] op_sel_hi:[1,0,1]
	v_pk_fma_f32 v[38:39], v[12:13], v[58:59], v[38:39] op_sel_hi:[1,0,1]
	v_pk_fma_f32 v[40:41], v[26:27], v[58:59], v[40:41] op_sel_hi:[1,0,1]
	v_pk_fma_f32 v[10:11], v[30:31], v[58:59], v[10:11] op_sel_hi:[1,0,1]
	v_mov_b32_e32 v57, v32
	v_pk_fma_f32 v[16:17], v[42:43], v[58:59], v[16:17] op_sel:[1,1,0] op_sel_hi:[0,1,1] neg_lo:[1,0,0]
	v_pk_fma_f32 v[12:13], v[12:13], v[58:59], v[38:39] op_sel:[1,1,0] op_sel_hi:[0,1,1] neg_lo:[1,0,0]
	;; [unrolled: 1-line block ×4, first 2 shown]
	v_mov_b32_e32 v30, v61
	v_pk_fma_f32 v[16:17], v[44:45], v[60:61], v[16:17] op_sel_hi:[1,0,1]
	v_pk_fma_f32 v[12:13], v[14:15], v[60:61], v[12:13] op_sel_hi:[1,0,1]
	;; [unrolled: 1-line block ×4, first 2 shown]
	s_wait_loadcnt 0x1
	v_xor_b32_e32 v26, 0x80000000, v77
	v_pk_fma_f32 v[16:17], v[46:47], v[30:31], v[16:17] op_sel_hi:[1,0,1]
	v_pk_fma_f32 v[12:13], v[72:73], v[30:31], v[12:13] op_sel_hi:[1,0,1]
	;; [unrolled: 1-line block ×4, first 2 shown]
	v_mov_b32_e32 v27, v76
	s_wait_loadcnt 0x0
	v_pk_fma_f32 v[16:17], v[34:35], v[82:83], v[16:17] op_sel_hi:[1,0,1]
	v_pk_fma_f32 v[12:13], v[22:23], v[82:83], v[12:13] op_sel_hi:[1,0,1]
	;; [unrolled: 1-line block ×4, first 2 shown]
	s_delay_alu instid0(VALU_DEP_4) | instskip(NEXT) | instid1(VALU_DEP_4)
	v_pk_fma_f32 v[16:17], v[34:35], v[82:83], v[16:17] op_sel:[1,1,0] op_sel_hi:[0,1,1] neg_lo:[1,0,0]
	v_pk_fma_f32 v[12:13], v[22:23], v[82:83], v[12:13] op_sel:[1,1,0] op_sel_hi:[0,1,1] neg_lo:[1,0,0]
	s_delay_alu instid0(VALU_DEP_4) | instskip(NEXT) | instid1(VALU_DEP_4)
	v_pk_fma_f32 v[14:15], v[50:51], v[82:83], v[14:15] op_sel:[1,1,0] op_sel_hi:[0,1,1] neg_lo:[1,0,0]
	v_pk_fma_f32 v[10:11], v[74:75], v[82:83], v[10:11] op_sel:[1,1,0] op_sel_hi:[0,1,1] neg_lo:[1,0,0]
	v_mov_b32_e32 v22, v85
	v_pk_fma_f32 v[16:17], v[36:37], v[84:85], v[16:17] op_sel_hi:[1,0,1]
	v_pk_fma_f32 v[12:13], v[24:25], v[84:85], v[12:13] op_sel_hi:[1,0,1]
	;; [unrolled: 1-line block ×4, first 2 shown]
	s_delay_alu instid0(VALU_DEP_4) | instskip(NEXT) | instid1(VALU_DEP_4)
	v_pk_fma_f32 v[16:17], v[70:71], v[22:23], v[16:17] op_sel_hi:[1,0,1]
	v_pk_fma_f32 v[14:15], v[54:55], v[22:23], v[12:13] op_sel_hi:[1,0,1]
	s_delay_alu instid0(VALU_DEP_4) | instskip(NEXT) | instid1(VALU_DEP_4)
	v_pk_fma_f32 v[12:13], v[64:65], v[22:23], v[24:25] op_sel_hi:[1,0,1]
	v_pk_fma_f32 v[10:11], v[26:27], v[22:23], v[10:11] op_sel_hi:[1,0,1]
	s_and_not1_b32 exec_lo, exec_lo, s10
	s_cbranch_execnz .LBB12_17
; %bb.18:
	s_or_b32 exec_lo, exec_lo, s10
.LBB12_19:
	s_delay_alu instid0(SALU_CYCLE_1)
	s_or_b32 exec_lo, exec_lo, s7
.LBB12_20:
	s_delay_alu instid0(SALU_CYCLE_1)
	s_or_b32 exec_lo, exec_lo, s6
	s_cbranch_execz .LBB12_22
	s_branch .LBB12_33
.LBB12_21:
                                        ; implicit-def: $vgpr17
                                        ; implicit-def: $vgpr11
                                        ; implicit-def: $vgpr13
                                        ; implicit-def: $vgpr15
.LBB12_22:
	v_dual_mov_b32 v17, 0 :: v_dual_mov_b32 v16, 0
	v_dual_mov_b32 v11, 0 :: v_dual_mov_b32 v10, 0
	;; [unrolled: 1-line block ×4, first 2 shown]
	s_and_saveexec_b32 s6, s3
	s_cbranch_execz .LBB12_32
; %bb.23:
	v_add_nc_u32_e32 v10, v20, v7
	v_not_b32_e32 v11, v20
	v_mov_b64_e32 v[16:17], 0
	v_mov_b64_e32 v[12:13], 0
	v_mov_b64_e32 v[14:15], 0
	v_subrev_nc_u32_e32 v10, s12, v10
	s_mov_b32 s3, exec_lo
	s_delay_alu instid0(VALU_DEP_1) | instskip(NEXT) | instid1(VALU_DEP_1)
	v_add_max_i32_e64 v10, v10, 16, v1
	v_add3_u32 v10, s12, v10, v11
	s_delay_alu instid0(VALU_DEP_1) | instskip(SKIP_1) | instid1(VALU_DEP_2)
	v_sub_nc_u32_e32 v18, v10, v7
	v_mov_b64_e32 v[10:11], 0
	v_and_b32_e32 v19, 48, v18
	s_delay_alu instid0(VALU_DEP_1)
	v_cmpx_ne_u32_e32 48, v19
	s_cbranch_execz .LBB12_27
; %bb.24:
	v_dual_lshrrev_b32 v10, 4, v18 :: v_dual_mov_b32 v14, 0
	s_mov_b32 s7, 0
	s_delay_alu instid0(VALU_DEP_1) | instskip(SKIP_2) | instid1(VALU_DEP_3)
	v_dual_mov_b32 v15, v14 :: v_dual_add_nc_u32 v10, 1, v10
	v_dual_mov_b32 v12, v14 :: v_dual_mov_b32 v13, v14
	v_dual_mov_b32 v11, v14 :: v_dual_mov_b32 v16, v14
	v_dual_mov_b32 v10, v14 :: v_dual_bitop2_b32 v17, 3, v10 bitop3:0x40
	s_delay_alu instid0(VALU_DEP_1)
	v_dual_sub_nc_u32 v19, 0, v17 :: v_dual_mov_b32 v17, v14
.LBB12_25:                              ; =>This Inner Loop Header: Depth=1
	global_load_b32 v48, v0, s[8:9] scale_offset
	s_clause 0x6
	global_load_b128 v[20:23], v[8:9], off offset:48
	global_load_b128 v[24:27], v[8:9], off offset:32
	;; [unrolled: 1-line block ×3, first 2 shown]
	global_load_b128 v[32:35], v[8:9], off
	global_load_b128 v[36:39], v[8:9], off offset:96
	global_load_b128 v[40:43], v[8:9], off offset:80
	;; [unrolled: 1-line block ×3, first 2 shown]
	s_wait_xcnt 0x7
	v_add_nc_u32_e32 v0, 16, v0
	v_add_co_u32 v19, s10, v19, 1
	s_or_b32 s7, s10, s7
	s_wait_loadcnt 0x7
	v_subrev_nc_u32_e32 v48, s12, v48
	s_wait_loadcnt 0x6
	v_xor_b32_e32 v70, 0x80000000, v23
	s_wait_loadcnt 0x5
	v_xor_b32_e32 v62, 0x80000000, v27
	;; [unrolled: 2-line block ×3, first 2 shown]
	v_dual_mov_b32 v71, v22 :: v_dual_lshlrev_b32 v48, 2, v48
	s_wait_loadcnt 0x2
	v_dual_mov_b32 v67, v38 :: v_dual_mov_b32 v69, v30
	s_wait_loadcnt 0x1
	v_mov_b32_e32 v73, v42
	s_wait_loadcnt 0x0
	v_xor_b32_e32 v64, 0x80000000, v47
	v_dual_ashrrev_i32 v49, 31, v48 :: v_dual_mov_b32 v63, v26
	v_mov_b32_e32 v65, v46
	v_xor_b32_e32 v72, 0x80000000, v43
	v_xor_b32_e32 v66, 0x80000000, v39
	s_wait_kmcnt 0x0
	v_lshl_add_u64 v[60:61], v[48:49], 3, s[4:5]
	s_clause 0x1
	global_load_b128 v[48:51], v[60:61], off offset:16
	global_load_b128 v[52:55], v[60:61], off
	global_load_b128 v[56:59], v[8:9], off offset:112
	s_wait_xcnt 0x1
	v_xor_b32_e32 v60, 0x80000000, v35
	v_mov_b32_e32 v61, v34
	s_wait_xcnt 0x0
	v_add_nc_u64_e32 v[8:9], 0x800, v[8:9]
	s_wait_loadcnt 0x1
	v_pk_fma_f32 v[16:17], v[32:33], v[52:53], v[16:17] op_sel_hi:[1,0,1]
	v_pk_fma_f32 v[14:15], v[34:35], v[52:53], v[14:15] op_sel_hi:[1,0,1]
	;; [unrolled: 1-line block ×4, first 2 shown]
	s_wait_loadcnt 0x0
	v_dual_mov_b32 v75, v58 :: v_dual_mov_b32 v76, v55
	v_pk_fma_f32 v[16:17], v[32:33], v[52:53], v[16:17] op_sel:[1,1,0] op_sel_hi:[0,1,1] neg_lo:[1,0,0]
	v_pk_fma_f32 v[14:15], v[60:61], v[52:53], v[14:15] op_sel:[0,1,0]
	v_pk_fma_f32 v[12:13], v[28:29], v[52:53], v[12:13] op_sel:[1,1,0] op_sel_hi:[0,1,1] neg_lo:[1,0,0]
	v_pk_fma_f32 v[10:11], v[68:69], v[52:53], v[10:11] op_sel:[0,1,0]
	v_xor_b32_e32 v74, 0x80000000, v59
	v_pk_fma_f32 v[16:17], v[24:25], v[54:55], v[16:17] op_sel_hi:[1,0,1]
	v_pk_fma_f32 v[14:15], v[26:27], v[54:55], v[14:15] op_sel_hi:[1,0,1]
	;; [unrolled: 1-line block ×4, first 2 shown]
	v_mov_b32_e32 v30, v51
	v_pk_fma_f32 v[16:17], v[24:25], v[76:77], v[16:17] op_sel:[1,0,0] op_sel_hi:[0,0,1] neg_lo:[1,0,0]
	v_pk_fma_f32 v[14:15], v[62:63], v[76:77], v[14:15] op_sel_hi:[1,0,1]
	v_pk_fma_f32 v[12:13], v[20:21], v[76:77], v[12:13] op_sel:[1,0,0] op_sel_hi:[0,0,1] neg_lo:[1,0,0]
	v_pk_fma_f32 v[10:11], v[70:71], v[76:77], v[10:11] op_sel_hi:[1,0,1]
	s_delay_alu instid0(VALU_DEP_4) | instskip(NEXT) | instid1(VALU_DEP_4)
	v_pk_fma_f32 v[16:17], v[44:45], v[48:49], v[16:17] op_sel_hi:[1,0,1]
	v_pk_fma_f32 v[14:15], v[46:47], v[48:49], v[14:15] op_sel_hi:[1,0,1]
	s_delay_alu instid0(VALU_DEP_4) | instskip(NEXT) | instid1(VALU_DEP_4)
	v_pk_fma_f32 v[12:13], v[40:41], v[48:49], v[12:13] op_sel_hi:[1,0,1]
	v_pk_fma_f32 v[10:11], v[42:43], v[48:49], v[10:11] op_sel_hi:[1,0,1]
	s_delay_alu instid0(VALU_DEP_4) | instskip(NEXT) | instid1(VALU_DEP_4)
	v_pk_fma_f32 v[16:17], v[44:45], v[48:49], v[16:17] op_sel:[1,1,0] op_sel_hi:[0,1,1] neg_lo:[1,0,0]
	v_pk_fma_f32 v[14:15], v[64:65], v[48:49], v[14:15] op_sel:[0,1,0]
	s_delay_alu instid0(VALU_DEP_4) | instskip(NEXT) | instid1(VALU_DEP_4)
	v_pk_fma_f32 v[12:13], v[40:41], v[48:49], v[12:13] op_sel:[1,1,0] op_sel_hi:[0,1,1] neg_lo:[1,0,0]
	v_pk_fma_f32 v[10:11], v[72:73], v[48:49], v[10:11] op_sel:[0,1,0]
	s_delay_alu instid0(VALU_DEP_4) | instskip(NEXT) | instid1(VALU_DEP_4)
	v_pk_fma_f32 v[16:17], v[36:37], v[50:51], v[16:17] op_sel_hi:[1,0,1]
	v_pk_fma_f32 v[14:15], v[38:39], v[50:51], v[14:15] op_sel_hi:[1,0,1]
	s_delay_alu instid0(VALU_DEP_4) | instskip(NEXT) | instid1(VALU_DEP_4)
	v_pk_fma_f32 v[12:13], v[56:57], v[50:51], v[12:13] op_sel_hi:[1,0,1]
	v_pk_fma_f32 v[10:11], v[58:59], v[50:51], v[10:11] op_sel_hi:[1,0,1]
	s_delay_alu instid0(VALU_DEP_4) | instskip(NEXT) | instid1(VALU_DEP_4)
	v_pk_fma_f32 v[16:17], v[36:37], v[30:31], v[16:17] op_sel:[1,0,0] op_sel_hi:[0,0,1] neg_lo:[1,0,0]
	v_pk_fma_f32 v[14:15], v[66:67], v[30:31], v[14:15] op_sel_hi:[1,0,1]
	s_delay_alu instid0(VALU_DEP_4) | instskip(NEXT) | instid1(VALU_DEP_4)
	v_pk_fma_f32 v[12:13], v[56:57], v[30:31], v[12:13] op_sel:[1,0,0] op_sel_hi:[0,0,1] neg_lo:[1,0,0]
	v_pk_fma_f32 v[10:11], v[74:75], v[30:31], v[10:11] op_sel_hi:[1,0,1]
	s_and_not1_b32 exec_lo, exec_lo, s7
	s_cbranch_execnz .LBB12_25
; %bb.26:
	s_or_b32 exec_lo, exec_lo, s7
.LBB12_27:
	s_delay_alu instid0(SALU_CYCLE_1) | instskip(NEXT) | instid1(SALU_CYCLE_1)
	s_or_b32 exec_lo, exec_lo, s3
	s_mov_b32 s3, exec_lo
	v_cmpx_lt_u32_e32 47, v18
	s_cbranch_execz .LBB12_31
; %bb.28:
	s_mov_b32 s7, 0
.LBB12_29:                              ; =>This Inner Loop Header: Depth=1
	global_load_b32 v98, v0, s[8:9] scale_offset
	s_clause 0xb
	global_load_b128 v[18:21], v[8:9], off
	global_load_b128 v[22:25], v[8:9], off offset:16
	global_load_b128 v[26:29], v[8:9], off offset:48
	;; [unrolled: 1-line block ×11, first 2 shown]
	s_clause 0x2
	global_load_b32 v112, v0, s[8:9] offset:64 scale_offset
	global_load_b32 v113, v0, s[8:9] offset:128 scale_offset
	;; [unrolled: 1-line block ×3, first 2 shown]
	s_clause 0x7
	global_load_b128 v[66:69], v[8:9], off offset:2160
	global_load_b128 v[70:73], v[8:9], off offset:2144
	;; [unrolled: 1-line block ×8, first 2 shown]
	s_wait_xcnt 0x8
	v_add_nc_u32_e32 v0, 64, v0
	s_delay_alu instid0(VALU_DEP_1)
	v_cmp_ge_i32_e32 vcc_lo, v0, v1
	s_or_b32 s7, vcc_lo, s7
	s_wait_loadcnt 0x17
	v_subrev_nc_u32_e32 v98, s12, v98
	s_wait_loadcnt 0x16
	v_mov_b32_e32 v107, v20
	v_xor_b32_e32 v106, 0x80000000, v21
	s_wait_loadcnt 0x13
	v_xor_b32_e32 v110, 0x80000000, v33
	v_dual_mov_b32 v111, v32 :: v_dual_lshlrev_b32 v98, 2, v98
	s_wait_loadcnt 0xd
	s_delay_alu instid0(VALU_DEP_1) | instskip(SKIP_2) | instid1(VALU_DEP_2)
	v_dual_ashrrev_i32 v99, 31, v98 :: v_dual_mov_b32 v115, v56
	v_xor_b32_e32 v114, 0x80000000, v57
	s_wait_kmcnt 0x0
	v_lshl_add_u64 v[108:109], v[98:99], 3, s[4:5]
	s_clause 0x1
	global_load_b128 v[98:101], v[108:109], off
	global_load_b128 v[102:105], v[108:109], off offset:16
	s_wait_loadcnt 0x1
	v_pk_fma_f32 v[16:17], v[18:19], v[98:99], v[16:17] op_sel_hi:[1,0,1]
	v_pk_fma_f32 v[20:21], v[20:21], v[98:99], v[14:15] op_sel_hi:[1,0,1]
	v_pk_fma_f32 v[12:13], v[22:23], v[98:99], v[12:13] op_sel_hi:[1,0,1]
	s_wait_xcnt 0x0
	s_delay_alu instid0(VALU_DEP_3)
	v_pk_fma_f32 v[108:109], v[18:19], v[98:99], v[16:17] op_sel:[1,1,0] op_sel_hi:[0,1,1] neg_lo:[1,0,0]
	v_xor_b32_e32 v18, 0x80000000, v25
	v_mov_b32_e32 v19, v24
	v_pk_fma_f32 v[24:25], v[24:25], v[98:99], v[10:11] op_sel_hi:[1,0,1]
	v_pk_fma_f32 v[22:23], v[22:23], v[98:99], v[12:13] op_sel:[1,1,0] op_sel_hi:[0,1,1] neg_lo:[1,0,0]
	v_pk_fma_f32 v[106:107], v[106:107], v[98:99], v[20:21] op_sel:[0,1,0]
	s_clause 0x1
	global_load_b128 v[14:17], v[8:9], off offset:4208
	global_load_b128 v[10:13], v[8:9], off offset:4192
	v_pk_fma_f32 v[24:25], v[18:19], v[98:99], v[24:25] op_sel:[0,1,0]
	v_pk_fma_f32 v[98:99], v[30:31], v[100:101], v[108:109] op_sel_hi:[1,0,1]
	v_pk_fma_f32 v[106:107], v[32:33], v[100:101], v[106:107] op_sel_hi:[1,0,1]
	;; [unrolled: 1-line block ×3, first 2 shown]
	v_xor_b32_e32 v32, 0x80000000, v29
	v_pk_fma_f32 v[108:109], v[28:29], v[100:101], v[24:25] op_sel_hi:[1,0,1]
	v_dual_mov_b32 v100, v101 :: v_dual_mov_b32 v33, v28
	global_load_b128 v[18:21], v[8:9], off offset:4176
	v_pk_fma_f32 v[30:31], v[30:31], v[100:101], v[98:99] op_sel:[1,0,0] op_sel_hi:[0,0,1] neg_lo:[1,0,0]
	v_pk_fma_f32 v[98:99], v[26:27], v[100:101], v[22:23] op_sel:[1,0,0] op_sel_hi:[0,0,1] neg_lo:[1,0,0]
	v_pk_fma_f32 v[106:107], v[110:111], v[100:101], v[106:107] op_sel_hi:[1,0,1]
	v_pk_fma_f32 v[100:101], v[32:33], v[100:101], v[108:109] op_sel_hi:[1,0,1]
	v_xor_b32_e32 v108, 0x80000000, v49
	s_wait_loadcnt 0x3
	v_pk_fma_f32 v[30:31], v[46:47], v[102:103], v[30:31] op_sel_hi:[1,0,1]
	v_mov_b32_e32 v109, v48
	v_pk_fma_f32 v[48:49], v[48:49], v[102:103], v[106:107] op_sel_hi:[1,0,1]
	v_pk_fma_f32 v[98:99], v[42:43], v[102:103], v[98:99] op_sel_hi:[1,0,1]
	;; [unrolled: 1-line block ×3, first 2 shown]
	v_pk_fma_f32 v[106:107], v[46:47], v[102:103], v[30:31] op_sel:[1,1,0] op_sel_hi:[0,1,1] neg_lo:[1,0,0]
	v_xor_b32_e32 v46, 0x80000000, v45
	v_mov_b32_e32 v47, v44
	v_pk_fma_f32 v[98:99], v[42:43], v[102:103], v[98:99] op_sel:[1,1,0] op_sel_hi:[0,1,1] neg_lo:[1,0,0]
	v_pk_fma_f32 v[108:109], v[108:109], v[102:103], v[48:49] op_sel:[0,1,0]
	v_xor_b32_e32 v110, 0x80000000, v65
	global_load_b128 v[22:25], v[8:9], off offset:4160
	v_pk_fma_f32 v[100:101], v[46:47], v[102:103], v[100:101] op_sel:[0,1,0]
	v_pk_fma_f32 v[102:103], v[38:39], v[104:105], v[106:107] op_sel_hi:[1,0,1]
	v_pk_fma_f32 v[106:107], v[40:41], v[104:105], v[108:109] op_sel_hi:[1,0,1]
	v_pk_fma_f32 v[98:99], v[34:35], v[104:105], v[98:99] op_sel_hi:[1,0,1]
	v_xor_b32_e32 v108, 0x80000000, v41
	v_pk_fma_f32 v[100:101], v[36:37], v[104:105], v[100:101] op_sel_hi:[1,0,1]
	v_dual_mov_b32 v104, v105 :: v_dual_mov_b32 v109, v40
	s_clause 0x3
	global_load_b128 v[42:45], v[8:9], off offset:6160
	global_load_b128 v[46:49], v[8:9], off offset:6144
	;; [unrolled: 1-line block ×4, first 2 shown]
	v_pk_fma_f32 v[102:103], v[38:39], v[104:105], v[102:103] op_sel:[1,0,0] op_sel_hi:[0,0,1] neg_lo:[1,0,0]
	v_xor_b32_e32 v38, 0x80000000, v37
	v_subrev_nc_u32_e32 v37, s12, v112
	v_mov_b32_e32 v111, v64
	v_pk_fma_f32 v[98:99], v[34:35], v[104:105], v[98:99] op_sel:[1,0,0] op_sel_hi:[0,0,1] neg_lo:[1,0,0]
	v_mov_b32_e32 v39, v36
	v_pk_fma_f32 v[106:107], v[108:109], v[104:105], v[106:107] op_sel_hi:[1,0,1]
	v_lshlrev_b32_e32 v34, 2, v37
	s_delay_alu instid0(VALU_DEP_3) | instskip(NEXT) | instid1(VALU_DEP_2)
	v_pk_fma_f32 v[100:101], v[38:39], v[104:105], v[100:101] op_sel_hi:[1,0,1]
	v_ashrrev_i32_e32 v35, 31, v34
	s_delay_alu instid0(VALU_DEP_1)
	v_lshl_add_u64 v[40:41], v[34:35], 3, s[4:5]
	s_clause 0x1
	global_load_b128 v[34:37], v[40:41], off
	global_load_b128 v[38:41], v[40:41], off offset:16
	s_wait_loadcnt 0x1
	v_pk_fma_f32 v[98:99], v[58:59], v[34:35], v[98:99] op_sel_hi:[1,0,1]
	v_pk_fma_f32 v[104:105], v[64:65], v[34:35], v[106:107] op_sel_hi:[1,0,1]
	;; [unrolled: 1-line block ×3, first 2 shown]
	v_xor_b32_e32 v106, 0x80000000, v61
	v_mov_b32_e32 v107, v60
	v_pk_fma_f32 v[108:109], v[58:59], v[34:35], v[98:99] op_sel:[1,1,0] op_sel_hi:[0,1,1] neg_lo:[1,0,0]
	v_subrev_nc_u32_e32 v98, s12, v113
	v_pk_fma_f32 v[104:105], v[110:111], v[34:35], v[104:105] op_sel:[0,1,0]
	v_mov_b32_e32 v110, v37
	v_pk_fma_f32 v[100:101], v[60:61], v[34:35], v[100:101] op_sel_hi:[1,0,1]
	v_pk_fma_f32 v[102:103], v[62:63], v[34:35], v[102:103] op_sel:[1,1,0] op_sel_hi:[0,1,1] neg_lo:[1,0,0]
	v_lshlrev_b32_e32 v98, 2, v98
	global_load_b128 v[62:65], v[8:9], off offset:6240
	v_pk_fma_f32 v[104:105], v[56:57], v[36:37], v[104:105] op_sel_hi:[1,0,1]
	v_pk_fma_f32 v[34:35], v[106:107], v[34:35], v[100:101] op_sel:[0,1,0]
	v_pk_fma_f32 v[102:103], v[54:55], v[36:37], v[102:103] op_sel_hi:[1,0,1]
	v_ashrrev_i32_e32 v99, 31, v98
	v_pk_fma_f32 v[106:107], v[50:51], v[36:37], v[108:109] op_sel_hi:[1,0,1]
	v_mov_b32_e32 v57, v52
	v_pk_fma_f32 v[108:109], v[52:53], v[36:37], v[34:35] op_sel_hi:[1,0,1]
	v_subrev_nc_u32_e32 v52, s12, v116
	v_lshl_add_u64 v[112:113], v[98:99], 3, s[4:5]
	v_xor_b32_e32 v56, 0x80000000, v53
	v_pk_fma_f32 v[106:107], v[50:51], v[110:111], v[106:107] op_sel:[1,0,0] op_sel_hi:[0,0,1] neg_lo:[1,0,0]
	v_pk_fma_f32 v[54:55], v[54:55], v[110:111], v[102:103] op_sel:[1,0,0] op_sel_hi:[0,0,1] neg_lo:[1,0,0]
	v_lshlrev_b32_e32 v50, 2, v52
	s_clause 0x1
	global_load_b128 v[98:101], v[112:113], off
	global_load_b128 v[34:37], v[112:113], off offset:16
	v_mov_b32_e32 v103, v80
	v_pk_fma_f32 v[104:105], v[114:115], v[110:111], v[104:105] op_sel_hi:[1,0,1]
	v_pk_fma_f32 v[108:109], v[56:57], v[110:111], v[108:109] op_sel_hi:[1,0,1]
	v_dual_mov_b32 v111, v76 :: v_dual_ashrrev_i32 v51, 31, v50
	s_wait_loadcnt 0x3
	v_pk_fma_f32 v[54:55], v[78:79], v[38:39], v[54:55] op_sel_hi:[1,0,1]
	global_load_b128 v[58:61], v[8:9], off offset:6208
	v_xor_b32_e32 v102, 0x80000000, v81
	v_pk_fma_f32 v[80:81], v[80:81], v[38:39], v[104:105] op_sel_hi:[1,0,1]
	s_wait_xcnt 0x1
	v_lshl_add_u64 v[112:113], v[50:51], 3, s[4:5]
	v_pk_fma_f32 v[104:105], v[78:79], v[38:39], v[54:55] op_sel:[1,1,0] op_sel_hi:[0,1,1] neg_lo:[1,0,0]
	v_pk_fma_f32 v[78:79], v[74:75], v[38:39], v[106:107] op_sel_hi:[1,0,1]
	global_load_b128 v[54:57], v[8:9], off offset:6224
	v_xor_b32_e32 v110, 0x80000000, v77
	global_load_b128 v[50:53], v[112:113], off
	v_pk_fma_f32 v[106:107], v[76:77], v[38:39], v[108:109] op_sel_hi:[1,0,1]
	v_pk_fma_f32 v[108:109], v[74:75], v[38:39], v[78:79] op_sel:[1,1,0] op_sel_hi:[0,1,1] neg_lo:[1,0,0]
	global_load_b128 v[74:77], v[112:113], off offset:16
	v_pk_fma_f32 v[102:103], v[102:103], v[38:39], v[80:81] op_sel:[0,1,0]
	global_load_b128 v[78:81], v[8:9], off offset:6256
	v_pk_fma_f32 v[38:39], v[110:111], v[38:39], v[106:107] op_sel:[0,1,0]
	v_xor_b32_e32 v106, 0x80000000, v73
	v_mov_b32_e32 v107, v72
	v_pk_fma_f32 v[104:105], v[70:71], v[40:41], v[104:105] op_sel_hi:[1,0,1]
	v_pk_fma_f32 v[72:73], v[72:73], v[40:41], v[102:103] op_sel_hi:[1,0,1]
	;; [unrolled: 1-line block ×4, first 2 shown]
	v_mov_b32_e32 v40, v41
	v_xor_b32_e32 v108, 0x80000000, v69
	v_mov_b32_e32 v109, v68
	v_xor_b32_e32 v110, 0x80000000, v85
	v_mov_b32_e32 v111, v84
	v_pk_fma_f32 v[68:69], v[70:71], v[40:41], v[104:105] op_sel:[1,0,0] op_sel_hi:[0,0,1] neg_lo:[1,0,0]
	v_mov_b32_e32 v71, v96
	v_pk_fma_f32 v[66:67], v[66:67], v[40:41], v[102:103] op_sel:[1,0,0] op_sel_hi:[0,0,1] neg_lo:[1,0,0]
	v_pk_fma_f32 v[72:73], v[106:107], v[40:41], v[72:73] op_sel_hi:[1,0,1]
	v_pk_fma_f32 v[38:39], v[108:109], v[40:41], v[38:39] op_sel_hi:[1,0,1]
	v_xor_b32_e32 v70, 0x80000000, v97
	v_xor_b32_e32 v104, 0x80000000, v93
	v_dual_mov_b32 v105, v92 :: v_dual_mov_b32 v103, v88
	v_xor_b32_e32 v102, 0x80000000, v89
	v_mov_b32_e32 v107, v24
	v_xor_b32_e32 v106, 0x80000000, v25
	v_dual_mov_b32 v41, v12 :: v_dual_mov_b32 v109, v20
	v_xor_b32_e32 v108, 0x80000000, v21
	v_xor_b32_e32 v40, 0x80000000, v13
	s_wait_xcnt 0x0
	v_add_nc_u64_e32 v[8:9], 0x2000, v[8:9]
	s_wait_loadcnt 0x6
	v_pk_fma_f32 v[68:69], v[94:95], v[98:99], v[68:69] op_sel_hi:[1,0,1]
	v_pk_fma_f32 v[72:73], v[96:97], v[98:99], v[72:73] op_sel_hi:[1,0,1]
	;; [unrolled: 1-line block ×4, first 2 shown]
	v_mov_b32_e32 v97, v48
	v_pk_fma_f32 v[68:69], v[94:95], v[98:99], v[68:69] op_sel:[1,1,0] op_sel_hi:[0,1,1] neg_lo:[1,0,0]
	v_pk_fma_f32 v[70:71], v[70:71], v[98:99], v[72:73] op_sel:[0,1,0]
	v_pk_fma_f32 v[66:67], v[90:91], v[98:99], v[66:67] op_sel:[1,1,0] op_sel_hi:[0,1,1] neg_lo:[1,0,0]
	v_pk_fma_f32 v[38:39], v[104:105], v[98:99], v[38:39] op_sel:[0,1,0]
	v_dual_mov_b32 v98, v101 :: v_dual_mov_b32 v73, v64
	v_pk_fma_f32 v[68:69], v[86:87], v[100:101], v[68:69] op_sel_hi:[1,0,1]
	v_pk_fma_f32 v[70:71], v[88:89], v[100:101], v[70:71] op_sel_hi:[1,0,1]
	;; [unrolled: 1-line block ×4, first 2 shown]
	v_xor_b32_e32 v94, 0x80000000, v17
	v_pk_fma_f32 v[68:69], v[86:87], v[98:99], v[68:69] op_sel:[1,0,0] op_sel_hi:[0,0,1] neg_lo:[1,0,0]
	v_pk_fma_f32 v[70:71], v[102:103], v[98:99], v[70:71] op_sel_hi:[1,0,1]
	v_pk_fma_f32 v[66:67], v[82:83], v[98:99], v[66:67] op_sel:[1,0,0] op_sel_hi:[0,0,1] neg_lo:[1,0,0]
	v_pk_fma_f32 v[38:39], v[110:111], v[98:99], v[38:39] op_sel_hi:[1,0,1]
	v_mov_b32_e32 v95, v16
	s_wait_loadcnt 0x5
	v_pk_fma_f32 v[68:69], v[22:23], v[34:35], v[68:69] op_sel_hi:[1,0,1]
	v_pk_fma_f32 v[24:25], v[24:25], v[34:35], v[70:71] op_sel_hi:[1,0,1]
	;; [unrolled: 1-line block ×4, first 2 shown]
	v_mov_b32_e32 v83, v44
	v_pk_fma_f32 v[22:23], v[22:23], v[34:35], v[68:69] op_sel:[1,1,0] op_sel_hi:[0,1,1] neg_lo:[1,0,0]
	v_pk_fma_f32 v[24:25], v[106:107], v[34:35], v[24:25] op_sel:[0,1,0]
	v_pk_fma_f32 v[18:19], v[18:19], v[34:35], v[66:67] op_sel:[1,1,0] op_sel_hi:[0,1,1] neg_lo:[1,0,0]
	v_pk_fma_f32 v[20:21], v[108:109], v[34:35], v[20:21] op_sel:[0,1,0]
	v_mov_b32_e32 v34, v37
	v_pk_fma_f32 v[22:23], v[10:11], v[36:37], v[22:23] op_sel_hi:[1,0,1]
	v_pk_fma_f32 v[12:13], v[12:13], v[36:37], v[24:25] op_sel_hi:[1,0,1]
	;; [unrolled: 1-line block ×4, first 2 shown]
	v_xor_b32_e32 v96, 0x80000000, v49
	v_pk_fma_f32 v[10:11], v[10:11], v[34:35], v[22:23] op_sel:[1,0,0] op_sel_hi:[0,0,1] neg_lo:[1,0,0]
	v_pk_fma_f32 v[12:13], v[40:41], v[34:35], v[12:13] op_sel_hi:[1,0,1]
	v_pk_fma_f32 v[14:15], v[14:15], v[34:35], v[18:19] op_sel:[1,0,0] op_sel_hi:[0,0,1] neg_lo:[1,0,0]
	v_pk_fma_f32 v[16:17], v[94:95], v[34:35], v[16:17] op_sel_hi:[1,0,1]
	v_xor_b32_e32 v82, 0x80000000, v45
	s_wait_loadcnt 0x2
	v_pk_fma_f32 v[10:11], v[46:47], v[50:51], v[10:11] op_sel_hi:[1,0,1]
	v_pk_fma_f32 v[12:13], v[48:49], v[50:51], v[12:13] op_sel_hi:[1,0,1]
	;; [unrolled: 1-line block ×4, first 2 shown]
	v_xor_b32_e32 v90, 0x80000000, v33
	v_pk_fma_f32 v[10:11], v[46:47], v[50:51], v[10:11] op_sel:[1,1,0] op_sel_hi:[0,1,1] neg_lo:[1,0,0]
	v_pk_fma_f32 v[12:13], v[96:97], v[50:51], v[12:13] op_sel:[0,1,0]
	v_pk_fma_f32 v[14:15], v[42:43], v[50:51], v[14:15] op_sel:[1,1,0] op_sel_hi:[0,1,1] neg_lo:[1,0,0]
	v_pk_fma_f32 v[16:17], v[82:83], v[50:51], v[16:17] op_sel:[0,1,0]
	v_dual_mov_b32 v91, v32 :: v_dual_mov_b32 v93, v60
	v_xor_b32_e32 v20, 0x80000000, v29
	v_dual_mov_b32 v21, v28 :: v_dual_mov_b32 v22, v53
	v_pk_fma_f32 v[10:11], v[30:31], v[52:53], v[10:11] op_sel_hi:[1,0,1]
	v_pk_fma_f32 v[12:13], v[32:33], v[52:53], v[12:13] op_sel_hi:[1,0,1]
	;; [unrolled: 1-line block ×4, first 2 shown]
	v_xor_b32_e32 v92, 0x80000000, v61
	v_pk_fma_f32 v[10:11], v[30:31], v[22:23], v[10:11] op_sel:[1,0,0] op_sel_hi:[0,0,1] neg_lo:[1,0,0]
	v_pk_fma_f32 v[12:13], v[90:91], v[22:23], v[12:13] op_sel_hi:[1,0,1]
	v_pk_fma_f32 v[14:15], v[26:27], v[22:23], v[14:15] op_sel:[1,0,0] op_sel_hi:[0,0,1] neg_lo:[1,0,0]
	v_pk_fma_f32 v[16:17], v[20:21], v[22:23], v[16:17] op_sel_hi:[1,0,1]
	v_xor_b32_e32 v18, 0x80000000, v57
	s_wait_loadcnt 0x0
	v_dual_mov_b32 v19, v56 :: v_dual_mov_b32 v21, v80
	v_pk_fma_f32 v[10:11], v[58:59], v[74:75], v[10:11] op_sel_hi:[1,0,1]
	v_pk_fma_f32 v[12:13], v[60:61], v[74:75], v[12:13] op_sel_hi:[1,0,1]
	;; [unrolled: 1-line block ×4, first 2 shown]
	v_xor_b32_e32 v72, 0x80000000, v65
	v_pk_fma_f32 v[10:11], v[58:59], v[74:75], v[10:11] op_sel:[1,1,0] op_sel_hi:[0,1,1] neg_lo:[1,0,0]
	v_pk_fma_f32 v[12:13], v[92:93], v[74:75], v[12:13] op_sel:[0,1,0]
	v_pk_fma_f32 v[14:15], v[54:55], v[74:75], v[14:15] op_sel:[1,1,0] op_sel_hi:[0,1,1] neg_lo:[1,0,0]
	v_pk_fma_f32 v[16:17], v[18:19], v[74:75], v[16:17] op_sel:[0,1,0]
	v_xor_b32_e32 v20, 0x80000000, v81
	v_mov_b32_e32 v18, v77
	v_pk_fma_f32 v[10:11], v[62:63], v[76:77], v[10:11] op_sel_hi:[1,0,1]
	v_pk_fma_f32 v[12:13], v[64:65], v[76:77], v[12:13] op_sel_hi:[1,0,1]
	;; [unrolled: 1-line block ×4, first 2 shown]
	s_delay_alu instid0(VALU_DEP_4) | instskip(NEXT) | instid1(VALU_DEP_4)
	v_pk_fma_f32 v[16:17], v[62:63], v[18:19], v[10:11] op_sel:[1,0,0] op_sel_hi:[0,0,1] neg_lo:[1,0,0]
	v_pk_fma_f32 v[14:15], v[72:73], v[18:19], v[12:13] op_sel_hi:[1,0,1]
	s_delay_alu instid0(VALU_DEP_4) | instskip(NEXT) | instid1(VALU_DEP_4)
	v_pk_fma_f32 v[12:13], v[78:79], v[18:19], v[22:23] op_sel:[1,0,0] op_sel_hi:[0,0,1] neg_lo:[1,0,0]
	v_pk_fma_f32 v[10:11], v[20:21], v[18:19], v[24:25] op_sel_hi:[1,0,1]
	s_and_not1_b32 exec_lo, exec_lo, s7
	s_cbranch_execnz .LBB12_29
; %bb.30:
	s_or_b32 exec_lo, exec_lo, s7
.LBB12_31:
	s_delay_alu instid0(SALU_CYCLE_1)
	s_or_b32 exec_lo, exec_lo, s3
.LBB12_32:
	s_delay_alu instid0(SALU_CYCLE_1)
	s_or_b32 exec_lo, exec_lo, s6
.LBB12_33:
	v_mbcnt_lo_u32_b32 v0, -1, 0
	s_delay_alu instid0(VALU_DEP_1) | instskip(SKIP_1) | instid1(VALU_DEP_1)
	v_xor_b32_e32 v23, 4, v0
	v_xor_b32_e32 v1, 8, v0
	v_cmp_gt_i32_e32 vcc_lo, 32, v1
	v_cndmask_b32_e32 v1, v0, v1, vcc_lo
	s_delay_alu instid0(VALU_DEP_4) | instskip(SKIP_1) | instid1(VALU_DEP_1)
	v_cmp_gt_i32_e32 vcc_lo, 32, v23
	v_cndmask_b32_e32 v23, v0, v23, vcc_lo
	v_dual_lshlrev_b32 v23, 2, v23 :: v_dual_lshlrev_b32 v1, 2, v1
	ds_bpermute_b32 v8, v1, v16
	s_wait_dscnt 0x0
	v_add_f32_e32 v8, v16, v8
	ds_bpermute_b32 v9, v1, v17
	ds_bpermute_b32 v18, v1, v14
	;; [unrolled: 1-line block ×7, first 2 shown]
	s_wait_dscnt 0x5
	v_dual_add_f32 v9, v17, v9 :: v_dual_add_f32 v14, v14, v18
	s_wait_dscnt 0x3
	v_dual_add_f32 v15, v15, v19 :: v_dual_add_f32 v12, v12, v20
	;; [unrolled: 2-line block ×3, first 2 shown]
	s_wait_dscnt 0x0
	v_add_f32_e32 v1, v11, v1
	ds_bpermute_b32 v11, v23, v8
	ds_bpermute_b32 v16, v23, v9
	;; [unrolled: 1-line block ×8, first 2 shown]
	s_wait_dscnt 0x7
	v_dual_add_f32 v8, v8, v11 :: v_dual_bitop2_b32 v23, 2, v0 bitop3:0x14
	s_delay_alu instid0(VALU_DEP_1)
	v_cmp_gt_i32_e32 vcc_lo, 32, v23
	s_wait_dscnt 0x5
	v_dual_add_f32 v9, v9, v16 :: v_dual_add_f32 v11, v14, v17
	s_wait_dscnt 0x3
	v_dual_add_f32 v14, v15, v18 :: v_dual_add_f32 v12, v12, v19
	s_wait_dscnt 0x2
	v_dual_cndmask_b32 v23, v0, v23, vcc_lo :: v_dual_add_f32 v13, v13, v20
	s_wait_dscnt 0x0
	v_dual_add_f32 v15, v10, v21 :: v_dual_add_f32 v16, v1, v22
	s_delay_alu instid0(VALU_DEP_2)
	v_lshlrev_b32_e32 v23, 2, v23
	ds_bpermute_b32 v1, v23, v8
	ds_bpermute_b32 v10, v23, v9
	;; [unrolled: 1-line block ×8, first 2 shown]
	v_xor_b32_e32 v23, 1, v0
	s_delay_alu instid0(VALU_DEP_1) | instskip(SKIP_3) | instid1(VALU_DEP_2)
	v_cmp_gt_i32_e32 vcc_lo, 32, v23
	v_cndmask_b32_e32 v0, v0, v23, vcc_lo
	v_cmp_eq_u32_e32 vcc_lo, 15, v7
	s_wait_dscnt 0x7
	v_dual_add_f32 v0, v8, v1 :: v_dual_lshlrev_b32 v23, 2, v0
	s_wait_dscnt 0x5
	v_dual_add_f32 v1, v9, v10 :: v_dual_add_f32 v8, v11, v17
	s_wait_dscnt 0x3
	v_dual_add_f32 v9, v14, v18 :: v_dual_add_f32 v10, v12, v19
	;; [unrolled: 2-line block ×3, first 2 shown]
	s_wait_dscnt 0x0
	v_add_f32_e32 v13, v16, v22
	ds_bpermute_b32 v14, v23, v0
	ds_bpermute_b32 v15, v23, v1
	ds_bpermute_b32 v16, v23, v8
	ds_bpermute_b32 v17, v23, v9
	ds_bpermute_b32 v18, v23, v10
	ds_bpermute_b32 v19, v23, v11
	ds_bpermute_b32 v21, v23, v12
	ds_bpermute_b32 v23, v23, v13
	s_and_b32 exec_lo, exec_lo, vcc_lo
	s_cbranch_execz .LBB12_6
; %bb.34:
	s_load_b64 s[0:1], s[0:1], 0x50
	v_cmp_eq_f32_e32 vcc_lo, 0, v4
	s_wait_dscnt 0x6
	v_dual_add_f32 v0, v0, v14 :: v_dual_add_f32 v22, v1, v15
	s_wait_dscnt 0x4
	v_dual_add_f32 v8, v8, v16 :: v_dual_add_f32 v20, v9, v17
	;; [unrolled: 2-line block ×4, first 2 shown]
	v_xor_b32_e32 v18, 0x80000000, v3
	v_lshlrev_b32_e32 v6, 2, v6
	s_xor_b32 s2, s2, -1
	s_delay_alu instid0(SALU_CYCLE_1) | instskip(NEXT) | instid1(SALU_CYCLE_1)
	s_and_b32 s2, vcc_lo, s2
	s_and_saveexec_b32 s3, s2
	s_delay_alu instid0(SALU_CYCLE_1)
	s_xor_b32 s2, exec_lo, s3
	s_cbranch_execz .LBB12_36
; %bb.35:
	v_dual_mov_b32 v19, v2 :: v_dual_ashrrev_i32 v7, 31, v6
	s_delay_alu instid0(VALU_DEP_1)
	v_pk_mul_f32 v[4:5], v[22:23], v[18:19] op_sel_hi:[0,1]
	v_pk_mul_f32 v[20:21], v[20:21], v[18:19] op_sel_hi:[0,1]
	;; [unrolled: 1-line block ×4, first 2 shown]
	s_wait_kmcnt 0x0
	v_lshl_add_u64 v[18:19], v[6:7], 3, s[0:1]
	v_pk_fma_f32 v[4:5], v[2:3], v[0:1], v[4:5] op_sel_hi:[1,0,1]
	v_pk_fma_f32 v[6:7], v[2:3], v[8:9], v[20:21] op_sel_hi:[1,0,1]
	v_pk_fma_f32 v[0:1], v[2:3], v[10:11], v[16:17] op_sel_hi:[1,0,1]
	v_pk_fma_f32 v[2:3], v[2:3], v[12:13], v[14:15] op_sel_hi:[1,0,1]
                                        ; implicit-def: $vgpr22
                                        ; implicit-def: $vgpr8
                                        ; implicit-def: $vgpr20
                                        ; implicit-def: $vgpr10
                                        ; implicit-def: $vgpr16
                                        ; implicit-def: $vgpr12
                                        ; implicit-def: $vgpr14
	s_clause 0x1
	global_store_b128 v[18:19], v[4:7], off
	global_store_b128 v[18:19], v[0:3], off offset:16
                                        ; implicit-def: $vgpr0
                                        ; implicit-def: $vgpr2_vgpr3
                                        ; implicit-def: $vgpr4_vgpr5
                                        ; implicit-def: $vgpr18
                                        ; implicit-def: $vgpr6
.LBB12_36:
	s_wait_xcnt 0x0
	s_and_not1_saveexec_b32 s2, s2
	s_cbranch_execz .LBB12_6
; %bb.37:
	v_dual_ashrrev_i32 v7, 31, v6 :: v_dual_mov_b32 v19, v2
	s_wait_kmcnt 0x0
	s_delay_alu instid0(VALU_DEP_1) | instskip(NEXT) | instid1(VALU_DEP_2)
	v_lshl_add_u64 v[32:33], v[6:7], 3, s[0:1]
	v_pk_mul_f32 v[6:7], v[22:23], v[18:19] op_sel_hi:[0,1]
	v_pk_mul_f32 v[20:21], v[20:21], v[18:19] op_sel_hi:[0,1]
	;; [unrolled: 1-line block ×4, first 2 shown]
	s_clause 0x1
	global_load_b128 v[24:27], v[32:33], off
	global_load_b128 v[28:31], v[32:33], off offset:16
	v_pk_fma_f32 v[0:1], v[2:3], v[0:1], v[6:7] op_sel_hi:[1,0,1]
	v_pk_fma_f32 v[6:7], v[2:3], v[8:9], v[20:21] op_sel_hi:[1,0,1]
	;; [unrolled: 1-line block ×4, first 2 shown]
	v_xor_b32_e32 v22, 0x80000000, v5
	s_wait_loadcnt 0x1
	v_dual_mov_b32 v23, v4 :: v_dual_mov_b32 v10, v27
	v_pk_fma_f32 v[0:1], v[4:5], v[24:25], v[0:1] op_sel_hi:[1,0,1]
	v_pk_fma_f32 v[6:7], v[4:5], v[26:27], v[6:7] op_sel_hi:[1,0,1]
	s_wait_loadcnt 0x0
	v_pk_fma_f32 v[8:9], v[4:5], v[28:29], v[8:9] op_sel_hi:[1,0,1]
	v_pk_fma_f32 v[12:13], v[4:5], v[30:31], v[2:3] op_sel_hi:[1,0,1]
	v_mov_b32_e32 v14, v31
	v_pk_fma_f32 v[0:1], v[22:23], v[24:25], v[0:1] op_sel:[0,1,0]
	v_pk_fma_f32 v[2:3], v[22:23], v[10:11], v[6:7] op_sel_hi:[1,0,1]
	v_pk_fma_f32 v[4:5], v[22:23], v[28:29], v[8:9] op_sel:[0,1,0]
	s_delay_alu instid0(VALU_DEP_4)
	v_pk_fma_f32 v[6:7], v[22:23], v[14:15], v[12:13] op_sel_hi:[1,0,1]
	s_clause 0x1
	global_store_b128 v[32:33], v[0:3], off
	global_store_b128 v[32:33], v[4:7], off offset:16
	s_sendmsg sendmsg(MSG_DEALLOC_VGPRS)
	s_endpgm
	.section	.rodata,"a",@progbits
	.p2align	6, 0x0
	.amdhsa_kernel _ZN9rocsparseL18bsrxmvn_4x4_kernelILj128ELj16E21rocsparse_complex_numIfEiiS2_S2_S2_EEvT3_20rocsparse_direction_NS_24const_host_device_scalarIT1_EES3_PKS3_PKT2_SC_S9_PKT4_PKT5_S7_PT6_21rocsparse_index_base_b
		.amdhsa_group_segment_fixed_size 0
		.amdhsa_private_segment_fixed_size 0
		.amdhsa_kernarg_size 96
		.amdhsa_user_sgpr_count 2
		.amdhsa_user_sgpr_dispatch_ptr 0
		.amdhsa_user_sgpr_queue_ptr 0
		.amdhsa_user_sgpr_kernarg_segment_ptr 1
		.amdhsa_user_sgpr_dispatch_id 0
		.amdhsa_user_sgpr_kernarg_preload_length 0
		.amdhsa_user_sgpr_kernarg_preload_offset 0
		.amdhsa_user_sgpr_private_segment_size 0
		.amdhsa_wavefront_size32 1
		.amdhsa_uses_dynamic_stack 0
		.amdhsa_enable_private_segment 0
		.amdhsa_system_sgpr_workgroup_id_x 1
		.amdhsa_system_sgpr_workgroup_id_y 0
		.amdhsa_system_sgpr_workgroup_id_z 0
		.amdhsa_system_sgpr_workgroup_info 0
		.amdhsa_system_vgpr_workitem_id 0
		.amdhsa_next_free_vgpr 139
		.amdhsa_next_free_sgpr 16
		.amdhsa_named_barrier_count 0
		.amdhsa_reserve_vcc 1
		.amdhsa_float_round_mode_32 0
		.amdhsa_float_round_mode_16_64 0
		.amdhsa_float_denorm_mode_32 3
		.amdhsa_float_denorm_mode_16_64 3
		.amdhsa_fp16_overflow 0
		.amdhsa_memory_ordered 1
		.amdhsa_forward_progress 1
		.amdhsa_inst_pref_size 62
		.amdhsa_round_robin_scheduling 0
		.amdhsa_exception_fp_ieee_invalid_op 0
		.amdhsa_exception_fp_denorm_src 0
		.amdhsa_exception_fp_ieee_div_zero 0
		.amdhsa_exception_fp_ieee_overflow 0
		.amdhsa_exception_fp_ieee_underflow 0
		.amdhsa_exception_fp_ieee_inexact 0
		.amdhsa_exception_int_div_zero 0
	.end_amdhsa_kernel
	.section	.text._ZN9rocsparseL18bsrxmvn_4x4_kernelILj128ELj16E21rocsparse_complex_numIfEiiS2_S2_S2_EEvT3_20rocsparse_direction_NS_24const_host_device_scalarIT1_EES3_PKS3_PKT2_SC_S9_PKT4_PKT5_S7_PT6_21rocsparse_index_base_b,"axG",@progbits,_ZN9rocsparseL18bsrxmvn_4x4_kernelILj128ELj16E21rocsparse_complex_numIfEiiS2_S2_S2_EEvT3_20rocsparse_direction_NS_24const_host_device_scalarIT1_EES3_PKS3_PKT2_SC_S9_PKT4_PKT5_S7_PT6_21rocsparse_index_base_b,comdat
.Lfunc_end12:
	.size	_ZN9rocsparseL18bsrxmvn_4x4_kernelILj128ELj16E21rocsparse_complex_numIfEiiS2_S2_S2_EEvT3_20rocsparse_direction_NS_24const_host_device_scalarIT1_EES3_PKS3_PKT2_SC_S9_PKT4_PKT5_S7_PT6_21rocsparse_index_base_b, .Lfunc_end12-_ZN9rocsparseL18bsrxmvn_4x4_kernelILj128ELj16E21rocsparse_complex_numIfEiiS2_S2_S2_EEvT3_20rocsparse_direction_NS_24const_host_device_scalarIT1_EES3_PKS3_PKT2_SC_S9_PKT4_PKT5_S7_PT6_21rocsparse_index_base_b
                                        ; -- End function
	.set _ZN9rocsparseL18bsrxmvn_4x4_kernelILj128ELj16E21rocsparse_complex_numIfEiiS2_S2_S2_EEvT3_20rocsparse_direction_NS_24const_host_device_scalarIT1_EES3_PKS3_PKT2_SC_S9_PKT4_PKT5_S7_PT6_21rocsparse_index_base_b.num_vgpr, 139
	.set _ZN9rocsparseL18bsrxmvn_4x4_kernelILj128ELj16E21rocsparse_complex_numIfEiiS2_S2_S2_EEvT3_20rocsparse_direction_NS_24const_host_device_scalarIT1_EES3_PKS3_PKT2_SC_S9_PKT4_PKT5_S7_PT6_21rocsparse_index_base_b.num_agpr, 0
	.set _ZN9rocsparseL18bsrxmvn_4x4_kernelILj128ELj16E21rocsparse_complex_numIfEiiS2_S2_S2_EEvT3_20rocsparse_direction_NS_24const_host_device_scalarIT1_EES3_PKS3_PKT2_SC_S9_PKT4_PKT5_S7_PT6_21rocsparse_index_base_b.numbered_sgpr, 16
	.set _ZN9rocsparseL18bsrxmvn_4x4_kernelILj128ELj16E21rocsparse_complex_numIfEiiS2_S2_S2_EEvT3_20rocsparse_direction_NS_24const_host_device_scalarIT1_EES3_PKS3_PKT2_SC_S9_PKT4_PKT5_S7_PT6_21rocsparse_index_base_b.num_named_barrier, 0
	.set _ZN9rocsparseL18bsrxmvn_4x4_kernelILj128ELj16E21rocsparse_complex_numIfEiiS2_S2_S2_EEvT3_20rocsparse_direction_NS_24const_host_device_scalarIT1_EES3_PKS3_PKT2_SC_S9_PKT4_PKT5_S7_PT6_21rocsparse_index_base_b.private_seg_size, 0
	.set _ZN9rocsparseL18bsrxmvn_4x4_kernelILj128ELj16E21rocsparse_complex_numIfEiiS2_S2_S2_EEvT3_20rocsparse_direction_NS_24const_host_device_scalarIT1_EES3_PKS3_PKT2_SC_S9_PKT4_PKT5_S7_PT6_21rocsparse_index_base_b.uses_vcc, 1
	.set _ZN9rocsparseL18bsrxmvn_4x4_kernelILj128ELj16E21rocsparse_complex_numIfEiiS2_S2_S2_EEvT3_20rocsparse_direction_NS_24const_host_device_scalarIT1_EES3_PKS3_PKT2_SC_S9_PKT4_PKT5_S7_PT6_21rocsparse_index_base_b.uses_flat_scratch, 1
	.set _ZN9rocsparseL18bsrxmvn_4x4_kernelILj128ELj16E21rocsparse_complex_numIfEiiS2_S2_S2_EEvT3_20rocsparse_direction_NS_24const_host_device_scalarIT1_EES3_PKS3_PKT2_SC_S9_PKT4_PKT5_S7_PT6_21rocsparse_index_base_b.has_dyn_sized_stack, 0
	.set _ZN9rocsparseL18bsrxmvn_4x4_kernelILj128ELj16E21rocsparse_complex_numIfEiiS2_S2_S2_EEvT3_20rocsparse_direction_NS_24const_host_device_scalarIT1_EES3_PKS3_PKT2_SC_S9_PKT4_PKT5_S7_PT6_21rocsparse_index_base_b.has_recursion, 0
	.set _ZN9rocsparseL18bsrxmvn_4x4_kernelILj128ELj16E21rocsparse_complex_numIfEiiS2_S2_S2_EEvT3_20rocsparse_direction_NS_24const_host_device_scalarIT1_EES3_PKS3_PKT2_SC_S9_PKT4_PKT5_S7_PT6_21rocsparse_index_base_b.has_indirect_call, 0
	.section	.AMDGPU.csdata,"",@progbits
; Kernel info:
; codeLenInByte = 7880
; TotalNumSgprs: 18
; NumVgprs: 139
; ScratchSize: 0
; MemoryBound: 0
; FloatMode: 240
; IeeeMode: 1
; LDSByteSize: 0 bytes/workgroup (compile time only)
; SGPRBlocks: 0
; VGPRBlocks: 8
; NumSGPRsForWavesPerEU: 18
; NumVGPRsForWavesPerEU: 139
; NamedBarCnt: 0
; Occupancy: 7
; WaveLimiterHint : 1
; COMPUTE_PGM_RSRC2:SCRATCH_EN: 0
; COMPUTE_PGM_RSRC2:USER_SGPR: 2
; COMPUTE_PGM_RSRC2:TRAP_HANDLER: 0
; COMPUTE_PGM_RSRC2:TGID_X_EN: 1
; COMPUTE_PGM_RSRC2:TGID_Y_EN: 0
; COMPUTE_PGM_RSRC2:TGID_Z_EN: 0
; COMPUTE_PGM_RSRC2:TIDIG_COMP_CNT: 0
	.section	.text._ZN9rocsparseL18bsrxmvn_4x4_kernelILj128ELj32E21rocsparse_complex_numIfEiiS2_S2_S2_EEvT3_20rocsparse_direction_NS_24const_host_device_scalarIT1_EES3_PKS3_PKT2_SC_S9_PKT4_PKT5_S7_PT6_21rocsparse_index_base_b,"axG",@progbits,_ZN9rocsparseL18bsrxmvn_4x4_kernelILj128ELj32E21rocsparse_complex_numIfEiiS2_S2_S2_EEvT3_20rocsparse_direction_NS_24const_host_device_scalarIT1_EES3_PKS3_PKT2_SC_S9_PKT4_PKT5_S7_PT6_21rocsparse_index_base_b,comdat
	.globl	_ZN9rocsparseL18bsrxmvn_4x4_kernelILj128ELj32E21rocsparse_complex_numIfEiiS2_S2_S2_EEvT3_20rocsparse_direction_NS_24const_host_device_scalarIT1_EES3_PKS3_PKT2_SC_S9_PKT4_PKT5_S7_PT6_21rocsparse_index_base_b ; -- Begin function _ZN9rocsparseL18bsrxmvn_4x4_kernelILj128ELj32E21rocsparse_complex_numIfEiiS2_S2_S2_EEvT3_20rocsparse_direction_NS_24const_host_device_scalarIT1_EES3_PKS3_PKT2_SC_S9_PKT4_PKT5_S7_PT6_21rocsparse_index_base_b
	.p2align	8
	.type	_ZN9rocsparseL18bsrxmvn_4x4_kernelILj128ELj32E21rocsparse_complex_numIfEiiS2_S2_S2_EEvT3_20rocsparse_direction_NS_24const_host_device_scalarIT1_EES3_PKS3_PKT2_SC_S9_PKT4_PKT5_S7_PT6_21rocsparse_index_base_b,@function
_ZN9rocsparseL18bsrxmvn_4x4_kernelILj128ELj32E21rocsparse_complex_numIfEiiS2_S2_S2_EEvT3_20rocsparse_direction_NS_24const_host_device_scalarIT1_EES3_PKS3_PKT2_SC_S9_PKT4_PKT5_S7_PT6_21rocsparse_index_base_b: ; @_ZN9rocsparseL18bsrxmvn_4x4_kernelILj128ELj32E21rocsparse_complex_numIfEiiS2_S2_S2_EEvT3_20rocsparse_direction_NS_24const_host_device_scalarIT1_EES3_PKS3_PKT2_SC_S9_PKT4_PKT5_S7_PT6_21rocsparse_index_base_b
; %bb.0:
	s_clause 0x2
	s_load_b64 s[12:13], s[0:1], 0x58
	s_load_b64 s[2:3], s[0:1], 0x8
	;; [unrolled: 1-line block ×3, first 2 shown]
	v_mov_b32_e32 v1, 0
	s_add_nc_u64 s[6:7], s[0:1], 8
	s_add_nc_u64 s[8:9], s[0:1], 0x48
	s_wait_kmcnt 0x0
	s_bitcmp1_b32 s13, 0
	s_cselect_b32 s3, s7, s3
	s_cselect_b32 s2, s6, s2
	;; [unrolled: 1-line block ×4, first 2 shown]
	s_clause 0x1
	flat_load_b64 v[2:3], v1, s[2:3]
	flat_load_b64 v[4:5], v1, s[4:5]
	s_wait_loadcnt_dscnt 0x101
	v_cmp_neq_f32_e32 vcc_lo, 0, v2
	v_cmp_neq_f32_e64 s3, 0, v3
	s_wait_loadcnt_dscnt 0x0
	v_cmp_neq_f32_e64 s4, 1.0, v4
	v_cmp_neq_f32_e64 s2, 0, v5
	s_or_b32 s5, vcc_lo, s3
	s_mov_b32 s3, 0
	s_or_b32 s4, s4, s2
	s_delay_alu instid0(SALU_CYCLE_1) | instskip(NEXT) | instid1(SALU_CYCLE_1)
	s_or_b32 s4, s5, s4
	s_and_saveexec_b32 s5, s4
	s_cbranch_execz .LBB13_6
; %bb.1:
	s_clause 0x1
	s_load_b64 s[4:5], s[0:1], 0x18
	s_load_b64 s[14:15], s[0:1], 0x0
	s_bfe_u32 s6, ttmp6, 0x4000c
	s_and_b32 s7, ttmp6, 15
	s_add_co_i32 s6, s6, 1
	s_getreg_b32 s8, hwreg(HW_REG_IB_STS2, 6, 4)
	s_mul_i32 s6, ttmp9, s6
	v_lshrrev_b32_e32 v1, 5, v0
	s_add_co_i32 s7, s7, s6
	s_cmp_eq_u32 s8, 0
	s_cselect_b32 s6, ttmp9, s7
	s_delay_alu instid0(VALU_DEP_1) | instid1(SALU_CYCLE_1)
	v_lshl_or_b32 v6, s6, 2, v1
	s_wait_kmcnt 0x0
	s_cmp_lg_u64 s[4:5], 0
	s_cbranch_scc0 .LBB13_7
; %bb.2:
	s_load_b32 s3, s[0:1], 0x10
	s_mov_b32 s6, 0
                                        ; implicit-def: $vgpr1
	s_wait_kmcnt 0x0
	v_cmp_gt_i32_e32 vcc_lo, s3, v6
	s_mov_b32 s3, 0
	s_and_saveexec_b32 s7, vcc_lo
	s_delay_alu instid0(SALU_CYCLE_1)
	s_xor_b32 s7, exec_lo, s7
	s_cbranch_execz .LBB13_4
; %bb.3:
	global_load_b32 v1, v6, s[4:5] scale_offset
	s_mov_b32 s3, exec_lo
	s_wait_loadcnt 0x0
	v_subrev_nc_u32_e32 v1, s12, v1
.LBB13_4:
	s_or_b32 exec_lo, exec_lo, s7
	s_delay_alu instid0(SALU_CYCLE_1)
	s_and_b32 vcc_lo, exec_lo, s6
	s_cbranch_vccz .LBB13_8
.LBB13_5:
	v_cmp_gt_i32_e32 vcc_lo, s14, v6
	s_and_not1_b32 s3, s3, exec_lo
	s_and_b32 s4, vcc_lo, exec_lo
	s_delay_alu instid0(SALU_CYCLE_1) | instskip(NEXT) | instid1(SALU_CYCLE_1)
	s_or_b32 s3, s3, s4
	s_and_b32 exec_lo, exec_lo, s3
	s_cbranch_execnz .LBB13_9
.LBB13_6:
	s_sendmsg sendmsg(MSG_DEALLOC_VGPRS)
	s_endpgm
.LBB13_7:
                                        ; implicit-def: $vgpr1
	s_cbranch_execnz .LBB13_5
.LBB13_8:
	s_delay_alu instid0(VALU_DEP_1)
	v_mov_b32_e32 v6, v1
	s_and_b32 exec_lo, exec_lo, s3
	s_cbranch_execz .LBB13_6
.LBB13_9:
	s_load_b256 s[4:11], s[0:1], 0x20
	s_wait_kmcnt 0x0
	s_cmp_eq_u64 s[6:7], 0
	global_load_b32 v20, v6, s[4:5] scale_offset
	s_cselect_b32 vcc_lo, -1, 0
	v_ashrrev_i32_e32 v7, 31, v6
	s_cmp_eq_u32 s15, 1
	s_delay_alu instid0(VALU_DEP_1) | instskip(SKIP_1) | instid1(VALU_DEP_2)
	v_lshlrev_b64_e32 v[8:9], 2, v[6:7]
	v_and_b32_e32 v7, 31, v0
	v_add_nc_u64_e32 v[10:11], s[4:5], v[8:9]
	v_add_nc_u64_e32 v[8:9], s[6:7], v[8:9]
	s_wait_xcnt 0x0
	s_load_b64 s[4:5], s[0:1], 0x40
	s_delay_alu instid0(VALU_DEP_2) | instskip(NEXT) | instid1(VALU_DEP_1)
	v_add_nc_u64_e32 v[10:11], 4, v[10:11]
	v_dual_cndmask_b32 v9, v9, v11 :: v_dual_cndmask_b32 v8, v8, v10
	global_load_b32 v10, v[8:9], off
	s_wait_loadcnt 0x1
	v_subrev_nc_u32_e32 v0, s12, v20
	s_delay_alu instid0(VALU_DEP_1) | instskip(NEXT) | instid1(VALU_DEP_1)
	v_add_nc_u32_e32 v0, v0, v7
	v_ashrrev_i32_e32 v1, 31, v0
	s_wait_xcnt 0x0
	s_delay_alu instid0(VALU_DEP_1) | instskip(NEXT) | instid1(VALU_DEP_1)
	v_lshlrev_b64_e32 v[8:9], 7, v[0:1]
	v_add_nc_u64_e32 v[8:9], s[10:11], v[8:9]
	s_wait_loadcnt 0x0
	v_subrev_nc_u32_e32 v1, s12, v10
	s_delay_alu instid0(VALU_DEP_1)
	v_cmp_lt_i32_e64 s3, v0, v1
	s_cbranch_scc1 .LBB13_21
; %bb.10:
	v_dual_mov_b32 v17, 0 :: v_dual_mov_b32 v16, 0
	v_dual_mov_b32 v11, 0 :: v_dual_mov_b32 v10, 0
	;; [unrolled: 1-line block ×4, first 2 shown]
	s_and_saveexec_b32 s6, s3
	s_cbranch_execz .LBB13_20
; %bb.11:
	v_add_nc_u32_e32 v10, v20, v7
	v_not_b32_e32 v11, v20
	v_mov_b64_e32 v[16:17], 0
	v_mov_b64_e32 v[12:13], 0
	;; [unrolled: 1-line block ×3, first 2 shown]
	v_subrev_nc_u32_e32 v10, s12, v10
	v_mov_b64_e32 v[18:19], v[8:9]
	s_delay_alu instid0(VALU_DEP_2) | instskip(NEXT) | instid1(VALU_DEP_1)
	v_add_max_i32_e64 v10, v10, 32, v1
	v_add3_u32 v10, s12, v10, v11
	s_delay_alu instid0(VALU_DEP_1) | instskip(SKIP_1) | instid1(VALU_DEP_2)
	v_sub_nc_u32_e32 v22, v10, v7
	v_mov_b64_e32 v[10:11], 0
	v_and_b32_e32 v21, 0x60, v22
	s_delay_alu instid0(VALU_DEP_1)
	v_cmp_ne_u32_e32 vcc_lo, 0x60, v21
	v_mov_b32_e32 v21, v0
	s_and_saveexec_b32 s7, vcc_lo
	s_cbranch_execz .LBB13_15
; %bb.12:
	v_dual_lshrrev_b32 v10, 5, v22 :: v_dual_mov_b32 v14, 0
	v_mov_b64_e32 v[18:19], v[8:9]
	s_mov_b32 s10, 0
	s_delay_alu instid0(VALU_DEP_2) | instskip(NEXT) | instid1(VALU_DEP_3)
	v_dual_mov_b32 v21, v0 :: v_dual_add_nc_u32 v10, 1, v10
	v_dual_mov_b32 v15, v14 :: v_dual_mov_b32 v12, v14
	v_dual_mov_b32 v13, v14 :: v_dual_mov_b32 v11, v14
	s_delay_alu instid0(VALU_DEP_3) | instskip(NEXT) | instid1(VALU_DEP_1)
	v_dual_mov_b32 v10, v14 :: v_dual_bitop2_b32 v17, 3, v10 bitop3:0x40
	v_dual_mov_b32 v16, v14 :: v_dual_sub_nc_u32 v23, 0, v17
	v_mov_b32_e32 v17, v14
.LBB13_13:                              ; =>This Inner Loop Header: Depth=1
	global_load_b32 v56, v21, s[8:9] scale_offset
	s_clause 0x7
	global_load_b128 v[24:27], v[18:19], off offset:48
	global_load_b128 v[28:31], v[18:19], off offset:32
	global_load_b128 v[32:35], v[18:19], off offset:16
	global_load_b128 v[36:39], v[18:19], off
	global_load_b128 v[40:43], v[18:19], off offset:112
	global_load_b128 v[44:47], v[18:19], off offset:96
	;; [unrolled: 1-line block ×4, first 2 shown]
	s_wait_xcnt 0x0
	v_add_nc_u64_e32 v[18:19], 0x1000, v[18:19]
	v_add_co_u32 v23, s11, v23, 1
	s_or_b32 s10, s11, s10
	v_add_nc_u32_e32 v21, 32, v21
	s_wait_loadcnt 0x8
	v_subrev_nc_u32_e32 v56, s12, v56
	s_wait_loadcnt 0x7
	v_mov_b32_e32 v71, v26
	s_wait_loadcnt 0x6
	v_xor_b32_e32 v68, 0x80000000, v31
	s_wait_loadcnt 0x5
	v_dual_mov_b32 v67, v34 :: v_dual_mov_b32 v69, v30
	v_lshlrev_b32_e32 v56, 2, v56
	s_wait_loadcnt 0x2
	v_xor_b32_e32 v76, 0x80000000, v47
	s_wait_loadcnt 0x1
	v_dual_mov_b32 v75, v50 :: v_dual_mov_b32 v77, v46
	s_wait_loadcnt 0x0
	v_xor_b32_e32 v72, 0x80000000, v55
	v_dual_ashrrev_i32 v57, 31, v56 :: v_dual_mov_b32 v73, v54
	v_xor_b32_e32 v66, 0x80000000, v35
	v_xor_b32_e32 v70, 0x80000000, v27
	;; [unrolled: 1-line block ×3, first 2 shown]
	s_wait_kmcnt 0x0
	v_lshl_add_u64 v[64:65], v[56:57], 3, s[4:5]
	v_xor_b32_e32 v78, 0x80000000, v43
	s_clause 0x1
	global_load_b128 v[56:59], v[64:65], off
	global_load_b128 v[60:63], v[64:65], off offset:16
	s_wait_xcnt 0x0
	v_xor_b32_e32 v64, 0x80000000, v39
	v_dual_mov_b32 v65, v38 :: v_dual_mov_b32 v79, v42
	s_wait_loadcnt 0x1
	v_mov_b32_e32 v80, v59
	v_pk_fma_f32 v[16:17], v[36:37], v[56:57], v[16:17] op_sel_hi:[1,0,1]
	v_pk_fma_f32 v[14:15], v[28:29], v[56:57], v[14:15] op_sel_hi:[1,0,1]
	;; [unrolled: 1-line block ×4, first 2 shown]
	s_wait_loadcnt 0x0
	v_mov_b32_e32 v82, v63
	v_pk_fma_f32 v[16:17], v[36:37], v[56:57], v[16:17] op_sel:[1,1,0] op_sel_hi:[0,1,1] neg_lo:[1,0,0]
	v_pk_fma_f32 v[14:15], v[28:29], v[56:57], v[14:15] op_sel:[1,1,0] op_sel_hi:[0,1,1] neg_lo:[1,0,0]
	;; [unrolled: 1-line block ×4, first 2 shown]
	s_delay_alu instid0(VALU_DEP_4) | instskip(NEXT) | instid1(VALU_DEP_4)
	v_pk_fma_f32 v[16:17], v[38:39], v[58:59], v[16:17] op_sel_hi:[1,0,1]
	v_pk_fma_f32 v[14:15], v[30:31], v[58:59], v[14:15] op_sel_hi:[1,0,1]
	s_delay_alu instid0(VALU_DEP_4) | instskip(NEXT) | instid1(VALU_DEP_4)
	v_pk_fma_f32 v[12:13], v[54:55], v[58:59], v[12:13] op_sel_hi:[1,0,1]
	v_pk_fma_f32 v[10:11], v[46:47], v[58:59], v[10:11] op_sel_hi:[1,0,1]
	;; [unrolled: 3-line block ×6, first 2 shown]
	s_delay_alu instid0(VALU_DEP_4) | instskip(NEXT) | instid1(VALU_DEP_4)
	v_pk_fma_f32 v[16:17], v[32:33], v[60:61], v[16:17] op_sel:[1,1,0] op_sel_hi:[0,1,1] neg_lo:[1,0,0]
	v_pk_fma_f32 v[14:15], v[24:25], v[60:61], v[14:15] op_sel:[1,1,0] op_sel_hi:[0,1,1] neg_lo:[1,0,0]
	s_delay_alu instid0(VALU_DEP_4) | instskip(NEXT) | instid1(VALU_DEP_4)
	v_pk_fma_f32 v[12:13], v[48:49], v[60:61], v[12:13] op_sel:[1,1,0] op_sel_hi:[0,1,1] neg_lo:[1,0,0]
	v_pk_fma_f32 v[10:11], v[40:41], v[60:61], v[10:11] op_sel:[1,1,0] op_sel_hi:[0,1,1] neg_lo:[1,0,0]
	s_delay_alu instid0(VALU_DEP_4) | instskip(NEXT) | instid1(VALU_DEP_4)
	v_pk_fma_f32 v[16:17], v[34:35], v[62:63], v[16:17] op_sel_hi:[1,0,1]
	v_pk_fma_f32 v[14:15], v[26:27], v[62:63], v[14:15] op_sel_hi:[1,0,1]
	s_delay_alu instid0(VALU_DEP_4) | instskip(NEXT) | instid1(VALU_DEP_4)
	v_pk_fma_f32 v[12:13], v[50:51], v[62:63], v[12:13] op_sel_hi:[1,0,1]
	v_pk_fma_f32 v[10:11], v[42:43], v[62:63], v[10:11] op_sel_hi:[1,0,1]
	s_delay_alu instid0(VALU_DEP_4) | instskip(NEXT) | instid1(VALU_DEP_4)
	v_pk_fma_f32 v[16:17], v[66:67], v[82:83], v[16:17] op_sel_hi:[1,0,1]
	v_pk_fma_f32 v[14:15], v[70:71], v[82:83], v[14:15] op_sel_hi:[1,0,1]
	s_delay_alu instid0(VALU_DEP_4) | instskip(NEXT) | instid1(VALU_DEP_4)
	v_pk_fma_f32 v[12:13], v[74:75], v[82:83], v[12:13] op_sel_hi:[1,0,1]
	v_pk_fma_f32 v[10:11], v[78:79], v[82:83], v[10:11] op_sel_hi:[1,0,1]
	s_and_not1_b32 exec_lo, exec_lo, s10
	s_cbranch_execnz .LBB13_13
; %bb.14:
	s_or_b32 exec_lo, exec_lo, s10
.LBB13_15:
	s_delay_alu instid0(SALU_CYCLE_1) | instskip(NEXT) | instid1(SALU_CYCLE_1)
	s_or_b32 exec_lo, exec_lo, s7
	s_mov_b32 s7, exec_lo
	v_cmpx_lt_u32_e32 0x5f, v22
	s_cbranch_execz .LBB13_19
; %bb.16:
	s_mov_b32 s10, 0
.LBB13_17:                              ; =>This Inner Loop Header: Depth=1
	global_load_b32 v118, v21, s[8:9] scale_offset
	s_clause 0xf
	global_load_b128 v[22:25], v[18:19], off
	global_load_b128 v[26:29], v[18:19], off offset:16
	global_load_b128 v[30:33], v[18:19], off offset:48
	;; [unrolled: 1-line block ×15, first 2 shown]
	s_clause 0x2
	global_load_b32 v136, v21, s[8:9] offset:128 scale_offset
	global_load_b32 v137, v21, s[8:9] offset:256 scale_offset
	;; [unrolled: 1-line block ×3, first 2 shown]
	s_clause 0x7
	global_load_b128 v[86:89], v[18:19], off offset:8240
	global_load_b128 v[90:93], v[18:19], off offset:8224
	;; [unrolled: 1-line block ×8, first 2 shown]
	s_wait_loadcnt 0x1b
	v_subrev_nc_u32_e32 v118, s12, v118
	s_wait_loadcnt 0x1a
	v_mov_b32_e32 v127, v24
	v_xor_b32_e32 v126, 0x80000000, v25
	s_delay_alu instid0(VALU_DEP_3)
	v_lshlrev_b32_e32 v118, 2, v118
	s_wait_loadcnt 0x15
	v_xor_b32_e32 v134, 0x80000000, v45
	s_wait_loadcnt 0x13
	v_dual_mov_b32 v135, v44 :: v_dual_mov_b32 v133, v52
	v_xor_b32_e32 v132, 0x80000000, v53
	v_ashrrev_i32_e32 v119, 31, v118
	s_wait_kmcnt 0x0
	s_delay_alu instid0(VALU_DEP_1)
	v_lshl_add_u64 v[128:129], v[118:119], 3, s[4:5]
	s_clause 0x1
	global_load_b128 v[118:121], v[128:129], off
	global_load_b128 v[122:125], v[128:129], off offset:16
	s_wait_xcnt 0x0
	v_xor_b32_e32 v128, 0x80000000, v37
	v_mov_b32_e32 v129, v36
	s_wait_loadcnt 0x1
	v_pk_fma_f32 v[14:15], v[34:35], v[118:119], v[14:15] op_sel_hi:[1,0,1]
	v_pk_fma_f32 v[16:17], v[22:23], v[118:119], v[16:17] op_sel_hi:[1,0,1]
	;; [unrolled: 1-line block ×4, first 2 shown]
	s_delay_alu instid0(VALU_DEP_4) | instskip(NEXT) | instid1(VALU_DEP_4)
	v_pk_fma_f32 v[14:15], v[34:35], v[118:119], v[14:15] op_sel:[1,1,0] op_sel_hi:[0,1,1] neg_lo:[1,0,0]
	v_pk_fma_f32 v[16:17], v[22:23], v[118:119], v[16:17] op_sel:[1,1,0] op_sel_hi:[0,1,1] neg_lo:[1,0,0]
	s_delay_alu instid0(VALU_DEP_4) | instskip(NEXT) | instid1(VALU_DEP_4)
	v_pk_fma_f32 v[12:13], v[50:51], v[118:119], v[12:13] op_sel:[1,1,0] op_sel_hi:[0,1,1] neg_lo:[1,0,0]
	v_pk_fma_f32 v[10:11], v[42:43], v[118:119], v[10:11] op_sel:[1,1,0] op_sel_hi:[0,1,1] neg_lo:[1,0,0]
	v_mov_b32_e32 v118, v121
	v_pk_fma_f32 v[130:131], v[36:37], v[120:121], v[14:15] op_sel_hi:[1,0,1]
	v_pk_fma_f32 v[16:17], v[24:25], v[120:121], v[16:17] op_sel_hi:[1,0,1]
	;; [unrolled: 1-line block ×4, first 2 shown]
	s_clause 0x1
	global_load_b128 v[22:25], v[18:19], off offset:12336
	global_load_b128 v[12:15], v[18:19], off offset:12320
	v_pk_fma_f32 v[120:121], v[128:129], v[118:119], v[130:131] op_sel_hi:[1,0,1]
	v_pk_fma_f32 v[16:17], v[126:127], v[118:119], v[16:17] op_sel_hi:[1,0,1]
	;; [unrolled: 1-line block ×4, first 2 shown]
	v_xor_b32_e32 v132, 0x80000000, v41
	s_wait_loadcnt 0x2
	v_pk_fma_f32 v[120:121], v[30:31], v[122:123], v[120:121] op_sel_hi:[1,0,1]
	v_pk_fma_f32 v[16:17], v[26:27], v[122:123], v[16:17] op_sel_hi:[1,0,1]
	v_mov_b32_e32 v133, v40
	v_pk_fma_f32 v[10:11], v[38:39], v[122:123], v[10:11] op_sel_hi:[1,0,1]
	v_xor_b32_e32 v118, 0x80000000, v29
	v_pk_fma_f32 v[30:31], v[30:31], v[122:123], v[120:121] op_sel:[1,1,0] op_sel_hi:[0,1,1] neg_lo:[1,0,0]
	v_pk_fma_f32 v[16:17], v[26:27], v[122:123], v[16:17] op_sel:[1,1,0] op_sel_hi:[0,1,1] neg_lo:[1,0,0]
	v_mov_b32_e32 v119, v28
	v_pk_fma_f32 v[10:11], v[38:39], v[122:123], v[10:11] op_sel:[1,1,0] op_sel_hi:[0,1,1] neg_lo:[1,0,0]
	v_xor_b32_e32 v128, 0x80000000, v33
	v_pk_fma_f32 v[120:121], v[32:33], v[124:125], v[30:31] op_sel_hi:[1,0,1]
	v_pk_fma_f32 v[30:31], v[46:47], v[122:123], v[126:127] op_sel_hi:[1,0,1]
	;; [unrolled: 1-line block ×4, first 2 shown]
	v_dual_mov_b32 v129, v32 :: v_dual_mov_b32 v131, v48
	s_delay_alu instid0(VALU_DEP_4)
	v_pk_fma_f32 v[30:31], v[46:47], v[122:123], v[30:31] op_sel:[1,1,0] op_sel_hi:[0,1,1] neg_lo:[1,0,0]
	v_subrev_nc_u32_e32 v46, s12, v136
	v_mov_b32_e32 v135, v60
	v_subrev_nc_u32_e32 v136, s12, v137
	v_xor_b32_e32 v130, 0x80000000, v49
	v_pk_fma_f32 v[126:127], v[48:49], v[124:125], v[30:31] op_sel_hi:[1,0,1]
	v_dual_mov_b32 v123, v68 :: v_dual_lshlrev_b32 v38, 2, v46
	v_mov_b32_e32 v124, v125
	v_subrev_nc_u32_e32 v137, s12, v138
	v_xor_b32_e32 v122, 0x80000000, v69
	s_delay_alu instid0(VALU_DEP_4)
	v_ashrrev_i32_e32 v39, 31, v38
	s_clause 0x1
	global_load_b128 v[50:53], v[18:19], off offset:12368
	global_load_b128 v[26:29], v[18:19], off offset:12352
	v_pk_fma_f32 v[16:17], v[118:119], v[124:125], v[16:17] op_sel_hi:[1,0,1]
	v_lshlrev_b32_e32 v118, 2, v136
	v_lshl_add_u64 v[46:47], v[38:39], 3, s[4:5]
	v_pk_fma_f32 v[128:129], v[128:129], v[124:125], v[120:121] op_sel_hi:[1,0,1]
	v_pk_fma_f32 v[126:127], v[130:131], v[124:125], v[126:127] op_sel_hi:[1,0,1]
	;; [unrolled: 1-line block ×3, first 2 shown]
	v_mov_b32_e32 v125, v84
	global_load_b128 v[38:41], v[46:47], off
	v_ashrrev_i32_e32 v119, 31, v118
	s_clause 0x2
	global_load_b128 v[34:37], v[18:19], off offset:12304
	global_load_b128 v[42:45], v[18:19], off offset:12288
	;; [unrolled: 1-line block ×3, first 2 shown]
	v_xor_b32_e32 v134, 0x80000000, v61
	v_lshl_add_u64 v[130:131], v[118:119], 3, s[4:5]
	v_xor_b32_e32 v124, 0x80000000, v85
	s_clause 0x1
	global_load_b128 v[118:121], v[130:131], off
	global_load_b128 v[46:49], v[46:47], off offset:16
	v_add_nc_u32_e32 v21, 0x80, v21
	s_wait_loadcnt 0x5
	v_pk_fma_f32 v[16:17], v[66:67], v[38:39], v[16:17] op_sel_hi:[1,0,1]
	v_pk_fma_f32 v[128:129], v[58:59], v[38:39], v[128:129] op_sel_hi:[1,0,1]
	;; [unrolled: 1-line block ×4, first 2 shown]
	s_delay_alu instid0(VALU_DEP_4)
	v_pk_fma_f32 v[16:17], v[66:67], v[38:39], v[16:17] op_sel:[1,1,0] op_sel_hi:[0,1,1] neg_lo:[1,0,0]
	v_lshlrev_b32_e32 v66, 2, v137
	v_pk_fma_f32 v[58:59], v[58:59], v[38:39], v[128:129] op_sel:[1,1,0] op_sel_hi:[0,1,1] neg_lo:[1,0,0]
	v_pk_fma_f32 v[82:83], v[82:83], v[38:39], v[126:127] op_sel:[1,1,0] op_sel_hi:[0,1,1] neg_lo:[1,0,0]
	;; [unrolled: 1-line block ×3, first 2 shown]
	v_pk_fma_f32 v[16:17], v[68:69], v[40:41], v[16:17] op_sel_hi:[1,0,1]
	v_ashrrev_i32_e32 v67, 31, v66
	v_pk_fma_f32 v[128:129], v[60:61], v[40:41], v[58:59] op_sel_hi:[1,0,1]
	v_pk_fma_f32 v[126:127], v[84:85], v[40:41], v[82:83] op_sel_hi:[1,0,1]
	;; [unrolled: 1-line block ×3, first 2 shown]
	v_mov_b32_e32 v38, v41
	v_lshl_add_u64 v[132:133], v[66:67], 3, s[4:5]
	global_load_b128 v[66:69], v[130:131], off offset:16
	s_wait_xcnt 0x0
	v_xor_b32_e32 v130, 0x80000000, v77
	v_mov_b32_e32 v131, v76
	v_pk_fma_f32 v[16:17], v[122:123], v[38:39], v[16:17] op_sel_hi:[1,0,1]
	global_load_b128 v[58:61], v[132:133], off
	global_load_b128 v[74:77], v[18:19], off offset:12400
	global_load_b128 v[82:85], v[132:133], off offset:16
	v_pk_fma_f32 v[128:129], v[134:135], v[38:39], v[128:129] op_sel_hi:[1,0,1]
	v_pk_fma_f32 v[124:125], v[124:125], v[38:39], v[126:127] op_sel_hi:[1,0,1]
	;; [unrolled: 1-line block ×3, first 2 shown]
	s_wait_loadcnt 0x4
	v_pk_fma_f32 v[16:17], v[62:63], v[46:47], v[16:17] op_sel_hi:[1,0,1]
	v_xor_b32_e32 v40, 0x80000000, v65
	v_pk_fma_f32 v[128:129], v[54:55], v[46:47], v[128:129] op_sel_hi:[1,0,1]
	v_pk_fma_f32 v[124:125], v[78:79], v[46:47], v[124:125] op_sel_hi:[1,0,1]
	;; [unrolled: 1-line block ×3, first 2 shown]
	v_pk_fma_f32 v[16:17], v[62:63], v[46:47], v[16:17] op_sel:[1,1,0] op_sel_hi:[0,1,1] neg_lo:[1,0,0]
	v_dual_mov_b32 v41, v64 :: v_dual_mov_b32 v123, v56
	v_pk_fma_f32 v[54:55], v[54:55], v[46:47], v[128:129] op_sel:[1,1,0] op_sel_hi:[0,1,1] neg_lo:[1,0,0]
	v_pk_fma_f32 v[78:79], v[78:79], v[46:47], v[124:125] op_sel:[1,1,0] op_sel_hi:[0,1,1] neg_lo:[1,0,0]
	;; [unrolled: 1-line block ×3, first 2 shown]
	v_xor_b32_e32 v122, 0x80000000, v57
	s_wait_xcnt 0x0
	v_xor_b32_e32 v132, 0x80000000, v81
	v_dual_mov_b32 v133, v80 :: v_dual_mov_b32 v127, v72
	v_xor_b32_e32 v126, 0x80000000, v73
	v_pk_fma_f32 v[16:17], v[64:65], v[48:49], v[16:17] op_sel_hi:[1,0,1]
	v_pk_fma_f32 v[54:55], v[56:57], v[48:49], v[54:55] op_sel_hi:[1,0,1]
	;; [unrolled: 1-line block ×4, first 2 shown]
	v_dual_mov_b32 v48, v49 :: v_dual_mov_b32 v73, v14
	v_xor_b32_e32 v38, 0x80000000, v101
	v_dual_mov_b32 v39, v100 :: v_dual_mov_b32 v131, v92
	s_delay_alu instid0(VALU_DEP_3)
	v_pk_fma_f32 v[16:17], v[40:41], v[48:49], v[16:17] op_sel_hi:[1,0,1]
	v_pk_fma_f32 v[40:41], v[122:123], v[48:49], v[54:55] op_sel_hi:[1,0,1]
	;; [unrolled: 1-line block ×4, first 2 shown]
	v_xor_b32_e32 v130, 0x80000000, v93
	v_pk_fma_f32 v[16:17], v[98:99], v[118:119], v[16:17] op_sel_hi:[1,0,1]
	v_pk_fma_f32 v[40:41], v[90:91], v[118:119], v[40:41] op_sel_hi:[1,0,1]
	;; [unrolled: 1-line block ×4, first 2 shown]
	v_xor_b32_e32 v62, 0x80000000, v117
	v_pk_fma_f32 v[16:17], v[98:99], v[118:119], v[16:17] op_sel:[1,1,0] op_sel_hi:[0,1,1] neg_lo:[1,0,0]
	v_pk_fma_f32 v[40:41], v[90:91], v[118:119], v[40:41] op_sel:[1,1,0] op_sel_hi:[0,1,1] neg_lo:[1,0,0]
	;; [unrolled: 1-line block ×4, first 2 shown]
	v_dual_mov_b32 v63, v116 :: v_dual_mov_b32 v65, v108
	v_xor_b32_e32 v64, 0x80000000, v109
	v_dual_mov_b32 v78, v121 :: v_dual_mov_b32 v55, v24
	v_pk_fma_f32 v[16:17], v[100:101], v[120:121], v[16:17] op_sel_hi:[1,0,1]
	v_pk_fma_f32 v[40:41], v[92:93], v[120:121], v[40:41] op_sel_hi:[1,0,1]
	;; [unrolled: 1-line block ×4, first 2 shown]
	v_xor_b32_e32 v56, 0x80000000, v97
	v_pk_fma_f32 v[16:17], v[38:39], v[78:79], v[16:17] op_sel_hi:[1,0,1]
	v_pk_fma_f32 v[38:39], v[130:131], v[78:79], v[40:41] op_sel_hi:[1,0,1]
	;; [unrolled: 1-line block ×4, first 2 shown]
	v_dual_mov_b32 v57, v96 :: v_dual_mov_b32 v129, v88
	v_xor_b32_e32 v128, 0x80000000, v89
	v_xor_b32_e32 v80, 0x80000000, v113
	v_dual_mov_b32 v81, v112 :: v_dual_mov_b32 v125, v104
	v_xor_b32_e32 v124, 0x80000000, v105
	v_mov_b32_e32 v49, v28
	v_xor_b32_e32 v46, 0x80000000, v45
	v_dual_mov_b32 v47, v44 :: v_dual_mov_b32 v71, v36
	v_xor_b32_e32 v72, 0x80000000, v15
	v_xor_b32_e32 v48, 0x80000000, v29
	;; [unrolled: 1-line block ×5, first 2 shown]
	v_mov_b32_e32 v65, v52
	v_add_nc_u64_e32 v[18:19], 0x4000, v[18:19]
	v_cmp_ge_i32_e32 vcc_lo, v21, v1
	s_or_b32 s10, vcc_lo, s10
	s_wait_loadcnt 0x3
	v_pk_fma_f32 v[16:17], v[94:95], v[66:67], v[16:17] op_sel_hi:[1,0,1]
	v_pk_fma_f32 v[38:39], v[86:87], v[66:67], v[38:39] op_sel_hi:[1,0,1]
	;; [unrolled: 1-line block ×4, first 2 shown]
	v_mov_b32_e32 v62, v69
	v_pk_fma_f32 v[16:17], v[94:95], v[66:67], v[16:17] op_sel:[1,1,0] op_sel_hi:[0,1,1] neg_lo:[1,0,0]
	v_pk_fma_f32 v[38:39], v[86:87], v[66:67], v[38:39] op_sel:[1,1,0] op_sel_hi:[0,1,1] neg_lo:[1,0,0]
	;; [unrolled: 1-line block ×4, first 2 shown]
	s_delay_alu instid0(VALU_DEP_4) | instskip(NEXT) | instid1(VALU_DEP_4)
	v_pk_fma_f32 v[16:17], v[96:97], v[68:69], v[16:17] op_sel_hi:[1,0,1]
	v_pk_fma_f32 v[38:39], v[88:89], v[68:69], v[38:39] op_sel_hi:[1,0,1]
	s_delay_alu instid0(VALU_DEP_4) | instskip(NEXT) | instid1(VALU_DEP_4)
	v_pk_fma_f32 v[40:41], v[112:113], v[68:69], v[40:41] op_sel_hi:[1,0,1]
	v_pk_fma_f32 v[10:11], v[104:105], v[68:69], v[10:11] op_sel_hi:[1,0,1]
	;; [unrolled: 3-line block ×4, first 2 shown]
	v_xor_b32_e32 v56, 0x80000000, v33
	s_wait_loadcnt 0x2
	v_pk_fma_f32 v[16:17], v[42:43], v[58:59], v[16:17] op_sel_hi:[1,0,1]
	v_pk_fma_f32 v[38:39], v[12:13], v[58:59], v[38:39] op_sel_hi:[1,0,1]
	;; [unrolled: 1-line block ×4, first 2 shown]
	v_mov_b32_e32 v57, v32
	v_pk_fma_f32 v[16:17], v[42:43], v[58:59], v[16:17] op_sel:[1,1,0] op_sel_hi:[0,1,1] neg_lo:[1,0,0]
	v_pk_fma_f32 v[12:13], v[12:13], v[58:59], v[38:39] op_sel:[1,1,0] op_sel_hi:[0,1,1] neg_lo:[1,0,0]
	;; [unrolled: 1-line block ×4, first 2 shown]
	v_mov_b32_e32 v30, v61
	v_pk_fma_f32 v[16:17], v[44:45], v[60:61], v[16:17] op_sel_hi:[1,0,1]
	v_pk_fma_f32 v[12:13], v[14:15], v[60:61], v[12:13] op_sel_hi:[1,0,1]
	;; [unrolled: 1-line block ×4, first 2 shown]
	s_wait_loadcnt 0x1
	v_xor_b32_e32 v26, 0x80000000, v77
	v_pk_fma_f32 v[16:17], v[46:47], v[30:31], v[16:17] op_sel_hi:[1,0,1]
	v_pk_fma_f32 v[12:13], v[72:73], v[30:31], v[12:13] op_sel_hi:[1,0,1]
	;; [unrolled: 1-line block ×4, first 2 shown]
	v_mov_b32_e32 v27, v76
	s_wait_loadcnt 0x0
	v_pk_fma_f32 v[16:17], v[34:35], v[82:83], v[16:17] op_sel_hi:[1,0,1]
	v_pk_fma_f32 v[12:13], v[22:23], v[82:83], v[12:13] op_sel_hi:[1,0,1]
	;; [unrolled: 1-line block ×4, first 2 shown]
	s_delay_alu instid0(VALU_DEP_4) | instskip(NEXT) | instid1(VALU_DEP_4)
	v_pk_fma_f32 v[16:17], v[34:35], v[82:83], v[16:17] op_sel:[1,1,0] op_sel_hi:[0,1,1] neg_lo:[1,0,0]
	v_pk_fma_f32 v[12:13], v[22:23], v[82:83], v[12:13] op_sel:[1,1,0] op_sel_hi:[0,1,1] neg_lo:[1,0,0]
	s_delay_alu instid0(VALU_DEP_4) | instskip(NEXT) | instid1(VALU_DEP_4)
	v_pk_fma_f32 v[14:15], v[50:51], v[82:83], v[14:15] op_sel:[1,1,0] op_sel_hi:[0,1,1] neg_lo:[1,0,0]
	v_pk_fma_f32 v[10:11], v[74:75], v[82:83], v[10:11] op_sel:[1,1,0] op_sel_hi:[0,1,1] neg_lo:[1,0,0]
	v_mov_b32_e32 v22, v85
	v_pk_fma_f32 v[16:17], v[36:37], v[84:85], v[16:17] op_sel_hi:[1,0,1]
	v_pk_fma_f32 v[12:13], v[24:25], v[84:85], v[12:13] op_sel_hi:[1,0,1]
	;; [unrolled: 1-line block ×4, first 2 shown]
	s_delay_alu instid0(VALU_DEP_4) | instskip(NEXT) | instid1(VALU_DEP_4)
	v_pk_fma_f32 v[16:17], v[70:71], v[22:23], v[16:17] op_sel_hi:[1,0,1]
	v_pk_fma_f32 v[14:15], v[54:55], v[22:23], v[12:13] op_sel_hi:[1,0,1]
	s_delay_alu instid0(VALU_DEP_4) | instskip(NEXT) | instid1(VALU_DEP_4)
	v_pk_fma_f32 v[12:13], v[64:65], v[22:23], v[24:25] op_sel_hi:[1,0,1]
	v_pk_fma_f32 v[10:11], v[26:27], v[22:23], v[10:11] op_sel_hi:[1,0,1]
	s_and_not1_b32 exec_lo, exec_lo, s10
	s_cbranch_execnz .LBB13_17
; %bb.18:
	s_or_b32 exec_lo, exec_lo, s10
.LBB13_19:
	s_delay_alu instid0(SALU_CYCLE_1)
	s_or_b32 exec_lo, exec_lo, s7
.LBB13_20:
	s_delay_alu instid0(SALU_CYCLE_1)
	s_or_b32 exec_lo, exec_lo, s6
	s_cbranch_execz .LBB13_22
	s_branch .LBB13_33
.LBB13_21:
                                        ; implicit-def: $vgpr17
                                        ; implicit-def: $vgpr11
                                        ; implicit-def: $vgpr13
                                        ; implicit-def: $vgpr15
.LBB13_22:
	v_dual_mov_b32 v17, 0 :: v_dual_mov_b32 v16, 0
	v_dual_mov_b32 v11, 0 :: v_dual_mov_b32 v10, 0
	;; [unrolled: 1-line block ×4, first 2 shown]
	s_and_saveexec_b32 s6, s3
	s_cbranch_execz .LBB13_32
; %bb.23:
	v_add_nc_u32_e32 v10, v20, v7
	v_not_b32_e32 v11, v20
	v_mov_b64_e32 v[16:17], 0
	v_mov_b64_e32 v[12:13], 0
	;; [unrolled: 1-line block ×3, first 2 shown]
	v_subrev_nc_u32_e32 v10, s12, v10
	s_mov_b32 s3, exec_lo
	s_delay_alu instid0(VALU_DEP_1) | instskip(NEXT) | instid1(VALU_DEP_1)
	v_add_max_i32_e64 v10, v10, 32, v1
	v_add3_u32 v10, s12, v10, v11
	s_delay_alu instid0(VALU_DEP_1) | instskip(SKIP_1) | instid1(VALU_DEP_2)
	v_sub_nc_u32_e32 v18, v10, v7
	v_mov_b64_e32 v[10:11], 0
	v_and_b32_e32 v19, 0x60, v18
	s_delay_alu instid0(VALU_DEP_1)
	v_cmpx_ne_u32_e32 0x60, v19
	s_cbranch_execz .LBB13_27
; %bb.24:
	v_dual_lshrrev_b32 v10, 5, v18 :: v_dual_mov_b32 v14, 0
	s_mov_b32 s7, 0
	s_delay_alu instid0(VALU_DEP_1) | instskip(SKIP_2) | instid1(VALU_DEP_3)
	v_dual_mov_b32 v15, v14 :: v_dual_add_nc_u32 v10, 1, v10
	v_dual_mov_b32 v12, v14 :: v_dual_mov_b32 v13, v14
	v_dual_mov_b32 v11, v14 :: v_dual_mov_b32 v16, v14
	v_dual_mov_b32 v10, v14 :: v_dual_bitop2_b32 v17, 3, v10 bitop3:0x40
	s_delay_alu instid0(VALU_DEP_1)
	v_dual_sub_nc_u32 v19, 0, v17 :: v_dual_mov_b32 v17, v14
.LBB13_25:                              ; =>This Inner Loop Header: Depth=1
	global_load_b32 v48, v0, s[8:9] scale_offset
	s_clause 0x6
	global_load_b128 v[20:23], v[8:9], off offset:48
	global_load_b128 v[24:27], v[8:9], off offset:32
	;; [unrolled: 1-line block ×3, first 2 shown]
	global_load_b128 v[32:35], v[8:9], off
	global_load_b128 v[36:39], v[8:9], off offset:96
	global_load_b128 v[40:43], v[8:9], off offset:80
	global_load_b128 v[44:47], v[8:9], off offset:64
	s_wait_xcnt 0x7
	v_add_nc_u32_e32 v0, 32, v0
	v_add_co_u32 v19, s10, v19, 1
	s_or_b32 s7, s10, s7
	s_wait_loadcnt 0x7
	v_subrev_nc_u32_e32 v48, s12, v48
	s_wait_loadcnt 0x6
	v_xor_b32_e32 v70, 0x80000000, v23
	s_wait_loadcnt 0x5
	v_xor_b32_e32 v62, 0x80000000, v27
	s_wait_loadcnt 0x4
	v_xor_b32_e32 v68, 0x80000000, v31
	v_dual_mov_b32 v71, v22 :: v_dual_lshlrev_b32 v48, 2, v48
	s_wait_loadcnt 0x2
	v_dual_mov_b32 v67, v38 :: v_dual_mov_b32 v69, v30
	s_wait_loadcnt 0x1
	v_mov_b32_e32 v73, v42
	s_wait_loadcnt 0x0
	v_xor_b32_e32 v64, 0x80000000, v47
	v_dual_ashrrev_i32 v49, 31, v48 :: v_dual_mov_b32 v63, v26
	v_mov_b32_e32 v65, v46
	v_xor_b32_e32 v72, 0x80000000, v43
	v_xor_b32_e32 v66, 0x80000000, v39
	s_wait_kmcnt 0x0
	v_lshl_add_u64 v[60:61], v[48:49], 3, s[4:5]
	s_clause 0x1
	global_load_b128 v[48:51], v[60:61], off offset:16
	global_load_b128 v[52:55], v[60:61], off
	global_load_b128 v[56:59], v[8:9], off offset:112
	s_wait_xcnt 0x1
	v_xor_b32_e32 v60, 0x80000000, v35
	v_mov_b32_e32 v61, v34
	s_wait_xcnt 0x0
	v_add_nc_u64_e32 v[8:9], 0x1000, v[8:9]
	s_wait_loadcnt 0x1
	v_pk_fma_f32 v[16:17], v[32:33], v[52:53], v[16:17] op_sel_hi:[1,0,1]
	v_pk_fma_f32 v[14:15], v[34:35], v[52:53], v[14:15] op_sel_hi:[1,0,1]
	;; [unrolled: 1-line block ×4, first 2 shown]
	s_wait_loadcnt 0x0
	v_dual_mov_b32 v75, v58 :: v_dual_mov_b32 v76, v55
	v_pk_fma_f32 v[16:17], v[32:33], v[52:53], v[16:17] op_sel:[1,1,0] op_sel_hi:[0,1,1] neg_lo:[1,0,0]
	v_pk_fma_f32 v[14:15], v[60:61], v[52:53], v[14:15] op_sel:[0,1,0]
	v_pk_fma_f32 v[12:13], v[28:29], v[52:53], v[12:13] op_sel:[1,1,0] op_sel_hi:[0,1,1] neg_lo:[1,0,0]
	v_pk_fma_f32 v[10:11], v[68:69], v[52:53], v[10:11] op_sel:[0,1,0]
	v_xor_b32_e32 v74, 0x80000000, v59
	v_pk_fma_f32 v[16:17], v[24:25], v[54:55], v[16:17] op_sel_hi:[1,0,1]
	v_pk_fma_f32 v[14:15], v[26:27], v[54:55], v[14:15] op_sel_hi:[1,0,1]
	;; [unrolled: 1-line block ×4, first 2 shown]
	v_mov_b32_e32 v30, v51
	v_pk_fma_f32 v[16:17], v[24:25], v[76:77], v[16:17] op_sel:[1,0,0] op_sel_hi:[0,0,1] neg_lo:[1,0,0]
	v_pk_fma_f32 v[14:15], v[62:63], v[76:77], v[14:15] op_sel_hi:[1,0,1]
	v_pk_fma_f32 v[12:13], v[20:21], v[76:77], v[12:13] op_sel:[1,0,0] op_sel_hi:[0,0,1] neg_lo:[1,0,0]
	v_pk_fma_f32 v[10:11], v[70:71], v[76:77], v[10:11] op_sel_hi:[1,0,1]
	s_delay_alu instid0(VALU_DEP_4) | instskip(NEXT) | instid1(VALU_DEP_4)
	v_pk_fma_f32 v[16:17], v[44:45], v[48:49], v[16:17] op_sel_hi:[1,0,1]
	v_pk_fma_f32 v[14:15], v[46:47], v[48:49], v[14:15] op_sel_hi:[1,0,1]
	s_delay_alu instid0(VALU_DEP_4) | instskip(NEXT) | instid1(VALU_DEP_4)
	v_pk_fma_f32 v[12:13], v[40:41], v[48:49], v[12:13] op_sel_hi:[1,0,1]
	v_pk_fma_f32 v[10:11], v[42:43], v[48:49], v[10:11] op_sel_hi:[1,0,1]
	s_delay_alu instid0(VALU_DEP_4) | instskip(NEXT) | instid1(VALU_DEP_4)
	v_pk_fma_f32 v[16:17], v[44:45], v[48:49], v[16:17] op_sel:[1,1,0] op_sel_hi:[0,1,1] neg_lo:[1,0,0]
	v_pk_fma_f32 v[14:15], v[64:65], v[48:49], v[14:15] op_sel:[0,1,0]
	s_delay_alu instid0(VALU_DEP_4) | instskip(NEXT) | instid1(VALU_DEP_4)
	v_pk_fma_f32 v[12:13], v[40:41], v[48:49], v[12:13] op_sel:[1,1,0] op_sel_hi:[0,1,1] neg_lo:[1,0,0]
	v_pk_fma_f32 v[10:11], v[72:73], v[48:49], v[10:11] op_sel:[0,1,0]
	s_delay_alu instid0(VALU_DEP_4) | instskip(NEXT) | instid1(VALU_DEP_4)
	v_pk_fma_f32 v[16:17], v[36:37], v[50:51], v[16:17] op_sel_hi:[1,0,1]
	v_pk_fma_f32 v[14:15], v[38:39], v[50:51], v[14:15] op_sel_hi:[1,0,1]
	s_delay_alu instid0(VALU_DEP_4) | instskip(NEXT) | instid1(VALU_DEP_4)
	v_pk_fma_f32 v[12:13], v[56:57], v[50:51], v[12:13] op_sel_hi:[1,0,1]
	v_pk_fma_f32 v[10:11], v[58:59], v[50:51], v[10:11] op_sel_hi:[1,0,1]
	s_delay_alu instid0(VALU_DEP_4) | instskip(NEXT) | instid1(VALU_DEP_4)
	v_pk_fma_f32 v[16:17], v[36:37], v[30:31], v[16:17] op_sel:[1,0,0] op_sel_hi:[0,0,1] neg_lo:[1,0,0]
	v_pk_fma_f32 v[14:15], v[66:67], v[30:31], v[14:15] op_sel_hi:[1,0,1]
	s_delay_alu instid0(VALU_DEP_4) | instskip(NEXT) | instid1(VALU_DEP_4)
	v_pk_fma_f32 v[12:13], v[56:57], v[30:31], v[12:13] op_sel:[1,0,0] op_sel_hi:[0,0,1] neg_lo:[1,0,0]
	v_pk_fma_f32 v[10:11], v[74:75], v[30:31], v[10:11] op_sel_hi:[1,0,1]
	s_and_not1_b32 exec_lo, exec_lo, s7
	s_cbranch_execnz .LBB13_25
; %bb.26:
	s_or_b32 exec_lo, exec_lo, s7
.LBB13_27:
	s_delay_alu instid0(SALU_CYCLE_1) | instskip(NEXT) | instid1(SALU_CYCLE_1)
	s_or_b32 exec_lo, exec_lo, s3
	s_mov_b32 s3, exec_lo
	v_cmpx_lt_u32_e32 0x5f, v18
	s_cbranch_execz .LBB13_31
; %bb.28:
	s_mov_b32 s7, 0
.LBB13_29:                              ; =>This Inner Loop Header: Depth=1
	global_load_b32 v98, v0, s[8:9] scale_offset
	s_clause 0xb
	global_load_b128 v[18:21], v[8:9], off
	global_load_b128 v[22:25], v[8:9], off offset:16
	global_load_b128 v[26:29], v[8:9], off offset:48
	;; [unrolled: 1-line block ×11, first 2 shown]
	s_clause 0x2
	global_load_b32 v112, v0, s[8:9] offset:128 scale_offset
	global_load_b32 v113, v0, s[8:9] offset:256 scale_offset
	;; [unrolled: 1-line block ×3, first 2 shown]
	s_clause 0x7
	global_load_b128 v[66:69], v[8:9], off offset:4208
	global_load_b128 v[70:73], v[8:9], off offset:4192
	;; [unrolled: 1-line block ×8, first 2 shown]
	s_wait_xcnt 0x8
	v_add_nc_u32_e32 v0, 0x80, v0
	s_wait_loadcnt 0x17
	v_subrev_nc_u32_e32 v98, s12, v98
	s_wait_loadcnt 0x16
	v_mov_b32_e32 v107, v20
	v_xor_b32_e32 v106, 0x80000000, v21
	s_wait_loadcnt 0x13
	v_xor_b32_e32 v110, 0x80000000, v33
	v_dual_mov_b32 v111, v32 :: v_dual_lshlrev_b32 v98, 2, v98
	s_delay_alu instid0(VALU_DEP_1)
	v_ashrrev_i32_e32 v99, 31, v98
	s_wait_loadcnt 0xd
	v_xor_b32_e32 v114, 0x80000000, v57
	v_mov_b32_e32 v115, v56
	s_wait_kmcnt 0x0
	v_lshl_add_u64 v[108:109], v[98:99], 3, s[4:5]
	s_clause 0x1
	global_load_b128 v[98:101], v[108:109], off
	global_load_b128 v[102:105], v[108:109], off offset:16
	s_wait_loadcnt 0x1
	v_pk_fma_f32 v[16:17], v[18:19], v[98:99], v[16:17] op_sel_hi:[1,0,1]
	v_pk_fma_f32 v[20:21], v[20:21], v[98:99], v[14:15] op_sel_hi:[1,0,1]
	;; [unrolled: 1-line block ×3, first 2 shown]
	s_wait_xcnt 0x0
	s_delay_alu instid0(VALU_DEP_3)
	v_pk_fma_f32 v[108:109], v[18:19], v[98:99], v[16:17] op_sel:[1,1,0] op_sel_hi:[0,1,1] neg_lo:[1,0,0]
	v_xor_b32_e32 v18, 0x80000000, v25
	v_mov_b32_e32 v19, v24
	v_pk_fma_f32 v[24:25], v[24:25], v[98:99], v[10:11] op_sel_hi:[1,0,1]
	v_pk_fma_f32 v[22:23], v[22:23], v[98:99], v[12:13] op_sel:[1,1,0] op_sel_hi:[0,1,1] neg_lo:[1,0,0]
	v_pk_fma_f32 v[106:107], v[106:107], v[98:99], v[20:21] op_sel:[0,1,0]
	s_clause 0x1
	global_load_b128 v[14:17], v[8:9], off offset:8304
	global_load_b128 v[10:13], v[8:9], off offset:8288
	v_pk_fma_f32 v[24:25], v[18:19], v[98:99], v[24:25] op_sel:[0,1,0]
	v_pk_fma_f32 v[98:99], v[30:31], v[100:101], v[108:109] op_sel_hi:[1,0,1]
	v_pk_fma_f32 v[106:107], v[32:33], v[100:101], v[106:107] op_sel_hi:[1,0,1]
	;; [unrolled: 1-line block ×3, first 2 shown]
	v_xor_b32_e32 v32, 0x80000000, v29
	v_pk_fma_f32 v[108:109], v[28:29], v[100:101], v[24:25] op_sel_hi:[1,0,1]
	v_dual_mov_b32 v100, v101 :: v_dual_mov_b32 v33, v28
	global_load_b128 v[18:21], v[8:9], off offset:8272
	v_pk_fma_f32 v[30:31], v[30:31], v[100:101], v[98:99] op_sel:[1,0,0] op_sel_hi:[0,0,1] neg_lo:[1,0,0]
	v_pk_fma_f32 v[98:99], v[26:27], v[100:101], v[22:23] op_sel:[1,0,0] op_sel_hi:[0,0,1] neg_lo:[1,0,0]
	v_pk_fma_f32 v[106:107], v[110:111], v[100:101], v[106:107] op_sel_hi:[1,0,1]
	v_pk_fma_f32 v[100:101], v[32:33], v[100:101], v[108:109] op_sel_hi:[1,0,1]
	v_xor_b32_e32 v108, 0x80000000, v49
	s_wait_loadcnt 0x3
	v_pk_fma_f32 v[30:31], v[46:47], v[102:103], v[30:31] op_sel_hi:[1,0,1]
	v_mov_b32_e32 v109, v48
	v_pk_fma_f32 v[48:49], v[48:49], v[102:103], v[106:107] op_sel_hi:[1,0,1]
	v_pk_fma_f32 v[98:99], v[42:43], v[102:103], v[98:99] op_sel_hi:[1,0,1]
	;; [unrolled: 1-line block ×3, first 2 shown]
	v_pk_fma_f32 v[106:107], v[46:47], v[102:103], v[30:31] op_sel:[1,1,0] op_sel_hi:[0,1,1] neg_lo:[1,0,0]
	v_xor_b32_e32 v46, 0x80000000, v45
	v_mov_b32_e32 v47, v44
	v_pk_fma_f32 v[98:99], v[42:43], v[102:103], v[98:99] op_sel:[1,1,0] op_sel_hi:[0,1,1] neg_lo:[1,0,0]
	v_pk_fma_f32 v[108:109], v[108:109], v[102:103], v[48:49] op_sel:[0,1,0]
	v_xor_b32_e32 v110, 0x80000000, v65
	global_load_b128 v[22:25], v[8:9], off offset:8256
	v_pk_fma_f32 v[100:101], v[46:47], v[102:103], v[100:101] op_sel:[0,1,0]
	v_pk_fma_f32 v[102:103], v[38:39], v[104:105], v[106:107] op_sel_hi:[1,0,1]
	v_pk_fma_f32 v[106:107], v[40:41], v[104:105], v[108:109] op_sel_hi:[1,0,1]
	v_pk_fma_f32 v[98:99], v[34:35], v[104:105], v[98:99] op_sel_hi:[1,0,1]
	v_xor_b32_e32 v108, 0x80000000, v41
	v_pk_fma_f32 v[100:101], v[36:37], v[104:105], v[100:101] op_sel_hi:[1,0,1]
	v_dual_mov_b32 v104, v105 :: v_dual_mov_b32 v109, v40
	s_clause 0x3
	global_load_b128 v[42:45], v[8:9], off offset:12304
	global_load_b128 v[46:49], v[8:9], off offset:12288
	;; [unrolled: 1-line block ×4, first 2 shown]
	v_pk_fma_f32 v[102:103], v[38:39], v[104:105], v[102:103] op_sel:[1,0,0] op_sel_hi:[0,0,1] neg_lo:[1,0,0]
	v_xor_b32_e32 v38, 0x80000000, v37
	v_subrev_nc_u32_e32 v37, s12, v112
	v_mov_b32_e32 v111, v64
	v_pk_fma_f32 v[98:99], v[34:35], v[104:105], v[98:99] op_sel:[1,0,0] op_sel_hi:[0,0,1] neg_lo:[1,0,0]
	v_mov_b32_e32 v39, v36
	v_pk_fma_f32 v[106:107], v[108:109], v[104:105], v[106:107] op_sel_hi:[1,0,1]
	v_lshlrev_b32_e32 v34, 2, v37
	s_delay_alu instid0(VALU_DEP_3) | instskip(NEXT) | instid1(VALU_DEP_2)
	v_pk_fma_f32 v[100:101], v[38:39], v[104:105], v[100:101] op_sel_hi:[1,0,1]
	v_ashrrev_i32_e32 v35, 31, v34
	s_delay_alu instid0(VALU_DEP_1)
	v_lshl_add_u64 v[40:41], v[34:35], 3, s[4:5]
	s_clause 0x1
	global_load_b128 v[34:37], v[40:41], off
	global_load_b128 v[38:41], v[40:41], off offset:16
	s_wait_loadcnt 0x1
	v_pk_fma_f32 v[98:99], v[58:59], v[34:35], v[98:99] op_sel_hi:[1,0,1]
	v_pk_fma_f32 v[104:105], v[64:65], v[34:35], v[106:107] op_sel_hi:[1,0,1]
	;; [unrolled: 1-line block ×3, first 2 shown]
	v_xor_b32_e32 v106, 0x80000000, v61
	v_mov_b32_e32 v107, v60
	v_pk_fma_f32 v[108:109], v[58:59], v[34:35], v[98:99] op_sel:[1,1,0] op_sel_hi:[0,1,1] neg_lo:[1,0,0]
	v_subrev_nc_u32_e32 v98, s12, v113
	v_pk_fma_f32 v[104:105], v[110:111], v[34:35], v[104:105] op_sel:[0,1,0]
	v_mov_b32_e32 v110, v37
	v_pk_fma_f32 v[100:101], v[60:61], v[34:35], v[100:101] op_sel_hi:[1,0,1]
	v_pk_fma_f32 v[102:103], v[62:63], v[34:35], v[102:103] op_sel:[1,1,0] op_sel_hi:[0,1,1] neg_lo:[1,0,0]
	v_lshlrev_b32_e32 v98, 2, v98
	global_load_b128 v[62:65], v[8:9], off offset:12384
	v_pk_fma_f32 v[104:105], v[56:57], v[36:37], v[104:105] op_sel_hi:[1,0,1]
	v_pk_fma_f32 v[34:35], v[106:107], v[34:35], v[100:101] op_sel:[0,1,0]
	v_pk_fma_f32 v[102:103], v[54:55], v[36:37], v[102:103] op_sel_hi:[1,0,1]
	v_ashrrev_i32_e32 v99, 31, v98
	v_pk_fma_f32 v[106:107], v[50:51], v[36:37], v[108:109] op_sel_hi:[1,0,1]
	v_xor_b32_e32 v56, 0x80000000, v53
	v_pk_fma_f32 v[108:109], v[52:53], v[36:37], v[34:35] op_sel_hi:[1,0,1]
	v_pk_fma_f32 v[54:55], v[54:55], v[110:111], v[102:103] op_sel:[1,0,0] op_sel_hi:[0,0,1] neg_lo:[1,0,0]
	v_lshl_add_u64 v[112:113], v[98:99], 3, s[4:5]
	v_dual_mov_b32 v57, v52 :: v_dual_mov_b32 v103, v80
	v_subrev_nc_u32_e32 v52, s12, v116
	v_pk_fma_f32 v[106:107], v[50:51], v[110:111], v[106:107] op_sel:[1,0,0] op_sel_hi:[0,0,1] neg_lo:[1,0,0]
	s_clause 0x1
	global_load_b128 v[98:101], v[112:113], off
	global_load_b128 v[34:37], v[112:113], off offset:16
	v_pk_fma_f32 v[104:105], v[114:115], v[110:111], v[104:105] op_sel_hi:[1,0,1]
	v_lshlrev_b32_e32 v50, 2, v52
	v_pk_fma_f32 v[108:109], v[56:57], v[110:111], v[108:109] op_sel_hi:[1,0,1]
	s_wait_loadcnt 0x3
	v_pk_fma_f32 v[54:55], v[78:79], v[38:39], v[54:55] op_sel_hi:[1,0,1]
	v_xor_b32_e32 v102, 0x80000000, v81
	v_pk_fma_f32 v[80:81], v[80:81], v[38:39], v[104:105] op_sel_hi:[1,0,1]
	v_xor_b32_e32 v110, 0x80000000, v77
	v_dual_mov_b32 v111, v76 :: v_dual_ashrrev_i32 v51, 31, v50
	v_pk_fma_f32 v[104:105], v[78:79], v[38:39], v[54:55] op_sel:[1,1,0] op_sel_hi:[0,1,1] neg_lo:[1,0,0]
	v_pk_fma_f32 v[78:79], v[74:75], v[38:39], v[106:107] op_sel_hi:[1,0,1]
	v_pk_fma_f32 v[106:107], v[76:77], v[38:39], v[108:109] op_sel_hi:[1,0,1]
	v_pk_fma_f32 v[102:103], v[102:103], v[38:39], v[80:81] op_sel:[0,1,0]
	s_clause 0x1
	global_load_b128 v[58:61], v[8:9], off offset:12352
	global_load_b128 v[54:57], v[8:9], off offset:12368
	v_pk_fma_f32 v[108:109], v[74:75], v[38:39], v[78:79] op_sel:[1,1,0] op_sel_hi:[0,1,1] neg_lo:[1,0,0]
	v_pk_fma_f32 v[38:39], v[110:111], v[38:39], v[106:107] op_sel:[0,1,0]
	v_mov_b32_e32 v107, v72
	s_wait_xcnt 0x2
	v_lshl_add_u64 v[112:113], v[50:51], 3, s[4:5]
	global_load_b128 v[78:81], v[8:9], off offset:12400
	v_xor_b32_e32 v106, 0x80000000, v73
	v_pk_fma_f32 v[104:105], v[70:71], v[40:41], v[104:105] op_sel_hi:[1,0,1]
	v_pk_fma_f32 v[72:73], v[72:73], v[40:41], v[102:103] op_sel_hi:[1,0,1]
	s_clause 0x1
	global_load_b128 v[50:53], v[112:113], off
	global_load_b128 v[74:77], v[112:113], off offset:16
	v_pk_fma_f32 v[102:103], v[66:67], v[40:41], v[108:109] op_sel_hi:[1,0,1]
	v_pk_fma_f32 v[38:39], v[68:69], v[40:41], v[38:39] op_sel_hi:[1,0,1]
	v_mov_b32_e32 v40, v41
	v_xor_b32_e32 v108, 0x80000000, v69
	v_mov_b32_e32 v109, v68
	v_xor_b32_e32 v110, 0x80000000, v85
	v_mov_b32_e32 v111, v84
	v_pk_fma_f32 v[68:69], v[70:71], v[40:41], v[104:105] op_sel:[1,0,0] op_sel_hi:[0,0,1] neg_lo:[1,0,0]
	v_mov_b32_e32 v71, v96
	v_pk_fma_f32 v[66:67], v[66:67], v[40:41], v[102:103] op_sel:[1,0,0] op_sel_hi:[0,0,1] neg_lo:[1,0,0]
	v_pk_fma_f32 v[72:73], v[106:107], v[40:41], v[72:73] op_sel_hi:[1,0,1]
	v_pk_fma_f32 v[38:39], v[108:109], v[40:41], v[38:39] op_sel_hi:[1,0,1]
	v_xor_b32_e32 v70, 0x80000000, v97
	v_xor_b32_e32 v104, 0x80000000, v93
	v_dual_mov_b32 v105, v92 :: v_dual_mov_b32 v103, v88
	v_xor_b32_e32 v102, 0x80000000, v89
	v_mov_b32_e32 v107, v24
	v_xor_b32_e32 v106, 0x80000000, v25
	v_dual_mov_b32 v41, v12 :: v_dual_mov_b32 v109, v20
	v_xor_b32_e32 v108, 0x80000000, v21
	v_xor_b32_e32 v40, 0x80000000, v13
	s_wait_xcnt 0x2
	v_add_nc_u64_e32 v[8:9], 0x4000, v[8:9]
	v_cmp_ge_i32_e32 vcc_lo, v0, v1
	s_or_b32 s7, vcc_lo, s7
	s_wait_loadcnt 0x6
	v_pk_fma_f32 v[68:69], v[94:95], v[98:99], v[68:69] op_sel_hi:[1,0,1]
	v_pk_fma_f32 v[72:73], v[96:97], v[98:99], v[72:73] op_sel_hi:[1,0,1]
	;; [unrolled: 1-line block ×4, first 2 shown]
	v_mov_b32_e32 v97, v48
	v_pk_fma_f32 v[68:69], v[94:95], v[98:99], v[68:69] op_sel:[1,1,0] op_sel_hi:[0,1,1] neg_lo:[1,0,0]
	v_pk_fma_f32 v[70:71], v[70:71], v[98:99], v[72:73] op_sel:[0,1,0]
	v_pk_fma_f32 v[66:67], v[90:91], v[98:99], v[66:67] op_sel:[1,1,0] op_sel_hi:[0,1,1] neg_lo:[1,0,0]
	v_pk_fma_f32 v[38:39], v[104:105], v[98:99], v[38:39] op_sel:[0,1,0]
	v_dual_mov_b32 v98, v101 :: v_dual_mov_b32 v73, v64
	v_pk_fma_f32 v[68:69], v[86:87], v[100:101], v[68:69] op_sel_hi:[1,0,1]
	v_pk_fma_f32 v[70:71], v[88:89], v[100:101], v[70:71] op_sel_hi:[1,0,1]
	;; [unrolled: 1-line block ×4, first 2 shown]
	v_xor_b32_e32 v94, 0x80000000, v17
	v_pk_fma_f32 v[68:69], v[86:87], v[98:99], v[68:69] op_sel:[1,0,0] op_sel_hi:[0,0,1] neg_lo:[1,0,0]
	v_pk_fma_f32 v[70:71], v[102:103], v[98:99], v[70:71] op_sel_hi:[1,0,1]
	v_pk_fma_f32 v[66:67], v[82:83], v[98:99], v[66:67] op_sel:[1,0,0] op_sel_hi:[0,0,1] neg_lo:[1,0,0]
	v_pk_fma_f32 v[38:39], v[110:111], v[98:99], v[38:39] op_sel_hi:[1,0,1]
	v_mov_b32_e32 v95, v16
	s_wait_loadcnt 0x5
	v_pk_fma_f32 v[68:69], v[22:23], v[34:35], v[68:69] op_sel_hi:[1,0,1]
	v_pk_fma_f32 v[24:25], v[24:25], v[34:35], v[70:71] op_sel_hi:[1,0,1]
	;; [unrolled: 1-line block ×4, first 2 shown]
	v_mov_b32_e32 v83, v44
	v_pk_fma_f32 v[22:23], v[22:23], v[34:35], v[68:69] op_sel:[1,1,0] op_sel_hi:[0,1,1] neg_lo:[1,0,0]
	v_pk_fma_f32 v[24:25], v[106:107], v[34:35], v[24:25] op_sel:[0,1,0]
	v_pk_fma_f32 v[18:19], v[18:19], v[34:35], v[66:67] op_sel:[1,1,0] op_sel_hi:[0,1,1] neg_lo:[1,0,0]
	v_pk_fma_f32 v[20:21], v[108:109], v[34:35], v[20:21] op_sel:[0,1,0]
	v_mov_b32_e32 v34, v37
	v_pk_fma_f32 v[22:23], v[10:11], v[36:37], v[22:23] op_sel_hi:[1,0,1]
	v_pk_fma_f32 v[12:13], v[12:13], v[36:37], v[24:25] op_sel_hi:[1,0,1]
	;; [unrolled: 1-line block ×4, first 2 shown]
	v_xor_b32_e32 v96, 0x80000000, v49
	v_pk_fma_f32 v[10:11], v[10:11], v[34:35], v[22:23] op_sel:[1,0,0] op_sel_hi:[0,0,1] neg_lo:[1,0,0]
	v_pk_fma_f32 v[12:13], v[40:41], v[34:35], v[12:13] op_sel_hi:[1,0,1]
	v_pk_fma_f32 v[14:15], v[14:15], v[34:35], v[18:19] op_sel:[1,0,0] op_sel_hi:[0,0,1] neg_lo:[1,0,0]
	v_pk_fma_f32 v[16:17], v[94:95], v[34:35], v[16:17] op_sel_hi:[1,0,1]
	v_xor_b32_e32 v82, 0x80000000, v45
	s_wait_loadcnt 0x1
	v_pk_fma_f32 v[10:11], v[46:47], v[50:51], v[10:11] op_sel_hi:[1,0,1]
	v_pk_fma_f32 v[12:13], v[48:49], v[50:51], v[12:13] op_sel_hi:[1,0,1]
	;; [unrolled: 1-line block ×4, first 2 shown]
	v_xor_b32_e32 v90, 0x80000000, v33
	v_pk_fma_f32 v[10:11], v[46:47], v[50:51], v[10:11] op_sel:[1,1,0] op_sel_hi:[0,1,1] neg_lo:[1,0,0]
	v_pk_fma_f32 v[12:13], v[96:97], v[50:51], v[12:13] op_sel:[0,1,0]
	v_pk_fma_f32 v[14:15], v[42:43], v[50:51], v[14:15] op_sel:[1,1,0] op_sel_hi:[0,1,1] neg_lo:[1,0,0]
	v_pk_fma_f32 v[16:17], v[82:83], v[50:51], v[16:17] op_sel:[0,1,0]
	v_dual_mov_b32 v91, v32 :: v_dual_mov_b32 v93, v60
	v_xor_b32_e32 v20, 0x80000000, v29
	v_dual_mov_b32 v21, v28 :: v_dual_mov_b32 v22, v53
	v_pk_fma_f32 v[10:11], v[30:31], v[52:53], v[10:11] op_sel_hi:[1,0,1]
	v_pk_fma_f32 v[12:13], v[32:33], v[52:53], v[12:13] op_sel_hi:[1,0,1]
	;; [unrolled: 1-line block ×4, first 2 shown]
	v_xor_b32_e32 v92, 0x80000000, v61
	v_pk_fma_f32 v[10:11], v[30:31], v[22:23], v[10:11] op_sel:[1,0,0] op_sel_hi:[0,0,1] neg_lo:[1,0,0]
	v_pk_fma_f32 v[12:13], v[90:91], v[22:23], v[12:13] op_sel_hi:[1,0,1]
	v_pk_fma_f32 v[14:15], v[26:27], v[22:23], v[14:15] op_sel:[1,0,0] op_sel_hi:[0,0,1] neg_lo:[1,0,0]
	v_pk_fma_f32 v[16:17], v[20:21], v[22:23], v[16:17] op_sel_hi:[1,0,1]
	v_xor_b32_e32 v18, 0x80000000, v57
	v_dual_mov_b32 v19, v56 :: v_dual_mov_b32 v21, v80
	s_wait_loadcnt 0x0
	v_pk_fma_f32 v[10:11], v[58:59], v[74:75], v[10:11] op_sel_hi:[1,0,1]
	v_pk_fma_f32 v[12:13], v[60:61], v[74:75], v[12:13] op_sel_hi:[1,0,1]
	;; [unrolled: 1-line block ×4, first 2 shown]
	v_xor_b32_e32 v72, 0x80000000, v65
	v_pk_fma_f32 v[10:11], v[58:59], v[74:75], v[10:11] op_sel:[1,1,0] op_sel_hi:[0,1,1] neg_lo:[1,0,0]
	v_pk_fma_f32 v[12:13], v[92:93], v[74:75], v[12:13] op_sel:[0,1,0]
	v_pk_fma_f32 v[14:15], v[54:55], v[74:75], v[14:15] op_sel:[1,1,0] op_sel_hi:[0,1,1] neg_lo:[1,0,0]
	v_pk_fma_f32 v[16:17], v[18:19], v[74:75], v[16:17] op_sel:[0,1,0]
	v_xor_b32_e32 v20, 0x80000000, v81
	v_mov_b32_e32 v18, v77
	v_pk_fma_f32 v[10:11], v[62:63], v[76:77], v[10:11] op_sel_hi:[1,0,1]
	v_pk_fma_f32 v[12:13], v[64:65], v[76:77], v[12:13] op_sel_hi:[1,0,1]
	;; [unrolled: 1-line block ×4, first 2 shown]
	s_delay_alu instid0(VALU_DEP_4) | instskip(NEXT) | instid1(VALU_DEP_4)
	v_pk_fma_f32 v[16:17], v[62:63], v[18:19], v[10:11] op_sel:[1,0,0] op_sel_hi:[0,0,1] neg_lo:[1,0,0]
	v_pk_fma_f32 v[14:15], v[72:73], v[18:19], v[12:13] op_sel_hi:[1,0,1]
	s_delay_alu instid0(VALU_DEP_4) | instskip(NEXT) | instid1(VALU_DEP_4)
	v_pk_fma_f32 v[12:13], v[78:79], v[18:19], v[22:23] op_sel:[1,0,0] op_sel_hi:[0,0,1] neg_lo:[1,0,0]
	v_pk_fma_f32 v[10:11], v[20:21], v[18:19], v[24:25] op_sel_hi:[1,0,1]
	s_and_not1_b32 exec_lo, exec_lo, s7
	s_cbranch_execnz .LBB13_29
; %bb.30:
	s_or_b32 exec_lo, exec_lo, s7
.LBB13_31:
	s_delay_alu instid0(SALU_CYCLE_1)
	s_or_b32 exec_lo, exec_lo, s3
.LBB13_32:
	s_delay_alu instid0(SALU_CYCLE_1)
	s_or_b32 exec_lo, exec_lo, s6
.LBB13_33:
	v_mbcnt_lo_u32_b32 v0, -1, 0
	s_delay_alu instid0(VALU_DEP_1) | instskip(SKIP_1) | instid1(VALU_DEP_1)
	v_xor_b32_e32 v23, 8, v0
	v_xor_b32_e32 v1, 16, v0
	v_cmp_gt_i32_e32 vcc_lo, 32, v1
	v_cndmask_b32_e32 v1, v0, v1, vcc_lo
	s_delay_alu instid0(VALU_DEP_4) | instskip(SKIP_1) | instid1(VALU_DEP_1)
	v_cmp_gt_i32_e32 vcc_lo, 32, v23
	v_cndmask_b32_e32 v23, v0, v23, vcc_lo
	v_dual_lshlrev_b32 v23, 2, v23 :: v_dual_lshlrev_b32 v1, 2, v1
	ds_bpermute_b32 v8, v1, v16
	s_wait_dscnt 0x0
	v_add_f32_e32 v8, v16, v8
	ds_bpermute_b32 v9, v1, v17
	ds_bpermute_b32 v18, v1, v14
	;; [unrolled: 1-line block ×7, first 2 shown]
	s_wait_dscnt 0x5
	v_dual_add_f32 v9, v17, v9 :: v_dual_add_f32 v14, v14, v18
	s_wait_dscnt 0x3
	v_dual_add_f32 v15, v15, v19 :: v_dual_add_f32 v12, v12, v20
	;; [unrolled: 2-line block ×3, first 2 shown]
	s_wait_dscnt 0x0
	v_add_f32_e32 v1, v11, v1
	ds_bpermute_b32 v11, v23, v8
	ds_bpermute_b32 v16, v23, v9
	;; [unrolled: 1-line block ×8, first 2 shown]
	s_wait_dscnt 0x7
	v_dual_add_f32 v8, v8, v11 :: v_dual_bitop2_b32 v23, 4, v0 bitop3:0x14
	s_delay_alu instid0(VALU_DEP_1)
	v_cmp_gt_i32_e32 vcc_lo, 32, v23
	s_wait_dscnt 0x5
	v_dual_add_f32 v9, v9, v16 :: v_dual_add_f32 v11, v14, v17
	s_wait_dscnt 0x3
	v_dual_add_f32 v14, v15, v18 :: v_dual_add_f32 v12, v12, v19
	s_wait_dscnt 0x2
	v_dual_cndmask_b32 v23, v0, v23, vcc_lo :: v_dual_add_f32 v13, v13, v20
	s_wait_dscnt 0x0
	v_dual_add_f32 v10, v10, v21 :: v_dual_add_f32 v1, v1, v22
	s_delay_alu instid0(VALU_DEP_2)
	v_lshlrev_b32_e32 v23, 2, v23
	ds_bpermute_b32 v15, v23, v8
	ds_bpermute_b32 v16, v23, v9
	;; [unrolled: 1-line block ×8, first 2 shown]
	v_xor_b32_e32 v23, 2, v0
	s_delay_alu instid0(VALU_DEP_1) | instskip(SKIP_4) | instid1(VALU_DEP_2)
	v_cmp_gt_i32_e32 vcc_lo, 32, v23
	v_cndmask_b32_e32 v23, v0, v23, vcc_lo
	s_wait_dscnt 0x6
	v_dual_add_f32 v8, v8, v15 :: v_dual_add_f32 v9, v9, v16
	s_wait_dscnt 0x5
	v_dual_add_f32 v11, v11, v17 :: v_dual_lshlrev_b32 v23, 2, v23
	s_wait_dscnt 0x3
	v_dual_add_f32 v14, v14, v18 :: v_dual_add_f32 v12, v12, v19
	s_wait_dscnt 0x1
	v_dual_add_f32 v13, v13, v20 :: v_dual_add_f32 v15, v10, v21
	s_wait_dscnt 0x0
	v_add_f32_e32 v16, v1, v22
	ds_bpermute_b32 v1, v23, v8
	ds_bpermute_b32 v10, v23, v9
	;; [unrolled: 1-line block ×8, first 2 shown]
	v_xor_b32_e32 v23, 1, v0
	s_delay_alu instid0(VALU_DEP_1) | instskip(SKIP_3) | instid1(VALU_DEP_2)
	v_cmp_gt_i32_e32 vcc_lo, 32, v23
	v_cndmask_b32_e32 v0, v0, v23, vcc_lo
	v_cmp_eq_u32_e32 vcc_lo, 31, v7
	s_wait_dscnt 0x7
	v_dual_add_f32 v0, v8, v1 :: v_dual_lshlrev_b32 v23, 2, v0
	s_wait_dscnt 0x5
	v_dual_add_f32 v1, v9, v10 :: v_dual_add_f32 v8, v11, v17
	s_wait_dscnt 0x3
	v_dual_add_f32 v9, v14, v18 :: v_dual_add_f32 v10, v12, v19
	;; [unrolled: 2-line block ×3, first 2 shown]
	s_wait_dscnt 0x0
	v_add_f32_e32 v13, v16, v22
	ds_bpermute_b32 v14, v23, v0
	ds_bpermute_b32 v15, v23, v1
	;; [unrolled: 1-line block ×8, first 2 shown]
	s_and_b32 exec_lo, exec_lo, vcc_lo
	s_cbranch_execz .LBB13_6
; %bb.34:
	s_load_b64 s[0:1], s[0:1], 0x50
	v_cmp_eq_f32_e32 vcc_lo, 0, v4
	s_wait_dscnt 0x6
	v_dual_add_f32 v0, v0, v14 :: v_dual_add_f32 v22, v1, v15
	s_wait_dscnt 0x4
	v_dual_add_f32 v8, v8, v16 :: v_dual_add_f32 v20, v9, v17
	;; [unrolled: 2-line block ×4, first 2 shown]
	v_xor_b32_e32 v18, 0x80000000, v3
	v_lshlrev_b32_e32 v6, 2, v6
	s_xor_b32 s2, s2, -1
	s_delay_alu instid0(SALU_CYCLE_1) | instskip(NEXT) | instid1(SALU_CYCLE_1)
	s_and_b32 s2, vcc_lo, s2
	s_and_saveexec_b32 s3, s2
	s_delay_alu instid0(SALU_CYCLE_1)
	s_xor_b32 s2, exec_lo, s3
	s_cbranch_execz .LBB13_36
; %bb.35:
	v_dual_mov_b32 v19, v2 :: v_dual_ashrrev_i32 v7, 31, v6
	s_delay_alu instid0(VALU_DEP_1)
	v_pk_mul_f32 v[4:5], v[22:23], v[18:19] op_sel_hi:[0,1]
	v_pk_mul_f32 v[20:21], v[20:21], v[18:19] op_sel_hi:[0,1]
	;; [unrolled: 1-line block ×4, first 2 shown]
	s_wait_kmcnt 0x0
	v_lshl_add_u64 v[18:19], v[6:7], 3, s[0:1]
	v_pk_fma_f32 v[4:5], v[2:3], v[0:1], v[4:5] op_sel_hi:[1,0,1]
	v_pk_fma_f32 v[6:7], v[2:3], v[8:9], v[20:21] op_sel_hi:[1,0,1]
	;; [unrolled: 1-line block ×4, first 2 shown]
                                        ; implicit-def: $vgpr22
                                        ; implicit-def: $vgpr8
                                        ; implicit-def: $vgpr20
                                        ; implicit-def: $vgpr10
                                        ; implicit-def: $vgpr16
                                        ; implicit-def: $vgpr12
                                        ; implicit-def: $vgpr14
	s_clause 0x1
	global_store_b128 v[18:19], v[4:7], off
	global_store_b128 v[18:19], v[0:3], off offset:16
                                        ; implicit-def: $vgpr0
                                        ; implicit-def: $vgpr2_vgpr3
                                        ; implicit-def: $vgpr4_vgpr5
                                        ; implicit-def: $vgpr18
                                        ; implicit-def: $vgpr6
.LBB13_36:
	s_wait_xcnt 0x0
	s_and_not1_saveexec_b32 s2, s2
	s_cbranch_execz .LBB13_6
; %bb.37:
	v_dual_ashrrev_i32 v7, 31, v6 :: v_dual_mov_b32 v19, v2
	s_wait_kmcnt 0x0
	s_delay_alu instid0(VALU_DEP_1) | instskip(NEXT) | instid1(VALU_DEP_2)
	v_lshl_add_u64 v[32:33], v[6:7], 3, s[0:1]
	v_pk_mul_f32 v[6:7], v[22:23], v[18:19] op_sel_hi:[0,1]
	v_pk_mul_f32 v[20:21], v[20:21], v[18:19] op_sel_hi:[0,1]
	;; [unrolled: 1-line block ×4, first 2 shown]
	s_clause 0x1
	global_load_b128 v[24:27], v[32:33], off
	global_load_b128 v[28:31], v[32:33], off offset:16
	v_pk_fma_f32 v[0:1], v[2:3], v[0:1], v[6:7] op_sel_hi:[1,0,1]
	v_pk_fma_f32 v[6:7], v[2:3], v[8:9], v[20:21] op_sel_hi:[1,0,1]
	;; [unrolled: 1-line block ×4, first 2 shown]
	v_xor_b32_e32 v22, 0x80000000, v5
	s_wait_loadcnt 0x1
	v_dual_mov_b32 v23, v4 :: v_dual_mov_b32 v10, v27
	v_pk_fma_f32 v[0:1], v[4:5], v[24:25], v[0:1] op_sel_hi:[1,0,1]
	v_pk_fma_f32 v[6:7], v[4:5], v[26:27], v[6:7] op_sel_hi:[1,0,1]
	s_wait_loadcnt 0x0
	v_pk_fma_f32 v[8:9], v[4:5], v[28:29], v[8:9] op_sel_hi:[1,0,1]
	v_pk_fma_f32 v[12:13], v[4:5], v[30:31], v[2:3] op_sel_hi:[1,0,1]
	v_mov_b32_e32 v14, v31
	v_pk_fma_f32 v[0:1], v[22:23], v[24:25], v[0:1] op_sel:[0,1,0]
	v_pk_fma_f32 v[2:3], v[22:23], v[10:11], v[6:7] op_sel_hi:[1,0,1]
	v_pk_fma_f32 v[4:5], v[22:23], v[28:29], v[8:9] op_sel:[0,1,0]
	s_delay_alu instid0(VALU_DEP_4)
	v_pk_fma_f32 v[6:7], v[22:23], v[14:15], v[12:13] op_sel_hi:[1,0,1]
	s_clause 0x1
	global_store_b128 v[32:33], v[0:3], off
	global_store_b128 v[32:33], v[4:7], off offset:16
	s_sendmsg sendmsg(MSG_DEALLOC_VGPRS)
	s_endpgm
	.section	.rodata,"a",@progbits
	.p2align	6, 0x0
	.amdhsa_kernel _ZN9rocsparseL18bsrxmvn_4x4_kernelILj128ELj32E21rocsparse_complex_numIfEiiS2_S2_S2_EEvT3_20rocsparse_direction_NS_24const_host_device_scalarIT1_EES3_PKS3_PKT2_SC_S9_PKT4_PKT5_S7_PT6_21rocsparse_index_base_b
		.amdhsa_group_segment_fixed_size 0
		.amdhsa_private_segment_fixed_size 0
		.amdhsa_kernarg_size 96
		.amdhsa_user_sgpr_count 2
		.amdhsa_user_sgpr_dispatch_ptr 0
		.amdhsa_user_sgpr_queue_ptr 0
		.amdhsa_user_sgpr_kernarg_segment_ptr 1
		.amdhsa_user_sgpr_dispatch_id 0
		.amdhsa_user_sgpr_kernarg_preload_length 0
		.amdhsa_user_sgpr_kernarg_preload_offset 0
		.amdhsa_user_sgpr_private_segment_size 0
		.amdhsa_wavefront_size32 1
		.amdhsa_uses_dynamic_stack 0
		.amdhsa_enable_private_segment 0
		.amdhsa_system_sgpr_workgroup_id_x 1
		.amdhsa_system_sgpr_workgroup_id_y 0
		.amdhsa_system_sgpr_workgroup_id_z 0
		.amdhsa_system_sgpr_workgroup_info 0
		.amdhsa_system_vgpr_workitem_id 0
		.amdhsa_next_free_vgpr 139
		.amdhsa_next_free_sgpr 16
		.amdhsa_named_barrier_count 0
		.amdhsa_reserve_vcc 1
		.amdhsa_float_round_mode_32 0
		.amdhsa_float_round_mode_16_64 0
		.amdhsa_float_denorm_mode_32 3
		.amdhsa_float_denorm_mode_16_64 3
		.amdhsa_fp16_overflow 0
		.amdhsa_memory_ordered 1
		.amdhsa_forward_progress 1
		.amdhsa_inst_pref_size 63
		.amdhsa_round_robin_scheduling 0
		.amdhsa_exception_fp_ieee_invalid_op 0
		.amdhsa_exception_fp_denorm_src 0
		.amdhsa_exception_fp_ieee_div_zero 0
		.amdhsa_exception_fp_ieee_overflow 0
		.amdhsa_exception_fp_ieee_underflow 0
		.amdhsa_exception_fp_ieee_inexact 0
		.amdhsa_exception_int_div_zero 0
	.end_amdhsa_kernel
	.section	.text._ZN9rocsparseL18bsrxmvn_4x4_kernelILj128ELj32E21rocsparse_complex_numIfEiiS2_S2_S2_EEvT3_20rocsparse_direction_NS_24const_host_device_scalarIT1_EES3_PKS3_PKT2_SC_S9_PKT4_PKT5_S7_PT6_21rocsparse_index_base_b,"axG",@progbits,_ZN9rocsparseL18bsrxmvn_4x4_kernelILj128ELj32E21rocsparse_complex_numIfEiiS2_S2_S2_EEvT3_20rocsparse_direction_NS_24const_host_device_scalarIT1_EES3_PKS3_PKT2_SC_S9_PKT4_PKT5_S7_PT6_21rocsparse_index_base_b,comdat
.Lfunc_end13:
	.size	_ZN9rocsparseL18bsrxmvn_4x4_kernelILj128ELj32E21rocsparse_complex_numIfEiiS2_S2_S2_EEvT3_20rocsparse_direction_NS_24const_host_device_scalarIT1_EES3_PKS3_PKT2_SC_S9_PKT4_PKT5_S7_PT6_21rocsparse_index_base_b, .Lfunc_end13-_ZN9rocsparseL18bsrxmvn_4x4_kernelILj128ELj32E21rocsparse_complex_numIfEiiS2_S2_S2_EEvT3_20rocsparse_direction_NS_24const_host_device_scalarIT1_EES3_PKS3_PKT2_SC_S9_PKT4_PKT5_S7_PT6_21rocsparse_index_base_b
                                        ; -- End function
	.set _ZN9rocsparseL18bsrxmvn_4x4_kernelILj128ELj32E21rocsparse_complex_numIfEiiS2_S2_S2_EEvT3_20rocsparse_direction_NS_24const_host_device_scalarIT1_EES3_PKS3_PKT2_SC_S9_PKT4_PKT5_S7_PT6_21rocsparse_index_base_b.num_vgpr, 139
	.set _ZN9rocsparseL18bsrxmvn_4x4_kernelILj128ELj32E21rocsparse_complex_numIfEiiS2_S2_S2_EEvT3_20rocsparse_direction_NS_24const_host_device_scalarIT1_EES3_PKS3_PKT2_SC_S9_PKT4_PKT5_S7_PT6_21rocsparse_index_base_b.num_agpr, 0
	.set _ZN9rocsparseL18bsrxmvn_4x4_kernelILj128ELj32E21rocsparse_complex_numIfEiiS2_S2_S2_EEvT3_20rocsparse_direction_NS_24const_host_device_scalarIT1_EES3_PKS3_PKT2_SC_S9_PKT4_PKT5_S7_PT6_21rocsparse_index_base_b.numbered_sgpr, 16
	.set _ZN9rocsparseL18bsrxmvn_4x4_kernelILj128ELj32E21rocsparse_complex_numIfEiiS2_S2_S2_EEvT3_20rocsparse_direction_NS_24const_host_device_scalarIT1_EES3_PKS3_PKT2_SC_S9_PKT4_PKT5_S7_PT6_21rocsparse_index_base_b.num_named_barrier, 0
	.set _ZN9rocsparseL18bsrxmvn_4x4_kernelILj128ELj32E21rocsparse_complex_numIfEiiS2_S2_S2_EEvT3_20rocsparse_direction_NS_24const_host_device_scalarIT1_EES3_PKS3_PKT2_SC_S9_PKT4_PKT5_S7_PT6_21rocsparse_index_base_b.private_seg_size, 0
	.set _ZN9rocsparseL18bsrxmvn_4x4_kernelILj128ELj32E21rocsparse_complex_numIfEiiS2_S2_S2_EEvT3_20rocsparse_direction_NS_24const_host_device_scalarIT1_EES3_PKS3_PKT2_SC_S9_PKT4_PKT5_S7_PT6_21rocsparse_index_base_b.uses_vcc, 1
	.set _ZN9rocsparseL18bsrxmvn_4x4_kernelILj128ELj32E21rocsparse_complex_numIfEiiS2_S2_S2_EEvT3_20rocsparse_direction_NS_24const_host_device_scalarIT1_EES3_PKS3_PKT2_SC_S9_PKT4_PKT5_S7_PT6_21rocsparse_index_base_b.uses_flat_scratch, 1
	.set _ZN9rocsparseL18bsrxmvn_4x4_kernelILj128ELj32E21rocsparse_complex_numIfEiiS2_S2_S2_EEvT3_20rocsparse_direction_NS_24const_host_device_scalarIT1_EES3_PKS3_PKT2_SC_S9_PKT4_PKT5_S7_PT6_21rocsparse_index_base_b.has_dyn_sized_stack, 0
	.set _ZN9rocsparseL18bsrxmvn_4x4_kernelILj128ELj32E21rocsparse_complex_numIfEiiS2_S2_S2_EEvT3_20rocsparse_direction_NS_24const_host_device_scalarIT1_EES3_PKS3_PKT2_SC_S9_PKT4_PKT5_S7_PT6_21rocsparse_index_base_b.has_recursion, 0
	.set _ZN9rocsparseL18bsrxmvn_4x4_kernelILj128ELj32E21rocsparse_complex_numIfEiiS2_S2_S2_EEvT3_20rocsparse_direction_NS_24const_host_device_scalarIT1_EES3_PKS3_PKT2_SC_S9_PKT4_PKT5_S7_PT6_21rocsparse_index_base_b.has_indirect_call, 0
	.section	.AMDGPU.csdata,"",@progbits
; Kernel info:
; codeLenInByte = 8064
; TotalNumSgprs: 18
; NumVgprs: 139
; ScratchSize: 0
; MemoryBound: 0
; FloatMode: 240
; IeeeMode: 1
; LDSByteSize: 0 bytes/workgroup (compile time only)
; SGPRBlocks: 0
; VGPRBlocks: 8
; NumSGPRsForWavesPerEU: 18
; NumVGPRsForWavesPerEU: 139
; NamedBarCnt: 0
; Occupancy: 7
; WaveLimiterHint : 1
; COMPUTE_PGM_RSRC2:SCRATCH_EN: 0
; COMPUTE_PGM_RSRC2:USER_SGPR: 2
; COMPUTE_PGM_RSRC2:TRAP_HANDLER: 0
; COMPUTE_PGM_RSRC2:TGID_X_EN: 1
; COMPUTE_PGM_RSRC2:TGID_Y_EN: 0
; COMPUTE_PGM_RSRC2:TGID_Z_EN: 0
; COMPUTE_PGM_RSRC2:TIDIG_COMP_CNT: 0
	.section	.text._ZN9rocsparseL18bsrxmvn_4x4_kernelILj128ELj64E21rocsparse_complex_numIfEiiS2_S2_S2_EEvT3_20rocsparse_direction_NS_24const_host_device_scalarIT1_EES3_PKS3_PKT2_SC_S9_PKT4_PKT5_S7_PT6_21rocsparse_index_base_b,"axG",@progbits,_ZN9rocsparseL18bsrxmvn_4x4_kernelILj128ELj64E21rocsparse_complex_numIfEiiS2_S2_S2_EEvT3_20rocsparse_direction_NS_24const_host_device_scalarIT1_EES3_PKS3_PKT2_SC_S9_PKT4_PKT5_S7_PT6_21rocsparse_index_base_b,comdat
	.globl	_ZN9rocsparseL18bsrxmvn_4x4_kernelILj128ELj64E21rocsparse_complex_numIfEiiS2_S2_S2_EEvT3_20rocsparse_direction_NS_24const_host_device_scalarIT1_EES3_PKS3_PKT2_SC_S9_PKT4_PKT5_S7_PT6_21rocsparse_index_base_b ; -- Begin function _ZN9rocsparseL18bsrxmvn_4x4_kernelILj128ELj64E21rocsparse_complex_numIfEiiS2_S2_S2_EEvT3_20rocsparse_direction_NS_24const_host_device_scalarIT1_EES3_PKS3_PKT2_SC_S9_PKT4_PKT5_S7_PT6_21rocsparse_index_base_b
	.p2align	8
	.type	_ZN9rocsparseL18bsrxmvn_4x4_kernelILj128ELj64E21rocsparse_complex_numIfEiiS2_S2_S2_EEvT3_20rocsparse_direction_NS_24const_host_device_scalarIT1_EES3_PKS3_PKT2_SC_S9_PKT4_PKT5_S7_PT6_21rocsparse_index_base_b,@function
_ZN9rocsparseL18bsrxmvn_4x4_kernelILj128ELj64E21rocsparse_complex_numIfEiiS2_S2_S2_EEvT3_20rocsparse_direction_NS_24const_host_device_scalarIT1_EES3_PKS3_PKT2_SC_S9_PKT4_PKT5_S7_PT6_21rocsparse_index_base_b: ; @_ZN9rocsparseL18bsrxmvn_4x4_kernelILj128ELj64E21rocsparse_complex_numIfEiiS2_S2_S2_EEvT3_20rocsparse_direction_NS_24const_host_device_scalarIT1_EES3_PKS3_PKT2_SC_S9_PKT4_PKT5_S7_PT6_21rocsparse_index_base_b
; %bb.0:
	s_clause 0x2
	s_load_b64 s[12:13], s[0:1], 0x58
	s_load_b64 s[2:3], s[0:1], 0x8
	;; [unrolled: 1-line block ×3, first 2 shown]
	v_mov_b32_e32 v1, 0
	s_add_nc_u64 s[6:7], s[0:1], 8
	s_add_nc_u64 s[8:9], s[0:1], 0x48
	s_wait_kmcnt 0x0
	s_bitcmp1_b32 s13, 0
	s_cselect_b32 s3, s7, s3
	s_cselect_b32 s2, s6, s2
	;; [unrolled: 1-line block ×4, first 2 shown]
	s_clause 0x1
	flat_load_b64 v[2:3], v1, s[2:3]
	flat_load_b64 v[4:5], v1, s[4:5]
	s_wait_loadcnt_dscnt 0x101
	v_cmp_neq_f32_e32 vcc_lo, 0, v2
	v_cmp_neq_f32_e64 s3, 0, v3
	s_wait_loadcnt_dscnt 0x0
	v_cmp_neq_f32_e64 s4, 1.0, v4
	v_cmp_neq_f32_e64 s2, 0, v5
	s_or_b32 s5, vcc_lo, s3
	s_mov_b32 s3, 0
	s_or_b32 s4, s4, s2
	s_delay_alu instid0(SALU_CYCLE_1) | instskip(NEXT) | instid1(SALU_CYCLE_1)
	s_or_b32 s4, s5, s4
	s_and_saveexec_b32 s5, s4
	s_cbranch_execz .LBB14_6
; %bb.1:
	s_clause 0x1
	s_load_b64 s[4:5], s[0:1], 0x18
	s_load_b64 s[14:15], s[0:1], 0x0
	s_bfe_u32 s6, ttmp6, 0x4000c
	s_and_b32 s7, ttmp6, 15
	s_add_co_i32 s6, s6, 1
	s_getreg_b32 s8, hwreg(HW_REG_IB_STS2, 6, 4)
	s_mul_i32 s6, ttmp9, s6
	v_lshrrev_b32_e32 v1, 6, v0
	s_add_co_i32 s7, s7, s6
	s_cmp_eq_u32 s8, 0
	s_cselect_b32 s6, ttmp9, s7
	s_delay_alu instid0(VALU_DEP_1) | instid1(SALU_CYCLE_1)
	v_lshl_or_b32 v6, s6, 1, v1
	s_wait_kmcnt 0x0
	s_cmp_lg_u64 s[4:5], 0
	s_cbranch_scc0 .LBB14_7
; %bb.2:
	s_load_b32 s3, s[0:1], 0x10
	s_mov_b32 s6, 0
                                        ; implicit-def: $vgpr1
	s_wait_kmcnt 0x0
	v_cmp_gt_i32_e32 vcc_lo, s3, v6
	s_mov_b32 s3, 0
	s_and_saveexec_b32 s7, vcc_lo
	s_delay_alu instid0(SALU_CYCLE_1)
	s_xor_b32 s7, exec_lo, s7
	s_cbranch_execz .LBB14_4
; %bb.3:
	global_load_b32 v1, v6, s[4:5] scale_offset
	s_mov_b32 s3, exec_lo
	s_wait_loadcnt 0x0
	v_subrev_nc_u32_e32 v1, s12, v1
.LBB14_4:
	s_or_b32 exec_lo, exec_lo, s7
	s_delay_alu instid0(SALU_CYCLE_1)
	s_and_b32 vcc_lo, exec_lo, s6
	s_cbranch_vccz .LBB14_8
.LBB14_5:
	v_cmp_gt_i32_e32 vcc_lo, s14, v6
	s_and_not1_b32 s3, s3, exec_lo
	s_and_b32 s4, vcc_lo, exec_lo
	s_delay_alu instid0(SALU_CYCLE_1) | instskip(NEXT) | instid1(SALU_CYCLE_1)
	s_or_b32 s3, s3, s4
	s_and_b32 exec_lo, exec_lo, s3
	s_cbranch_execnz .LBB14_9
.LBB14_6:
	s_sendmsg sendmsg(MSG_DEALLOC_VGPRS)
	s_endpgm
.LBB14_7:
                                        ; implicit-def: $vgpr1
	s_cbranch_execnz .LBB14_5
.LBB14_8:
	s_delay_alu instid0(VALU_DEP_1)
	v_mov_b32_e32 v6, v1
	s_and_b32 exec_lo, exec_lo, s3
	s_cbranch_execz .LBB14_6
.LBB14_9:
	s_load_b256 s[4:11], s[0:1], 0x20
	s_wait_kmcnt 0x0
	s_cmp_eq_u64 s[6:7], 0
	global_load_b32 v20, v6, s[4:5] scale_offset
	s_cselect_b32 vcc_lo, -1, 0
	v_ashrrev_i32_e32 v7, 31, v6
	s_cmp_eq_u32 s15, 1
	s_delay_alu instid0(VALU_DEP_1) | instskip(SKIP_1) | instid1(VALU_DEP_2)
	v_lshlrev_b64_e32 v[8:9], 2, v[6:7]
	v_and_b32_e32 v7, 63, v0
	v_add_nc_u64_e32 v[10:11], s[4:5], v[8:9]
	v_add_nc_u64_e32 v[8:9], s[6:7], v[8:9]
	s_wait_xcnt 0x0
	s_load_b64 s[4:5], s[0:1], 0x40
	s_delay_alu instid0(VALU_DEP_2) | instskip(NEXT) | instid1(VALU_DEP_1)
	v_add_nc_u64_e32 v[10:11], 4, v[10:11]
	v_dual_cndmask_b32 v9, v9, v11 :: v_dual_cndmask_b32 v8, v8, v10
	global_load_b32 v10, v[8:9], off
	s_wait_loadcnt 0x1
	v_subrev_nc_u32_e32 v0, s12, v20
	s_delay_alu instid0(VALU_DEP_1) | instskip(NEXT) | instid1(VALU_DEP_1)
	v_add_nc_u32_e32 v0, v0, v7
	v_ashrrev_i32_e32 v1, 31, v0
	s_wait_xcnt 0x0
	s_delay_alu instid0(VALU_DEP_1) | instskip(NEXT) | instid1(VALU_DEP_1)
	v_lshlrev_b64_e32 v[8:9], 7, v[0:1]
	v_add_nc_u64_e32 v[8:9], s[10:11], v[8:9]
	s_wait_loadcnt 0x0
	v_subrev_nc_u32_e32 v1, s12, v10
	s_delay_alu instid0(VALU_DEP_1)
	v_cmp_lt_i32_e64 s3, v0, v1
	s_cbranch_scc1 .LBB14_21
; %bb.10:
	v_dual_mov_b32 v17, 0 :: v_dual_mov_b32 v16, 0
	v_dual_mov_b32 v11, 0 :: v_dual_mov_b32 v10, 0
	;; [unrolled: 1-line block ×4, first 2 shown]
	s_and_saveexec_b32 s6, s3
	s_cbranch_execz .LBB14_20
; %bb.11:
	v_add_nc_u32_e32 v10, v20, v7
	v_not_b32_e32 v11, v20
	v_mov_b64_e32 v[16:17], 0
	v_mov_b64_e32 v[12:13], 0
	;; [unrolled: 1-line block ×3, first 2 shown]
	v_subrev_nc_u32_e32 v10, s12, v10
	v_mov_b64_e32 v[18:19], v[8:9]
	s_delay_alu instid0(VALU_DEP_2) | instskip(NEXT) | instid1(VALU_DEP_1)
	v_add_max_i32_e64 v10, v10, 64, v1
	v_add3_u32 v10, s12, v10, v11
	s_delay_alu instid0(VALU_DEP_1) | instskip(SKIP_1) | instid1(VALU_DEP_2)
	v_sub_nc_u32_e32 v22, v10, v7
	v_mov_b64_e32 v[10:11], 0
	v_and_b32_e32 v21, 0xc0, v22
	s_delay_alu instid0(VALU_DEP_1)
	v_cmp_ne_u32_e32 vcc_lo, 0xc0, v21
	v_mov_b32_e32 v21, v0
	s_and_saveexec_b32 s7, vcc_lo
	s_cbranch_execz .LBB14_15
; %bb.12:
	v_dual_lshrrev_b32 v10, 6, v22 :: v_dual_mov_b32 v14, 0
	v_mov_b64_e32 v[18:19], v[8:9]
	s_mov_b32 s10, 0
	s_delay_alu instid0(VALU_DEP_2) | instskip(NEXT) | instid1(VALU_DEP_3)
	v_dual_mov_b32 v21, v0 :: v_dual_add_nc_u32 v10, 1, v10
	v_dual_mov_b32 v15, v14 :: v_dual_mov_b32 v12, v14
	v_dual_mov_b32 v13, v14 :: v_dual_mov_b32 v11, v14
	s_delay_alu instid0(VALU_DEP_3) | instskip(NEXT) | instid1(VALU_DEP_1)
	v_dual_mov_b32 v10, v14 :: v_dual_bitop2_b32 v17, 3, v10 bitop3:0x40
	v_dual_mov_b32 v16, v14 :: v_dual_sub_nc_u32 v23, 0, v17
	v_mov_b32_e32 v17, v14
.LBB14_13:                              ; =>This Inner Loop Header: Depth=1
	global_load_b32 v56, v21, s[8:9] scale_offset
	s_clause 0x7
	global_load_b128 v[24:27], v[18:19], off offset:48
	global_load_b128 v[28:31], v[18:19], off offset:32
	;; [unrolled: 1-line block ×3, first 2 shown]
	global_load_b128 v[36:39], v[18:19], off
	global_load_b128 v[40:43], v[18:19], off offset:112
	global_load_b128 v[44:47], v[18:19], off offset:96
	;; [unrolled: 1-line block ×4, first 2 shown]
	s_wait_xcnt 0x0
	v_add_nc_u64_e32 v[18:19], 0x2000, v[18:19]
	v_add_co_u32 v23, s11, v23, 1
	s_or_b32 s10, s11, s10
	v_add_nc_u32_e32 v21, 64, v21
	s_wait_loadcnt 0x8
	v_subrev_nc_u32_e32 v56, s12, v56
	s_wait_loadcnt 0x7
	v_mov_b32_e32 v71, v26
	s_wait_loadcnt 0x6
	v_xor_b32_e32 v68, 0x80000000, v31
	s_wait_loadcnt 0x5
	v_dual_mov_b32 v67, v34 :: v_dual_mov_b32 v69, v30
	v_lshlrev_b32_e32 v56, 2, v56
	s_wait_loadcnt 0x2
	v_xor_b32_e32 v76, 0x80000000, v47
	s_wait_loadcnt 0x1
	v_dual_mov_b32 v75, v50 :: v_dual_mov_b32 v77, v46
	s_wait_loadcnt 0x0
	v_xor_b32_e32 v72, 0x80000000, v55
	v_dual_ashrrev_i32 v57, 31, v56 :: v_dual_mov_b32 v73, v54
	v_xor_b32_e32 v66, 0x80000000, v35
	v_xor_b32_e32 v70, 0x80000000, v27
	;; [unrolled: 1-line block ×3, first 2 shown]
	s_wait_kmcnt 0x0
	v_lshl_add_u64 v[64:65], v[56:57], 3, s[4:5]
	v_xor_b32_e32 v78, 0x80000000, v43
	s_clause 0x1
	global_load_b128 v[56:59], v[64:65], off
	global_load_b128 v[60:63], v[64:65], off offset:16
	s_wait_xcnt 0x0
	v_xor_b32_e32 v64, 0x80000000, v39
	v_dual_mov_b32 v65, v38 :: v_dual_mov_b32 v79, v42
	s_wait_loadcnt 0x1
	v_mov_b32_e32 v80, v59
	v_pk_fma_f32 v[16:17], v[36:37], v[56:57], v[16:17] op_sel_hi:[1,0,1]
	v_pk_fma_f32 v[14:15], v[28:29], v[56:57], v[14:15] op_sel_hi:[1,0,1]
	;; [unrolled: 1-line block ×4, first 2 shown]
	s_wait_loadcnt 0x0
	v_mov_b32_e32 v82, v63
	v_pk_fma_f32 v[16:17], v[36:37], v[56:57], v[16:17] op_sel:[1,1,0] op_sel_hi:[0,1,1] neg_lo:[1,0,0]
	v_pk_fma_f32 v[14:15], v[28:29], v[56:57], v[14:15] op_sel:[1,1,0] op_sel_hi:[0,1,1] neg_lo:[1,0,0]
	;; [unrolled: 1-line block ×4, first 2 shown]
	s_delay_alu instid0(VALU_DEP_4) | instskip(NEXT) | instid1(VALU_DEP_4)
	v_pk_fma_f32 v[16:17], v[38:39], v[58:59], v[16:17] op_sel_hi:[1,0,1]
	v_pk_fma_f32 v[14:15], v[30:31], v[58:59], v[14:15] op_sel_hi:[1,0,1]
	s_delay_alu instid0(VALU_DEP_4) | instskip(NEXT) | instid1(VALU_DEP_4)
	v_pk_fma_f32 v[12:13], v[54:55], v[58:59], v[12:13] op_sel_hi:[1,0,1]
	v_pk_fma_f32 v[10:11], v[46:47], v[58:59], v[10:11] op_sel_hi:[1,0,1]
	;; [unrolled: 3-line block ×6, first 2 shown]
	s_delay_alu instid0(VALU_DEP_4) | instskip(NEXT) | instid1(VALU_DEP_4)
	v_pk_fma_f32 v[16:17], v[32:33], v[60:61], v[16:17] op_sel:[1,1,0] op_sel_hi:[0,1,1] neg_lo:[1,0,0]
	v_pk_fma_f32 v[14:15], v[24:25], v[60:61], v[14:15] op_sel:[1,1,0] op_sel_hi:[0,1,1] neg_lo:[1,0,0]
	s_delay_alu instid0(VALU_DEP_4) | instskip(NEXT) | instid1(VALU_DEP_4)
	v_pk_fma_f32 v[12:13], v[48:49], v[60:61], v[12:13] op_sel:[1,1,0] op_sel_hi:[0,1,1] neg_lo:[1,0,0]
	v_pk_fma_f32 v[10:11], v[40:41], v[60:61], v[10:11] op_sel:[1,1,0] op_sel_hi:[0,1,1] neg_lo:[1,0,0]
	s_delay_alu instid0(VALU_DEP_4) | instskip(NEXT) | instid1(VALU_DEP_4)
	v_pk_fma_f32 v[16:17], v[34:35], v[62:63], v[16:17] op_sel_hi:[1,0,1]
	v_pk_fma_f32 v[14:15], v[26:27], v[62:63], v[14:15] op_sel_hi:[1,0,1]
	s_delay_alu instid0(VALU_DEP_4) | instskip(NEXT) | instid1(VALU_DEP_4)
	v_pk_fma_f32 v[12:13], v[50:51], v[62:63], v[12:13] op_sel_hi:[1,0,1]
	v_pk_fma_f32 v[10:11], v[42:43], v[62:63], v[10:11] op_sel_hi:[1,0,1]
	;; [unrolled: 3-line block ×4, first 2 shown]
	s_and_not1_b32 exec_lo, exec_lo, s10
	s_cbranch_execnz .LBB14_13
; %bb.14:
	s_or_b32 exec_lo, exec_lo, s10
.LBB14_15:
	s_delay_alu instid0(SALU_CYCLE_1) | instskip(NEXT) | instid1(SALU_CYCLE_1)
	s_or_b32 exec_lo, exec_lo, s7
	s_mov_b32 s7, exec_lo
	v_cmpx_lt_u32_e32 0xbf, v22
	s_cbranch_execz .LBB14_19
; %bb.16:
	s_mov_b32 s10, 0
.LBB14_17:                              ; =>This Inner Loop Header: Depth=1
	global_load_b32 v118, v21, s[8:9] scale_offset
	s_clause 0xf
	global_load_b128 v[22:25], v[18:19], off
	global_load_b128 v[26:29], v[18:19], off offset:16
	global_load_b128 v[30:33], v[18:19], off offset:48
	;; [unrolled: 1-line block ×15, first 2 shown]
	s_clause 0x2
	global_load_b32 v136, v21, s[8:9] offset:256 scale_offset
	global_load_b32 v137, v21, s[8:9] offset:512 scale_offset
	;; [unrolled: 1-line block ×3, first 2 shown]
	s_clause 0x7
	global_load_b128 v[86:89], v[18:19], off offset:16432
	global_load_b128 v[90:93], v[18:19], off offset:16416
	;; [unrolled: 1-line block ×8, first 2 shown]
	s_wait_loadcnt 0x1b
	v_subrev_nc_u32_e32 v118, s12, v118
	s_wait_loadcnt 0x1a
	v_mov_b32_e32 v127, v24
	v_xor_b32_e32 v126, 0x80000000, v25
	s_delay_alu instid0(VALU_DEP_3)
	v_lshlrev_b32_e32 v118, 2, v118
	s_wait_loadcnt 0x15
	v_xor_b32_e32 v134, 0x80000000, v45
	s_wait_loadcnt 0x13
	v_dual_mov_b32 v135, v44 :: v_dual_mov_b32 v133, v52
	v_xor_b32_e32 v132, 0x80000000, v53
	v_ashrrev_i32_e32 v119, 31, v118
	s_wait_kmcnt 0x0
	s_delay_alu instid0(VALU_DEP_1)
	v_lshl_add_u64 v[128:129], v[118:119], 3, s[4:5]
	s_clause 0x1
	global_load_b128 v[118:121], v[128:129], off
	global_load_b128 v[122:125], v[128:129], off offset:16
	s_wait_xcnt 0x0
	v_xor_b32_e32 v128, 0x80000000, v37
	v_mov_b32_e32 v129, v36
	s_wait_loadcnt 0x1
	v_pk_fma_f32 v[14:15], v[34:35], v[118:119], v[14:15] op_sel_hi:[1,0,1]
	v_pk_fma_f32 v[16:17], v[22:23], v[118:119], v[16:17] op_sel_hi:[1,0,1]
	;; [unrolled: 1-line block ×4, first 2 shown]
	s_delay_alu instid0(VALU_DEP_4) | instskip(NEXT) | instid1(VALU_DEP_4)
	v_pk_fma_f32 v[14:15], v[34:35], v[118:119], v[14:15] op_sel:[1,1,0] op_sel_hi:[0,1,1] neg_lo:[1,0,0]
	v_pk_fma_f32 v[16:17], v[22:23], v[118:119], v[16:17] op_sel:[1,1,0] op_sel_hi:[0,1,1] neg_lo:[1,0,0]
	s_delay_alu instid0(VALU_DEP_4) | instskip(NEXT) | instid1(VALU_DEP_4)
	v_pk_fma_f32 v[12:13], v[50:51], v[118:119], v[12:13] op_sel:[1,1,0] op_sel_hi:[0,1,1] neg_lo:[1,0,0]
	v_pk_fma_f32 v[10:11], v[42:43], v[118:119], v[10:11] op_sel:[1,1,0] op_sel_hi:[0,1,1] neg_lo:[1,0,0]
	v_mov_b32_e32 v118, v121
	v_pk_fma_f32 v[130:131], v[36:37], v[120:121], v[14:15] op_sel_hi:[1,0,1]
	v_pk_fma_f32 v[16:17], v[24:25], v[120:121], v[16:17] op_sel_hi:[1,0,1]
	;; [unrolled: 1-line block ×4, first 2 shown]
	s_clause 0x1
	global_load_b128 v[22:25], v[18:19], off offset:24624
	global_load_b128 v[12:15], v[18:19], off offset:24608
	v_pk_fma_f32 v[120:121], v[128:129], v[118:119], v[130:131] op_sel_hi:[1,0,1]
	v_pk_fma_f32 v[16:17], v[126:127], v[118:119], v[16:17] op_sel_hi:[1,0,1]
	;; [unrolled: 1-line block ×4, first 2 shown]
	v_xor_b32_e32 v132, 0x80000000, v41
	s_wait_loadcnt 0x2
	v_pk_fma_f32 v[120:121], v[30:31], v[122:123], v[120:121] op_sel_hi:[1,0,1]
	v_pk_fma_f32 v[16:17], v[26:27], v[122:123], v[16:17] op_sel_hi:[1,0,1]
	v_mov_b32_e32 v133, v40
	v_pk_fma_f32 v[10:11], v[38:39], v[122:123], v[10:11] op_sel_hi:[1,0,1]
	v_xor_b32_e32 v118, 0x80000000, v29
	v_pk_fma_f32 v[30:31], v[30:31], v[122:123], v[120:121] op_sel:[1,1,0] op_sel_hi:[0,1,1] neg_lo:[1,0,0]
	v_pk_fma_f32 v[16:17], v[26:27], v[122:123], v[16:17] op_sel:[1,1,0] op_sel_hi:[0,1,1] neg_lo:[1,0,0]
	v_mov_b32_e32 v119, v28
	v_pk_fma_f32 v[10:11], v[38:39], v[122:123], v[10:11] op_sel:[1,1,0] op_sel_hi:[0,1,1] neg_lo:[1,0,0]
	v_xor_b32_e32 v128, 0x80000000, v33
	v_pk_fma_f32 v[120:121], v[32:33], v[124:125], v[30:31] op_sel_hi:[1,0,1]
	v_pk_fma_f32 v[30:31], v[46:47], v[122:123], v[126:127] op_sel_hi:[1,0,1]
	;; [unrolled: 1-line block ×4, first 2 shown]
	v_dual_mov_b32 v129, v32 :: v_dual_mov_b32 v131, v48
	s_delay_alu instid0(VALU_DEP_4)
	v_pk_fma_f32 v[30:31], v[46:47], v[122:123], v[30:31] op_sel:[1,1,0] op_sel_hi:[0,1,1] neg_lo:[1,0,0]
	v_subrev_nc_u32_e32 v46, s12, v136
	v_mov_b32_e32 v135, v60
	v_subrev_nc_u32_e32 v136, s12, v137
	v_xor_b32_e32 v130, 0x80000000, v49
	v_pk_fma_f32 v[126:127], v[48:49], v[124:125], v[30:31] op_sel_hi:[1,0,1]
	v_dual_mov_b32 v123, v68 :: v_dual_lshlrev_b32 v38, 2, v46
	v_mov_b32_e32 v124, v125
	v_subrev_nc_u32_e32 v137, s12, v138
	v_xor_b32_e32 v122, 0x80000000, v69
	s_delay_alu instid0(VALU_DEP_4)
	v_ashrrev_i32_e32 v39, 31, v38
	s_clause 0x1
	global_load_b128 v[50:53], v[18:19], off offset:24656
	global_load_b128 v[26:29], v[18:19], off offset:24640
	v_pk_fma_f32 v[16:17], v[118:119], v[124:125], v[16:17] op_sel_hi:[1,0,1]
	v_lshlrev_b32_e32 v118, 2, v136
	v_lshl_add_u64 v[46:47], v[38:39], 3, s[4:5]
	v_pk_fma_f32 v[128:129], v[128:129], v[124:125], v[120:121] op_sel_hi:[1,0,1]
	v_pk_fma_f32 v[126:127], v[130:131], v[124:125], v[126:127] op_sel_hi:[1,0,1]
	;; [unrolled: 1-line block ×3, first 2 shown]
	v_mov_b32_e32 v125, v84
	global_load_b128 v[38:41], v[46:47], off
	v_ashrrev_i32_e32 v119, 31, v118
	s_clause 0x2
	global_load_b128 v[34:37], v[18:19], off offset:24592
	global_load_b128 v[42:45], v[18:19], off offset:24576
	;; [unrolled: 1-line block ×3, first 2 shown]
	v_xor_b32_e32 v134, 0x80000000, v61
	v_lshl_add_u64 v[130:131], v[118:119], 3, s[4:5]
	v_xor_b32_e32 v124, 0x80000000, v85
	s_clause 0x1
	global_load_b128 v[118:121], v[130:131], off
	global_load_b128 v[46:49], v[46:47], off offset:16
	v_add_nc_u32_e32 v21, 0x100, v21
	s_wait_loadcnt 0x5
	v_pk_fma_f32 v[16:17], v[66:67], v[38:39], v[16:17] op_sel_hi:[1,0,1]
	v_pk_fma_f32 v[128:129], v[58:59], v[38:39], v[128:129] op_sel_hi:[1,0,1]
	;; [unrolled: 1-line block ×4, first 2 shown]
	s_delay_alu instid0(VALU_DEP_4)
	v_pk_fma_f32 v[16:17], v[66:67], v[38:39], v[16:17] op_sel:[1,1,0] op_sel_hi:[0,1,1] neg_lo:[1,0,0]
	v_lshlrev_b32_e32 v66, 2, v137
	v_pk_fma_f32 v[58:59], v[58:59], v[38:39], v[128:129] op_sel:[1,1,0] op_sel_hi:[0,1,1] neg_lo:[1,0,0]
	v_pk_fma_f32 v[82:83], v[82:83], v[38:39], v[126:127] op_sel:[1,1,0] op_sel_hi:[0,1,1] neg_lo:[1,0,0]
	;; [unrolled: 1-line block ×3, first 2 shown]
	v_pk_fma_f32 v[16:17], v[68:69], v[40:41], v[16:17] op_sel_hi:[1,0,1]
	v_ashrrev_i32_e32 v67, 31, v66
	v_pk_fma_f32 v[128:129], v[60:61], v[40:41], v[58:59] op_sel_hi:[1,0,1]
	v_pk_fma_f32 v[126:127], v[84:85], v[40:41], v[82:83] op_sel_hi:[1,0,1]
	;; [unrolled: 1-line block ×3, first 2 shown]
	v_mov_b32_e32 v38, v41
	v_lshl_add_u64 v[132:133], v[66:67], 3, s[4:5]
	global_load_b128 v[66:69], v[130:131], off offset:16
	s_wait_xcnt 0x0
	v_xor_b32_e32 v130, 0x80000000, v77
	v_mov_b32_e32 v131, v76
	v_pk_fma_f32 v[16:17], v[122:123], v[38:39], v[16:17] op_sel_hi:[1,0,1]
	global_load_b128 v[58:61], v[132:133], off
	global_load_b128 v[74:77], v[18:19], off offset:24688
	global_load_b128 v[82:85], v[132:133], off offset:16
	v_pk_fma_f32 v[128:129], v[134:135], v[38:39], v[128:129] op_sel_hi:[1,0,1]
	v_pk_fma_f32 v[124:125], v[124:125], v[38:39], v[126:127] op_sel_hi:[1,0,1]
	;; [unrolled: 1-line block ×3, first 2 shown]
	s_wait_loadcnt 0x4
	v_pk_fma_f32 v[16:17], v[62:63], v[46:47], v[16:17] op_sel_hi:[1,0,1]
	v_xor_b32_e32 v40, 0x80000000, v65
	v_pk_fma_f32 v[128:129], v[54:55], v[46:47], v[128:129] op_sel_hi:[1,0,1]
	v_pk_fma_f32 v[124:125], v[78:79], v[46:47], v[124:125] op_sel_hi:[1,0,1]
	;; [unrolled: 1-line block ×3, first 2 shown]
	v_pk_fma_f32 v[16:17], v[62:63], v[46:47], v[16:17] op_sel:[1,1,0] op_sel_hi:[0,1,1] neg_lo:[1,0,0]
	v_dual_mov_b32 v41, v64 :: v_dual_mov_b32 v123, v56
	v_pk_fma_f32 v[54:55], v[54:55], v[46:47], v[128:129] op_sel:[1,1,0] op_sel_hi:[0,1,1] neg_lo:[1,0,0]
	v_pk_fma_f32 v[78:79], v[78:79], v[46:47], v[124:125] op_sel:[1,1,0] op_sel_hi:[0,1,1] neg_lo:[1,0,0]
	;; [unrolled: 1-line block ×3, first 2 shown]
	v_xor_b32_e32 v122, 0x80000000, v57
	s_wait_xcnt 0x0
	v_xor_b32_e32 v132, 0x80000000, v81
	v_dual_mov_b32 v133, v80 :: v_dual_mov_b32 v127, v72
	v_xor_b32_e32 v126, 0x80000000, v73
	v_pk_fma_f32 v[16:17], v[64:65], v[48:49], v[16:17] op_sel_hi:[1,0,1]
	v_pk_fma_f32 v[54:55], v[56:57], v[48:49], v[54:55] op_sel_hi:[1,0,1]
	;; [unrolled: 1-line block ×4, first 2 shown]
	v_dual_mov_b32 v48, v49 :: v_dual_mov_b32 v73, v14
	v_xor_b32_e32 v38, 0x80000000, v101
	v_dual_mov_b32 v39, v100 :: v_dual_mov_b32 v131, v92
	s_delay_alu instid0(VALU_DEP_3)
	v_pk_fma_f32 v[16:17], v[40:41], v[48:49], v[16:17] op_sel_hi:[1,0,1]
	v_pk_fma_f32 v[40:41], v[122:123], v[48:49], v[54:55] op_sel_hi:[1,0,1]
	;; [unrolled: 1-line block ×4, first 2 shown]
	v_xor_b32_e32 v130, 0x80000000, v93
	v_pk_fma_f32 v[16:17], v[98:99], v[118:119], v[16:17] op_sel_hi:[1,0,1]
	v_pk_fma_f32 v[40:41], v[90:91], v[118:119], v[40:41] op_sel_hi:[1,0,1]
	;; [unrolled: 1-line block ×4, first 2 shown]
	v_xor_b32_e32 v62, 0x80000000, v117
	v_pk_fma_f32 v[16:17], v[98:99], v[118:119], v[16:17] op_sel:[1,1,0] op_sel_hi:[0,1,1] neg_lo:[1,0,0]
	v_pk_fma_f32 v[40:41], v[90:91], v[118:119], v[40:41] op_sel:[1,1,0] op_sel_hi:[0,1,1] neg_lo:[1,0,0]
	;; [unrolled: 1-line block ×4, first 2 shown]
	v_dual_mov_b32 v63, v116 :: v_dual_mov_b32 v65, v108
	v_xor_b32_e32 v64, 0x80000000, v109
	v_dual_mov_b32 v78, v121 :: v_dual_mov_b32 v55, v24
	v_pk_fma_f32 v[16:17], v[100:101], v[120:121], v[16:17] op_sel_hi:[1,0,1]
	v_pk_fma_f32 v[40:41], v[92:93], v[120:121], v[40:41] op_sel_hi:[1,0,1]
	v_pk_fma_f32 v[48:49], v[116:117], v[120:121], v[48:49] op_sel_hi:[1,0,1]
	v_pk_fma_f32 v[10:11], v[108:109], v[120:121], v[10:11] op_sel_hi:[1,0,1]
	v_xor_b32_e32 v56, 0x80000000, v97
	v_pk_fma_f32 v[16:17], v[38:39], v[78:79], v[16:17] op_sel_hi:[1,0,1]
	v_pk_fma_f32 v[38:39], v[130:131], v[78:79], v[40:41] op_sel_hi:[1,0,1]
	;; [unrolled: 1-line block ×4, first 2 shown]
	v_dual_mov_b32 v57, v96 :: v_dual_mov_b32 v129, v88
	v_xor_b32_e32 v128, 0x80000000, v89
	v_xor_b32_e32 v80, 0x80000000, v113
	v_dual_mov_b32 v81, v112 :: v_dual_mov_b32 v125, v104
	v_xor_b32_e32 v124, 0x80000000, v105
	v_mov_b32_e32 v49, v28
	v_xor_b32_e32 v46, 0x80000000, v45
	v_dual_mov_b32 v47, v44 :: v_dual_mov_b32 v71, v36
	v_xor_b32_e32 v72, 0x80000000, v15
	v_xor_b32_e32 v48, 0x80000000, v29
	;; [unrolled: 1-line block ×5, first 2 shown]
	v_mov_b32_e32 v65, v52
	v_add_nc_u64_e32 v[18:19], 0x8000, v[18:19]
	v_cmp_ge_i32_e32 vcc_lo, v21, v1
	s_or_b32 s10, vcc_lo, s10
	s_wait_loadcnt 0x3
	v_pk_fma_f32 v[16:17], v[94:95], v[66:67], v[16:17] op_sel_hi:[1,0,1]
	v_pk_fma_f32 v[38:39], v[86:87], v[66:67], v[38:39] op_sel_hi:[1,0,1]
	;; [unrolled: 1-line block ×4, first 2 shown]
	v_mov_b32_e32 v62, v69
	v_pk_fma_f32 v[16:17], v[94:95], v[66:67], v[16:17] op_sel:[1,1,0] op_sel_hi:[0,1,1] neg_lo:[1,0,0]
	v_pk_fma_f32 v[38:39], v[86:87], v[66:67], v[38:39] op_sel:[1,1,0] op_sel_hi:[0,1,1] neg_lo:[1,0,0]
	;; [unrolled: 1-line block ×4, first 2 shown]
	s_delay_alu instid0(VALU_DEP_4) | instskip(NEXT) | instid1(VALU_DEP_4)
	v_pk_fma_f32 v[16:17], v[96:97], v[68:69], v[16:17] op_sel_hi:[1,0,1]
	v_pk_fma_f32 v[38:39], v[88:89], v[68:69], v[38:39] op_sel_hi:[1,0,1]
	s_delay_alu instid0(VALU_DEP_4) | instskip(NEXT) | instid1(VALU_DEP_4)
	v_pk_fma_f32 v[40:41], v[112:113], v[68:69], v[40:41] op_sel_hi:[1,0,1]
	v_pk_fma_f32 v[10:11], v[104:105], v[68:69], v[10:11] op_sel_hi:[1,0,1]
	;; [unrolled: 3-line block ×4, first 2 shown]
	v_xor_b32_e32 v56, 0x80000000, v33
	s_wait_loadcnt 0x2
	v_pk_fma_f32 v[16:17], v[42:43], v[58:59], v[16:17] op_sel_hi:[1,0,1]
	v_pk_fma_f32 v[38:39], v[12:13], v[58:59], v[38:39] op_sel_hi:[1,0,1]
	;; [unrolled: 1-line block ×4, first 2 shown]
	v_mov_b32_e32 v57, v32
	v_pk_fma_f32 v[16:17], v[42:43], v[58:59], v[16:17] op_sel:[1,1,0] op_sel_hi:[0,1,1] neg_lo:[1,0,0]
	v_pk_fma_f32 v[12:13], v[12:13], v[58:59], v[38:39] op_sel:[1,1,0] op_sel_hi:[0,1,1] neg_lo:[1,0,0]
	;; [unrolled: 1-line block ×4, first 2 shown]
	v_mov_b32_e32 v30, v61
	v_pk_fma_f32 v[16:17], v[44:45], v[60:61], v[16:17] op_sel_hi:[1,0,1]
	v_pk_fma_f32 v[12:13], v[14:15], v[60:61], v[12:13] op_sel_hi:[1,0,1]
	;; [unrolled: 1-line block ×4, first 2 shown]
	s_wait_loadcnt 0x1
	v_xor_b32_e32 v26, 0x80000000, v77
	v_pk_fma_f32 v[16:17], v[46:47], v[30:31], v[16:17] op_sel_hi:[1,0,1]
	v_pk_fma_f32 v[12:13], v[72:73], v[30:31], v[12:13] op_sel_hi:[1,0,1]
	;; [unrolled: 1-line block ×4, first 2 shown]
	v_mov_b32_e32 v27, v76
	s_wait_loadcnt 0x0
	v_pk_fma_f32 v[16:17], v[34:35], v[82:83], v[16:17] op_sel_hi:[1,0,1]
	v_pk_fma_f32 v[12:13], v[22:23], v[82:83], v[12:13] op_sel_hi:[1,0,1]
	;; [unrolled: 1-line block ×4, first 2 shown]
	s_delay_alu instid0(VALU_DEP_4) | instskip(NEXT) | instid1(VALU_DEP_4)
	v_pk_fma_f32 v[16:17], v[34:35], v[82:83], v[16:17] op_sel:[1,1,0] op_sel_hi:[0,1,1] neg_lo:[1,0,0]
	v_pk_fma_f32 v[12:13], v[22:23], v[82:83], v[12:13] op_sel:[1,1,0] op_sel_hi:[0,1,1] neg_lo:[1,0,0]
	s_delay_alu instid0(VALU_DEP_4) | instskip(NEXT) | instid1(VALU_DEP_4)
	v_pk_fma_f32 v[14:15], v[50:51], v[82:83], v[14:15] op_sel:[1,1,0] op_sel_hi:[0,1,1] neg_lo:[1,0,0]
	v_pk_fma_f32 v[10:11], v[74:75], v[82:83], v[10:11] op_sel:[1,1,0] op_sel_hi:[0,1,1] neg_lo:[1,0,0]
	v_mov_b32_e32 v22, v85
	v_pk_fma_f32 v[16:17], v[36:37], v[84:85], v[16:17] op_sel_hi:[1,0,1]
	v_pk_fma_f32 v[12:13], v[24:25], v[84:85], v[12:13] op_sel_hi:[1,0,1]
	v_pk_fma_f32 v[24:25], v[52:53], v[84:85], v[14:15] op_sel_hi:[1,0,1]
	v_pk_fma_f32 v[10:11], v[76:77], v[84:85], v[10:11] op_sel_hi:[1,0,1]
	s_delay_alu instid0(VALU_DEP_4) | instskip(NEXT) | instid1(VALU_DEP_4)
	v_pk_fma_f32 v[16:17], v[70:71], v[22:23], v[16:17] op_sel_hi:[1,0,1]
	v_pk_fma_f32 v[14:15], v[54:55], v[22:23], v[12:13] op_sel_hi:[1,0,1]
	s_delay_alu instid0(VALU_DEP_4) | instskip(NEXT) | instid1(VALU_DEP_4)
	v_pk_fma_f32 v[12:13], v[64:65], v[22:23], v[24:25] op_sel_hi:[1,0,1]
	v_pk_fma_f32 v[10:11], v[26:27], v[22:23], v[10:11] op_sel_hi:[1,0,1]
	s_and_not1_b32 exec_lo, exec_lo, s10
	s_cbranch_execnz .LBB14_17
; %bb.18:
	s_or_b32 exec_lo, exec_lo, s10
.LBB14_19:
	s_delay_alu instid0(SALU_CYCLE_1)
	s_or_b32 exec_lo, exec_lo, s7
.LBB14_20:
	s_delay_alu instid0(SALU_CYCLE_1)
	s_or_b32 exec_lo, exec_lo, s6
	s_cbranch_execz .LBB14_22
	s_branch .LBB14_33
.LBB14_21:
                                        ; implicit-def: $vgpr17
                                        ; implicit-def: $vgpr11
                                        ; implicit-def: $vgpr13
                                        ; implicit-def: $vgpr15
.LBB14_22:
	v_dual_mov_b32 v17, 0 :: v_dual_mov_b32 v16, 0
	v_dual_mov_b32 v11, 0 :: v_dual_mov_b32 v10, 0
	;; [unrolled: 1-line block ×4, first 2 shown]
	s_and_saveexec_b32 s6, s3
	s_cbranch_execz .LBB14_32
; %bb.23:
	v_add_nc_u32_e32 v10, v20, v7
	v_not_b32_e32 v11, v20
	v_mov_b64_e32 v[16:17], 0
	v_mov_b64_e32 v[12:13], 0
	;; [unrolled: 1-line block ×3, first 2 shown]
	v_subrev_nc_u32_e32 v10, s12, v10
	s_mov_b32 s3, exec_lo
	s_delay_alu instid0(VALU_DEP_1) | instskip(NEXT) | instid1(VALU_DEP_1)
	v_add_max_i32_e64 v10, v10, 64, v1
	v_add3_u32 v10, s12, v10, v11
	s_delay_alu instid0(VALU_DEP_1) | instskip(SKIP_1) | instid1(VALU_DEP_2)
	v_sub_nc_u32_e32 v18, v10, v7
	v_mov_b64_e32 v[10:11], 0
	v_and_b32_e32 v19, 0xc0, v18
	s_delay_alu instid0(VALU_DEP_1)
	v_cmpx_ne_u32_e32 0xc0, v19
	s_cbranch_execz .LBB14_27
; %bb.24:
	v_dual_lshrrev_b32 v10, 6, v18 :: v_dual_mov_b32 v14, 0
	s_mov_b32 s7, 0
	s_delay_alu instid0(VALU_DEP_1) | instskip(SKIP_2) | instid1(VALU_DEP_3)
	v_dual_mov_b32 v15, v14 :: v_dual_add_nc_u32 v10, 1, v10
	v_dual_mov_b32 v12, v14 :: v_dual_mov_b32 v13, v14
	v_dual_mov_b32 v11, v14 :: v_dual_mov_b32 v16, v14
	v_dual_mov_b32 v10, v14 :: v_dual_bitop2_b32 v17, 3, v10 bitop3:0x40
	s_delay_alu instid0(VALU_DEP_1)
	v_dual_sub_nc_u32 v19, 0, v17 :: v_dual_mov_b32 v17, v14
.LBB14_25:                              ; =>This Inner Loop Header: Depth=1
	global_load_b32 v48, v0, s[8:9] scale_offset
	s_clause 0x6
	global_load_b128 v[20:23], v[8:9], off offset:48
	global_load_b128 v[24:27], v[8:9], off offset:32
	global_load_b128 v[28:31], v[8:9], off offset:16
	global_load_b128 v[32:35], v[8:9], off
	global_load_b128 v[36:39], v[8:9], off offset:96
	global_load_b128 v[40:43], v[8:9], off offset:80
	;; [unrolled: 1-line block ×3, first 2 shown]
	s_wait_xcnt 0x7
	v_add_nc_u32_e32 v0, 64, v0
	v_add_co_u32 v19, s10, v19, 1
	s_or_b32 s7, s10, s7
	s_wait_loadcnt 0x7
	v_subrev_nc_u32_e32 v48, s12, v48
	s_wait_loadcnt 0x6
	v_xor_b32_e32 v70, 0x80000000, v23
	s_wait_loadcnt 0x5
	v_xor_b32_e32 v62, 0x80000000, v27
	;; [unrolled: 2-line block ×3, first 2 shown]
	v_dual_mov_b32 v71, v22 :: v_dual_lshlrev_b32 v48, 2, v48
	s_wait_loadcnt 0x2
	v_dual_mov_b32 v67, v38 :: v_dual_mov_b32 v69, v30
	s_wait_loadcnt 0x1
	v_mov_b32_e32 v73, v42
	s_wait_loadcnt 0x0
	v_xor_b32_e32 v64, 0x80000000, v47
	v_dual_ashrrev_i32 v49, 31, v48 :: v_dual_mov_b32 v63, v26
	v_mov_b32_e32 v65, v46
	v_xor_b32_e32 v72, 0x80000000, v43
	v_xor_b32_e32 v66, 0x80000000, v39
	s_wait_kmcnt 0x0
	v_lshl_add_u64 v[60:61], v[48:49], 3, s[4:5]
	s_clause 0x1
	global_load_b128 v[48:51], v[60:61], off offset:16
	global_load_b128 v[52:55], v[60:61], off
	global_load_b128 v[56:59], v[8:9], off offset:112
	s_wait_xcnt 0x1
	v_xor_b32_e32 v60, 0x80000000, v35
	v_mov_b32_e32 v61, v34
	s_wait_xcnt 0x0
	v_add_nc_u64_e32 v[8:9], 0x2000, v[8:9]
	s_wait_loadcnt 0x1
	v_pk_fma_f32 v[16:17], v[32:33], v[52:53], v[16:17] op_sel_hi:[1,0,1]
	v_pk_fma_f32 v[14:15], v[34:35], v[52:53], v[14:15] op_sel_hi:[1,0,1]
	;; [unrolled: 1-line block ×4, first 2 shown]
	s_wait_loadcnt 0x0
	v_dual_mov_b32 v75, v58 :: v_dual_mov_b32 v76, v55
	v_pk_fma_f32 v[16:17], v[32:33], v[52:53], v[16:17] op_sel:[1,1,0] op_sel_hi:[0,1,1] neg_lo:[1,0,0]
	v_pk_fma_f32 v[14:15], v[60:61], v[52:53], v[14:15] op_sel:[0,1,0]
	v_pk_fma_f32 v[12:13], v[28:29], v[52:53], v[12:13] op_sel:[1,1,0] op_sel_hi:[0,1,1] neg_lo:[1,0,0]
	v_pk_fma_f32 v[10:11], v[68:69], v[52:53], v[10:11] op_sel:[0,1,0]
	v_xor_b32_e32 v74, 0x80000000, v59
	v_pk_fma_f32 v[16:17], v[24:25], v[54:55], v[16:17] op_sel_hi:[1,0,1]
	v_pk_fma_f32 v[14:15], v[26:27], v[54:55], v[14:15] op_sel_hi:[1,0,1]
	;; [unrolled: 1-line block ×4, first 2 shown]
	v_mov_b32_e32 v30, v51
	v_pk_fma_f32 v[16:17], v[24:25], v[76:77], v[16:17] op_sel:[1,0,0] op_sel_hi:[0,0,1] neg_lo:[1,0,0]
	v_pk_fma_f32 v[14:15], v[62:63], v[76:77], v[14:15] op_sel_hi:[1,0,1]
	v_pk_fma_f32 v[12:13], v[20:21], v[76:77], v[12:13] op_sel:[1,0,0] op_sel_hi:[0,0,1] neg_lo:[1,0,0]
	v_pk_fma_f32 v[10:11], v[70:71], v[76:77], v[10:11] op_sel_hi:[1,0,1]
	s_delay_alu instid0(VALU_DEP_4) | instskip(NEXT) | instid1(VALU_DEP_4)
	v_pk_fma_f32 v[16:17], v[44:45], v[48:49], v[16:17] op_sel_hi:[1,0,1]
	v_pk_fma_f32 v[14:15], v[46:47], v[48:49], v[14:15] op_sel_hi:[1,0,1]
	s_delay_alu instid0(VALU_DEP_4) | instskip(NEXT) | instid1(VALU_DEP_4)
	v_pk_fma_f32 v[12:13], v[40:41], v[48:49], v[12:13] op_sel_hi:[1,0,1]
	v_pk_fma_f32 v[10:11], v[42:43], v[48:49], v[10:11] op_sel_hi:[1,0,1]
	s_delay_alu instid0(VALU_DEP_4) | instskip(NEXT) | instid1(VALU_DEP_4)
	v_pk_fma_f32 v[16:17], v[44:45], v[48:49], v[16:17] op_sel:[1,1,0] op_sel_hi:[0,1,1] neg_lo:[1,0,0]
	v_pk_fma_f32 v[14:15], v[64:65], v[48:49], v[14:15] op_sel:[0,1,0]
	s_delay_alu instid0(VALU_DEP_4) | instskip(NEXT) | instid1(VALU_DEP_4)
	v_pk_fma_f32 v[12:13], v[40:41], v[48:49], v[12:13] op_sel:[1,1,0] op_sel_hi:[0,1,1] neg_lo:[1,0,0]
	v_pk_fma_f32 v[10:11], v[72:73], v[48:49], v[10:11] op_sel:[0,1,0]
	s_delay_alu instid0(VALU_DEP_4) | instskip(NEXT) | instid1(VALU_DEP_4)
	v_pk_fma_f32 v[16:17], v[36:37], v[50:51], v[16:17] op_sel_hi:[1,0,1]
	v_pk_fma_f32 v[14:15], v[38:39], v[50:51], v[14:15] op_sel_hi:[1,0,1]
	s_delay_alu instid0(VALU_DEP_4) | instskip(NEXT) | instid1(VALU_DEP_4)
	v_pk_fma_f32 v[12:13], v[56:57], v[50:51], v[12:13] op_sel_hi:[1,0,1]
	v_pk_fma_f32 v[10:11], v[58:59], v[50:51], v[10:11] op_sel_hi:[1,0,1]
	s_delay_alu instid0(VALU_DEP_4) | instskip(NEXT) | instid1(VALU_DEP_4)
	v_pk_fma_f32 v[16:17], v[36:37], v[30:31], v[16:17] op_sel:[1,0,0] op_sel_hi:[0,0,1] neg_lo:[1,0,0]
	v_pk_fma_f32 v[14:15], v[66:67], v[30:31], v[14:15] op_sel_hi:[1,0,1]
	s_delay_alu instid0(VALU_DEP_4) | instskip(NEXT) | instid1(VALU_DEP_4)
	v_pk_fma_f32 v[12:13], v[56:57], v[30:31], v[12:13] op_sel:[1,0,0] op_sel_hi:[0,0,1] neg_lo:[1,0,0]
	v_pk_fma_f32 v[10:11], v[74:75], v[30:31], v[10:11] op_sel_hi:[1,0,1]
	s_and_not1_b32 exec_lo, exec_lo, s7
	s_cbranch_execnz .LBB14_25
; %bb.26:
	s_or_b32 exec_lo, exec_lo, s7
.LBB14_27:
	s_delay_alu instid0(SALU_CYCLE_1) | instskip(NEXT) | instid1(SALU_CYCLE_1)
	s_or_b32 exec_lo, exec_lo, s3
	s_mov_b32 s3, exec_lo
	v_cmpx_lt_u32_e32 0xbf, v18
	s_cbranch_execz .LBB14_31
; %bb.28:
	s_mov_b32 s7, 0
.LBB14_29:                              ; =>This Inner Loop Header: Depth=1
	global_load_b32 v98, v0, s[8:9] scale_offset
	s_clause 0xb
	global_load_b128 v[18:21], v[8:9], off
	global_load_b128 v[22:25], v[8:9], off offset:16
	global_load_b128 v[26:29], v[8:9], off offset:48
	;; [unrolled: 1-line block ×11, first 2 shown]
	s_clause 0x2
	global_load_b32 v112, v0, s[8:9] offset:256 scale_offset
	global_load_b32 v113, v0, s[8:9] offset:512 scale_offset
	global_load_b32 v116, v0, s[8:9] offset:768 scale_offset
	s_clause 0x7
	global_load_b128 v[66:69], v[8:9], off offset:8304
	global_load_b128 v[70:73], v[8:9], off offset:8288
	;; [unrolled: 1-line block ×8, first 2 shown]
	s_wait_xcnt 0x8
	v_add_nc_u32_e32 v0, 0x100, v0
	s_wait_loadcnt 0x17
	v_subrev_nc_u32_e32 v98, s12, v98
	s_wait_loadcnt 0x16
	v_mov_b32_e32 v107, v20
	v_xor_b32_e32 v106, 0x80000000, v21
	s_wait_loadcnt 0x13
	v_xor_b32_e32 v110, 0x80000000, v33
	v_dual_mov_b32 v111, v32 :: v_dual_lshlrev_b32 v98, 2, v98
	s_delay_alu instid0(VALU_DEP_1)
	v_ashrrev_i32_e32 v99, 31, v98
	s_wait_loadcnt 0xd
	v_xor_b32_e32 v114, 0x80000000, v57
	v_mov_b32_e32 v115, v56
	s_wait_kmcnt 0x0
	v_lshl_add_u64 v[108:109], v[98:99], 3, s[4:5]
	s_clause 0x1
	global_load_b128 v[98:101], v[108:109], off
	global_load_b128 v[102:105], v[108:109], off offset:16
	s_wait_loadcnt 0x1
	v_pk_fma_f32 v[16:17], v[18:19], v[98:99], v[16:17] op_sel_hi:[1,0,1]
	v_pk_fma_f32 v[20:21], v[20:21], v[98:99], v[14:15] op_sel_hi:[1,0,1]
	;; [unrolled: 1-line block ×3, first 2 shown]
	s_wait_xcnt 0x0
	s_delay_alu instid0(VALU_DEP_3)
	v_pk_fma_f32 v[108:109], v[18:19], v[98:99], v[16:17] op_sel:[1,1,0] op_sel_hi:[0,1,1] neg_lo:[1,0,0]
	v_xor_b32_e32 v18, 0x80000000, v25
	v_mov_b32_e32 v19, v24
	v_pk_fma_f32 v[24:25], v[24:25], v[98:99], v[10:11] op_sel_hi:[1,0,1]
	v_pk_fma_f32 v[22:23], v[22:23], v[98:99], v[12:13] op_sel:[1,1,0] op_sel_hi:[0,1,1] neg_lo:[1,0,0]
	v_pk_fma_f32 v[106:107], v[106:107], v[98:99], v[20:21] op_sel:[0,1,0]
	s_clause 0x1
	global_load_b128 v[14:17], v[8:9], off offset:16496
	global_load_b128 v[10:13], v[8:9], off offset:16480
	v_pk_fma_f32 v[24:25], v[18:19], v[98:99], v[24:25] op_sel:[0,1,0]
	v_pk_fma_f32 v[98:99], v[30:31], v[100:101], v[108:109] op_sel_hi:[1,0,1]
	v_pk_fma_f32 v[106:107], v[32:33], v[100:101], v[106:107] op_sel_hi:[1,0,1]
	;; [unrolled: 1-line block ×3, first 2 shown]
	v_xor_b32_e32 v32, 0x80000000, v29
	v_pk_fma_f32 v[108:109], v[28:29], v[100:101], v[24:25] op_sel_hi:[1,0,1]
	v_dual_mov_b32 v100, v101 :: v_dual_mov_b32 v33, v28
	global_load_b128 v[18:21], v[8:9], off offset:16464
	v_pk_fma_f32 v[30:31], v[30:31], v[100:101], v[98:99] op_sel:[1,0,0] op_sel_hi:[0,0,1] neg_lo:[1,0,0]
	v_pk_fma_f32 v[98:99], v[26:27], v[100:101], v[22:23] op_sel:[1,0,0] op_sel_hi:[0,0,1] neg_lo:[1,0,0]
	v_pk_fma_f32 v[106:107], v[110:111], v[100:101], v[106:107] op_sel_hi:[1,0,1]
	v_pk_fma_f32 v[100:101], v[32:33], v[100:101], v[108:109] op_sel_hi:[1,0,1]
	v_xor_b32_e32 v108, 0x80000000, v49
	s_wait_loadcnt 0x3
	v_pk_fma_f32 v[30:31], v[46:47], v[102:103], v[30:31] op_sel_hi:[1,0,1]
	v_mov_b32_e32 v109, v48
	v_pk_fma_f32 v[48:49], v[48:49], v[102:103], v[106:107] op_sel_hi:[1,0,1]
	v_pk_fma_f32 v[98:99], v[42:43], v[102:103], v[98:99] op_sel_hi:[1,0,1]
	;; [unrolled: 1-line block ×3, first 2 shown]
	v_pk_fma_f32 v[106:107], v[46:47], v[102:103], v[30:31] op_sel:[1,1,0] op_sel_hi:[0,1,1] neg_lo:[1,0,0]
	v_xor_b32_e32 v46, 0x80000000, v45
	v_mov_b32_e32 v47, v44
	v_pk_fma_f32 v[98:99], v[42:43], v[102:103], v[98:99] op_sel:[1,1,0] op_sel_hi:[0,1,1] neg_lo:[1,0,0]
	v_pk_fma_f32 v[108:109], v[108:109], v[102:103], v[48:49] op_sel:[0,1,0]
	v_xor_b32_e32 v110, 0x80000000, v65
	global_load_b128 v[22:25], v[8:9], off offset:16448
	v_pk_fma_f32 v[100:101], v[46:47], v[102:103], v[100:101] op_sel:[0,1,0]
	v_pk_fma_f32 v[102:103], v[38:39], v[104:105], v[106:107] op_sel_hi:[1,0,1]
	v_pk_fma_f32 v[106:107], v[40:41], v[104:105], v[108:109] op_sel_hi:[1,0,1]
	;; [unrolled: 1-line block ×3, first 2 shown]
	v_xor_b32_e32 v108, 0x80000000, v41
	v_pk_fma_f32 v[100:101], v[36:37], v[104:105], v[100:101] op_sel_hi:[1,0,1]
	v_dual_mov_b32 v104, v105 :: v_dual_mov_b32 v109, v40
	s_clause 0x3
	global_load_b128 v[42:45], v[8:9], off offset:24592
	global_load_b128 v[46:49], v[8:9], off offset:24576
	;; [unrolled: 1-line block ×4, first 2 shown]
	v_pk_fma_f32 v[102:103], v[38:39], v[104:105], v[102:103] op_sel:[1,0,0] op_sel_hi:[0,0,1] neg_lo:[1,0,0]
	v_xor_b32_e32 v38, 0x80000000, v37
	v_subrev_nc_u32_e32 v37, s12, v112
	v_mov_b32_e32 v111, v64
	v_pk_fma_f32 v[98:99], v[34:35], v[104:105], v[98:99] op_sel:[1,0,0] op_sel_hi:[0,0,1] neg_lo:[1,0,0]
	v_mov_b32_e32 v39, v36
	v_pk_fma_f32 v[106:107], v[108:109], v[104:105], v[106:107] op_sel_hi:[1,0,1]
	v_lshlrev_b32_e32 v34, 2, v37
	s_delay_alu instid0(VALU_DEP_3) | instskip(NEXT) | instid1(VALU_DEP_2)
	v_pk_fma_f32 v[100:101], v[38:39], v[104:105], v[100:101] op_sel_hi:[1,0,1]
	v_ashrrev_i32_e32 v35, 31, v34
	s_delay_alu instid0(VALU_DEP_1)
	v_lshl_add_u64 v[40:41], v[34:35], 3, s[4:5]
	s_clause 0x1
	global_load_b128 v[34:37], v[40:41], off
	global_load_b128 v[38:41], v[40:41], off offset:16
	s_wait_loadcnt 0x1
	v_pk_fma_f32 v[98:99], v[58:59], v[34:35], v[98:99] op_sel_hi:[1,0,1]
	v_pk_fma_f32 v[104:105], v[64:65], v[34:35], v[106:107] op_sel_hi:[1,0,1]
	;; [unrolled: 1-line block ×3, first 2 shown]
	v_xor_b32_e32 v106, 0x80000000, v61
	v_mov_b32_e32 v107, v60
	v_pk_fma_f32 v[108:109], v[58:59], v[34:35], v[98:99] op_sel:[1,1,0] op_sel_hi:[0,1,1] neg_lo:[1,0,0]
	v_subrev_nc_u32_e32 v98, s12, v113
	v_pk_fma_f32 v[104:105], v[110:111], v[34:35], v[104:105] op_sel:[0,1,0]
	v_mov_b32_e32 v110, v37
	v_pk_fma_f32 v[100:101], v[60:61], v[34:35], v[100:101] op_sel_hi:[1,0,1]
	v_pk_fma_f32 v[102:103], v[62:63], v[34:35], v[102:103] op_sel:[1,1,0] op_sel_hi:[0,1,1] neg_lo:[1,0,0]
	v_lshlrev_b32_e32 v98, 2, v98
	global_load_b128 v[62:65], v[8:9], off offset:24672
	v_pk_fma_f32 v[104:105], v[56:57], v[36:37], v[104:105] op_sel_hi:[1,0,1]
	v_pk_fma_f32 v[34:35], v[106:107], v[34:35], v[100:101] op_sel:[0,1,0]
	v_pk_fma_f32 v[102:103], v[54:55], v[36:37], v[102:103] op_sel_hi:[1,0,1]
	v_ashrrev_i32_e32 v99, 31, v98
	v_pk_fma_f32 v[106:107], v[50:51], v[36:37], v[108:109] op_sel_hi:[1,0,1]
	v_xor_b32_e32 v56, 0x80000000, v53
	v_pk_fma_f32 v[108:109], v[52:53], v[36:37], v[34:35] op_sel_hi:[1,0,1]
	v_pk_fma_f32 v[54:55], v[54:55], v[110:111], v[102:103] op_sel:[1,0,0] op_sel_hi:[0,0,1] neg_lo:[1,0,0]
	v_lshl_add_u64 v[112:113], v[98:99], 3, s[4:5]
	v_dual_mov_b32 v57, v52 :: v_dual_mov_b32 v103, v80
	v_subrev_nc_u32_e32 v52, s12, v116
	v_pk_fma_f32 v[106:107], v[50:51], v[110:111], v[106:107] op_sel:[1,0,0] op_sel_hi:[0,0,1] neg_lo:[1,0,0]
	s_clause 0x1
	global_load_b128 v[98:101], v[112:113], off
	global_load_b128 v[34:37], v[112:113], off offset:16
	v_pk_fma_f32 v[104:105], v[114:115], v[110:111], v[104:105] op_sel_hi:[1,0,1]
	v_lshlrev_b32_e32 v50, 2, v52
	v_pk_fma_f32 v[108:109], v[56:57], v[110:111], v[108:109] op_sel_hi:[1,0,1]
	s_wait_loadcnt 0x3
	v_pk_fma_f32 v[54:55], v[78:79], v[38:39], v[54:55] op_sel_hi:[1,0,1]
	v_xor_b32_e32 v102, 0x80000000, v81
	v_pk_fma_f32 v[80:81], v[80:81], v[38:39], v[104:105] op_sel_hi:[1,0,1]
	v_xor_b32_e32 v110, 0x80000000, v77
	v_dual_mov_b32 v111, v76 :: v_dual_ashrrev_i32 v51, 31, v50
	v_pk_fma_f32 v[104:105], v[78:79], v[38:39], v[54:55] op_sel:[1,1,0] op_sel_hi:[0,1,1] neg_lo:[1,0,0]
	v_pk_fma_f32 v[78:79], v[74:75], v[38:39], v[106:107] op_sel_hi:[1,0,1]
	v_pk_fma_f32 v[106:107], v[76:77], v[38:39], v[108:109] op_sel_hi:[1,0,1]
	v_pk_fma_f32 v[102:103], v[102:103], v[38:39], v[80:81] op_sel:[0,1,0]
	s_clause 0x1
	global_load_b128 v[58:61], v[8:9], off offset:24640
	global_load_b128 v[54:57], v[8:9], off offset:24656
	v_pk_fma_f32 v[108:109], v[74:75], v[38:39], v[78:79] op_sel:[1,1,0] op_sel_hi:[0,1,1] neg_lo:[1,0,0]
	v_pk_fma_f32 v[38:39], v[110:111], v[38:39], v[106:107] op_sel:[0,1,0]
	v_mov_b32_e32 v107, v72
	s_wait_xcnt 0x2
	v_lshl_add_u64 v[112:113], v[50:51], 3, s[4:5]
	global_load_b128 v[78:81], v[8:9], off offset:24688
	v_xor_b32_e32 v106, 0x80000000, v73
	v_pk_fma_f32 v[104:105], v[70:71], v[40:41], v[104:105] op_sel_hi:[1,0,1]
	v_pk_fma_f32 v[72:73], v[72:73], v[40:41], v[102:103] op_sel_hi:[1,0,1]
	s_clause 0x1
	global_load_b128 v[50:53], v[112:113], off
	global_load_b128 v[74:77], v[112:113], off offset:16
	v_pk_fma_f32 v[102:103], v[66:67], v[40:41], v[108:109] op_sel_hi:[1,0,1]
	v_pk_fma_f32 v[38:39], v[68:69], v[40:41], v[38:39] op_sel_hi:[1,0,1]
	v_mov_b32_e32 v40, v41
	v_xor_b32_e32 v108, 0x80000000, v69
	v_mov_b32_e32 v109, v68
	v_xor_b32_e32 v110, 0x80000000, v85
	v_mov_b32_e32 v111, v84
	v_pk_fma_f32 v[68:69], v[70:71], v[40:41], v[104:105] op_sel:[1,0,0] op_sel_hi:[0,0,1] neg_lo:[1,0,0]
	v_mov_b32_e32 v71, v96
	v_pk_fma_f32 v[66:67], v[66:67], v[40:41], v[102:103] op_sel:[1,0,0] op_sel_hi:[0,0,1] neg_lo:[1,0,0]
	v_pk_fma_f32 v[72:73], v[106:107], v[40:41], v[72:73] op_sel_hi:[1,0,1]
	v_pk_fma_f32 v[38:39], v[108:109], v[40:41], v[38:39] op_sel_hi:[1,0,1]
	v_xor_b32_e32 v70, 0x80000000, v97
	v_xor_b32_e32 v104, 0x80000000, v93
	v_dual_mov_b32 v105, v92 :: v_dual_mov_b32 v103, v88
	v_xor_b32_e32 v102, 0x80000000, v89
	v_mov_b32_e32 v107, v24
	v_xor_b32_e32 v106, 0x80000000, v25
	v_dual_mov_b32 v41, v12 :: v_dual_mov_b32 v109, v20
	v_xor_b32_e32 v108, 0x80000000, v21
	v_xor_b32_e32 v40, 0x80000000, v13
	s_wait_xcnt 0x2
	v_add_nc_u64_e32 v[8:9], 0x8000, v[8:9]
	v_cmp_ge_i32_e32 vcc_lo, v0, v1
	s_or_b32 s7, vcc_lo, s7
	s_wait_loadcnt 0x6
	v_pk_fma_f32 v[68:69], v[94:95], v[98:99], v[68:69] op_sel_hi:[1,0,1]
	v_pk_fma_f32 v[72:73], v[96:97], v[98:99], v[72:73] op_sel_hi:[1,0,1]
	;; [unrolled: 1-line block ×4, first 2 shown]
	v_mov_b32_e32 v97, v48
	v_pk_fma_f32 v[68:69], v[94:95], v[98:99], v[68:69] op_sel:[1,1,0] op_sel_hi:[0,1,1] neg_lo:[1,0,0]
	v_pk_fma_f32 v[70:71], v[70:71], v[98:99], v[72:73] op_sel:[0,1,0]
	v_pk_fma_f32 v[66:67], v[90:91], v[98:99], v[66:67] op_sel:[1,1,0] op_sel_hi:[0,1,1] neg_lo:[1,0,0]
	v_pk_fma_f32 v[38:39], v[104:105], v[98:99], v[38:39] op_sel:[0,1,0]
	v_dual_mov_b32 v98, v101 :: v_dual_mov_b32 v73, v64
	v_pk_fma_f32 v[68:69], v[86:87], v[100:101], v[68:69] op_sel_hi:[1,0,1]
	v_pk_fma_f32 v[70:71], v[88:89], v[100:101], v[70:71] op_sel_hi:[1,0,1]
	;; [unrolled: 1-line block ×4, first 2 shown]
	v_xor_b32_e32 v94, 0x80000000, v17
	v_pk_fma_f32 v[68:69], v[86:87], v[98:99], v[68:69] op_sel:[1,0,0] op_sel_hi:[0,0,1] neg_lo:[1,0,0]
	v_pk_fma_f32 v[70:71], v[102:103], v[98:99], v[70:71] op_sel_hi:[1,0,1]
	v_pk_fma_f32 v[66:67], v[82:83], v[98:99], v[66:67] op_sel:[1,0,0] op_sel_hi:[0,0,1] neg_lo:[1,0,0]
	v_pk_fma_f32 v[38:39], v[110:111], v[98:99], v[38:39] op_sel_hi:[1,0,1]
	v_mov_b32_e32 v95, v16
	s_wait_loadcnt 0x5
	v_pk_fma_f32 v[68:69], v[22:23], v[34:35], v[68:69] op_sel_hi:[1,0,1]
	v_pk_fma_f32 v[24:25], v[24:25], v[34:35], v[70:71] op_sel_hi:[1,0,1]
	;; [unrolled: 1-line block ×4, first 2 shown]
	v_mov_b32_e32 v83, v44
	v_pk_fma_f32 v[22:23], v[22:23], v[34:35], v[68:69] op_sel:[1,1,0] op_sel_hi:[0,1,1] neg_lo:[1,0,0]
	v_pk_fma_f32 v[24:25], v[106:107], v[34:35], v[24:25] op_sel:[0,1,0]
	v_pk_fma_f32 v[18:19], v[18:19], v[34:35], v[66:67] op_sel:[1,1,0] op_sel_hi:[0,1,1] neg_lo:[1,0,0]
	v_pk_fma_f32 v[20:21], v[108:109], v[34:35], v[20:21] op_sel:[0,1,0]
	v_mov_b32_e32 v34, v37
	v_pk_fma_f32 v[22:23], v[10:11], v[36:37], v[22:23] op_sel_hi:[1,0,1]
	v_pk_fma_f32 v[12:13], v[12:13], v[36:37], v[24:25] op_sel_hi:[1,0,1]
	;; [unrolled: 1-line block ×4, first 2 shown]
	v_xor_b32_e32 v96, 0x80000000, v49
	v_pk_fma_f32 v[10:11], v[10:11], v[34:35], v[22:23] op_sel:[1,0,0] op_sel_hi:[0,0,1] neg_lo:[1,0,0]
	v_pk_fma_f32 v[12:13], v[40:41], v[34:35], v[12:13] op_sel_hi:[1,0,1]
	v_pk_fma_f32 v[14:15], v[14:15], v[34:35], v[18:19] op_sel:[1,0,0] op_sel_hi:[0,0,1] neg_lo:[1,0,0]
	v_pk_fma_f32 v[16:17], v[94:95], v[34:35], v[16:17] op_sel_hi:[1,0,1]
	v_xor_b32_e32 v82, 0x80000000, v45
	s_wait_loadcnt 0x1
	v_pk_fma_f32 v[10:11], v[46:47], v[50:51], v[10:11] op_sel_hi:[1,0,1]
	v_pk_fma_f32 v[12:13], v[48:49], v[50:51], v[12:13] op_sel_hi:[1,0,1]
	;; [unrolled: 1-line block ×4, first 2 shown]
	v_xor_b32_e32 v90, 0x80000000, v33
	v_pk_fma_f32 v[10:11], v[46:47], v[50:51], v[10:11] op_sel:[1,1,0] op_sel_hi:[0,1,1] neg_lo:[1,0,0]
	v_pk_fma_f32 v[12:13], v[96:97], v[50:51], v[12:13] op_sel:[0,1,0]
	v_pk_fma_f32 v[14:15], v[42:43], v[50:51], v[14:15] op_sel:[1,1,0] op_sel_hi:[0,1,1] neg_lo:[1,0,0]
	v_pk_fma_f32 v[16:17], v[82:83], v[50:51], v[16:17] op_sel:[0,1,0]
	v_dual_mov_b32 v91, v32 :: v_dual_mov_b32 v93, v60
	v_xor_b32_e32 v20, 0x80000000, v29
	v_dual_mov_b32 v21, v28 :: v_dual_mov_b32 v22, v53
	v_pk_fma_f32 v[10:11], v[30:31], v[52:53], v[10:11] op_sel_hi:[1,0,1]
	v_pk_fma_f32 v[12:13], v[32:33], v[52:53], v[12:13] op_sel_hi:[1,0,1]
	;; [unrolled: 1-line block ×4, first 2 shown]
	v_xor_b32_e32 v92, 0x80000000, v61
	v_pk_fma_f32 v[10:11], v[30:31], v[22:23], v[10:11] op_sel:[1,0,0] op_sel_hi:[0,0,1] neg_lo:[1,0,0]
	v_pk_fma_f32 v[12:13], v[90:91], v[22:23], v[12:13] op_sel_hi:[1,0,1]
	v_pk_fma_f32 v[14:15], v[26:27], v[22:23], v[14:15] op_sel:[1,0,0] op_sel_hi:[0,0,1] neg_lo:[1,0,0]
	v_pk_fma_f32 v[16:17], v[20:21], v[22:23], v[16:17] op_sel_hi:[1,0,1]
	v_xor_b32_e32 v18, 0x80000000, v57
	v_dual_mov_b32 v19, v56 :: v_dual_mov_b32 v21, v80
	s_wait_loadcnt 0x0
	v_pk_fma_f32 v[10:11], v[58:59], v[74:75], v[10:11] op_sel_hi:[1,0,1]
	v_pk_fma_f32 v[12:13], v[60:61], v[74:75], v[12:13] op_sel_hi:[1,0,1]
	;; [unrolled: 1-line block ×4, first 2 shown]
	v_xor_b32_e32 v72, 0x80000000, v65
	v_pk_fma_f32 v[10:11], v[58:59], v[74:75], v[10:11] op_sel:[1,1,0] op_sel_hi:[0,1,1] neg_lo:[1,0,0]
	v_pk_fma_f32 v[12:13], v[92:93], v[74:75], v[12:13] op_sel:[0,1,0]
	v_pk_fma_f32 v[14:15], v[54:55], v[74:75], v[14:15] op_sel:[1,1,0] op_sel_hi:[0,1,1] neg_lo:[1,0,0]
	v_pk_fma_f32 v[16:17], v[18:19], v[74:75], v[16:17] op_sel:[0,1,0]
	v_xor_b32_e32 v20, 0x80000000, v81
	v_mov_b32_e32 v18, v77
	v_pk_fma_f32 v[10:11], v[62:63], v[76:77], v[10:11] op_sel_hi:[1,0,1]
	v_pk_fma_f32 v[12:13], v[64:65], v[76:77], v[12:13] op_sel_hi:[1,0,1]
	;; [unrolled: 1-line block ×4, first 2 shown]
	s_delay_alu instid0(VALU_DEP_4) | instskip(NEXT) | instid1(VALU_DEP_4)
	v_pk_fma_f32 v[16:17], v[62:63], v[18:19], v[10:11] op_sel:[1,0,0] op_sel_hi:[0,0,1] neg_lo:[1,0,0]
	v_pk_fma_f32 v[14:15], v[72:73], v[18:19], v[12:13] op_sel_hi:[1,0,1]
	s_delay_alu instid0(VALU_DEP_4) | instskip(NEXT) | instid1(VALU_DEP_4)
	v_pk_fma_f32 v[12:13], v[78:79], v[18:19], v[22:23] op_sel:[1,0,0] op_sel_hi:[0,0,1] neg_lo:[1,0,0]
	v_pk_fma_f32 v[10:11], v[20:21], v[18:19], v[24:25] op_sel_hi:[1,0,1]
	s_and_not1_b32 exec_lo, exec_lo, s7
	s_cbranch_execnz .LBB14_29
; %bb.30:
	s_or_b32 exec_lo, exec_lo, s7
.LBB14_31:
	s_delay_alu instid0(SALU_CYCLE_1)
	s_or_b32 exec_lo, exec_lo, s3
.LBB14_32:
	s_delay_alu instid0(SALU_CYCLE_1)
	s_or_b32 exec_lo, exec_lo, s6
.LBB14_33:
	v_mbcnt_lo_u32_b32 v0, -1, 0
	s_delay_alu instid0(VALU_DEP_1) | instskip(SKIP_1) | instid1(VALU_DEP_1)
	v_xor_b32_e32 v23, 16, v0
	v_or_b32_e32 v1, 32, v0
	v_cmp_gt_i32_e32 vcc_lo, 32, v1
	v_cndmask_b32_e32 v1, v0, v1, vcc_lo
	s_delay_alu instid0(VALU_DEP_4) | instskip(SKIP_1) | instid1(VALU_DEP_1)
	v_cmp_gt_i32_e32 vcc_lo, 32, v23
	v_cndmask_b32_e32 v23, v0, v23, vcc_lo
	v_dual_lshlrev_b32 v23, 2, v23 :: v_dual_lshlrev_b32 v1, 2, v1
	ds_bpermute_b32 v8, v1, v16
	s_wait_dscnt 0x0
	v_add_f32_e32 v8, v16, v8
	ds_bpermute_b32 v9, v1, v17
	ds_bpermute_b32 v18, v1, v14
	;; [unrolled: 1-line block ×7, first 2 shown]
	s_wait_dscnt 0x5
	v_dual_add_f32 v9, v17, v9 :: v_dual_add_f32 v14, v14, v18
	s_wait_dscnt 0x3
	v_dual_add_f32 v15, v15, v19 :: v_dual_add_f32 v12, v12, v20
	;; [unrolled: 2-line block ×3, first 2 shown]
	s_wait_dscnt 0x0
	v_add_f32_e32 v1, v11, v1
	ds_bpermute_b32 v11, v23, v8
	ds_bpermute_b32 v16, v23, v9
	ds_bpermute_b32 v17, v23, v14
	ds_bpermute_b32 v18, v23, v15
	ds_bpermute_b32 v19, v23, v12
	ds_bpermute_b32 v20, v23, v13
	ds_bpermute_b32 v21, v23, v10
	ds_bpermute_b32 v22, v23, v1
	s_wait_dscnt 0x7
	v_dual_add_f32 v8, v8, v11 :: v_dual_bitop2_b32 v23, 8, v0 bitop3:0x14
	s_delay_alu instid0(VALU_DEP_1)
	v_cmp_gt_i32_e32 vcc_lo, 32, v23
	s_wait_dscnt 0x5
	v_dual_add_f32 v9, v9, v16 :: v_dual_add_f32 v11, v14, v17
	s_wait_dscnt 0x3
	v_dual_add_f32 v14, v15, v18 :: v_dual_add_f32 v12, v12, v19
	s_wait_dscnt 0x2
	v_dual_cndmask_b32 v23, v0, v23, vcc_lo :: v_dual_add_f32 v13, v13, v20
	s_wait_dscnt 0x0
	v_dual_add_f32 v10, v10, v21 :: v_dual_add_f32 v1, v1, v22
	s_delay_alu instid0(VALU_DEP_2)
	v_lshlrev_b32_e32 v23, 2, v23
	ds_bpermute_b32 v15, v23, v8
	ds_bpermute_b32 v16, v23, v9
	;; [unrolled: 1-line block ×8, first 2 shown]
	v_xor_b32_e32 v23, 4, v0
	s_delay_alu instid0(VALU_DEP_1) | instskip(SKIP_4) | instid1(VALU_DEP_2)
	v_cmp_gt_i32_e32 vcc_lo, 32, v23
	v_cndmask_b32_e32 v23, v0, v23, vcc_lo
	s_wait_dscnt 0x6
	v_dual_add_f32 v8, v8, v15 :: v_dual_add_f32 v9, v9, v16
	s_wait_dscnt 0x5
	v_dual_add_f32 v11, v11, v17 :: v_dual_lshlrev_b32 v23, 2, v23
	s_wait_dscnt 0x3
	v_dual_add_f32 v14, v14, v18 :: v_dual_add_f32 v12, v12, v19
	s_wait_dscnt 0x1
	v_dual_add_f32 v13, v13, v20 :: v_dual_add_f32 v10, v10, v21
	s_wait_dscnt 0x0
	v_add_f32_e32 v1, v1, v22
	ds_bpermute_b32 v15, v23, v8
	ds_bpermute_b32 v16, v23, v9
	;; [unrolled: 1-line block ×8, first 2 shown]
	s_wait_dscnt 0x7
	v_dual_add_f32 v8, v8, v15 :: v_dual_bitop2_b32 v23, 2, v0 bitop3:0x14
	s_delay_alu instid0(VALU_DEP_1)
	v_cmp_gt_i32_e32 vcc_lo, 32, v23
	s_wait_dscnt 0x5
	v_dual_add_f32 v9, v9, v16 :: v_dual_add_f32 v11, v11, v17
	s_wait_dscnt 0x3
	v_dual_add_f32 v14, v14, v18 :: v_dual_add_f32 v12, v12, v19
	s_wait_dscnt 0x2
	v_dual_cndmask_b32 v23, v0, v23, vcc_lo :: v_dual_add_f32 v13, v13, v20
	s_wait_dscnt 0x0
	v_dual_add_f32 v15, v10, v21 :: v_dual_add_f32 v16, v1, v22
	s_delay_alu instid0(VALU_DEP_2)
	v_lshlrev_b32_e32 v23, 2, v23
	ds_bpermute_b32 v1, v23, v8
	ds_bpermute_b32 v10, v23, v9
	;; [unrolled: 1-line block ×8, first 2 shown]
	v_xor_b32_e32 v23, 1, v0
	s_delay_alu instid0(VALU_DEP_1) | instskip(SKIP_3) | instid1(VALU_DEP_2)
	v_cmp_gt_i32_e32 vcc_lo, 32, v23
	v_cndmask_b32_e32 v0, v0, v23, vcc_lo
	v_cmp_eq_u32_e32 vcc_lo, 63, v7
	s_wait_dscnt 0x7
	v_dual_add_f32 v0, v8, v1 :: v_dual_lshlrev_b32 v23, 2, v0
	s_wait_dscnt 0x5
	v_dual_add_f32 v1, v9, v10 :: v_dual_add_f32 v8, v11, v17
	s_wait_dscnt 0x3
	v_dual_add_f32 v9, v14, v18 :: v_dual_add_f32 v10, v12, v19
	;; [unrolled: 2-line block ×3, first 2 shown]
	s_wait_dscnt 0x0
	v_add_f32_e32 v13, v16, v22
	ds_bpermute_b32 v14, v23, v0
	ds_bpermute_b32 v15, v23, v1
	;; [unrolled: 1-line block ×8, first 2 shown]
	s_and_b32 exec_lo, exec_lo, vcc_lo
	s_cbranch_execz .LBB14_6
; %bb.34:
	s_load_b64 s[0:1], s[0:1], 0x50
	v_cmp_eq_f32_e32 vcc_lo, 0, v4
	s_wait_dscnt 0x6
	v_dual_add_f32 v0, v0, v14 :: v_dual_add_f32 v22, v1, v15
	s_wait_dscnt 0x4
	v_dual_add_f32 v8, v8, v16 :: v_dual_add_f32 v20, v9, v17
	;; [unrolled: 2-line block ×4, first 2 shown]
	v_xor_b32_e32 v18, 0x80000000, v3
	v_lshlrev_b32_e32 v6, 2, v6
	s_xor_b32 s2, s2, -1
	s_delay_alu instid0(SALU_CYCLE_1) | instskip(NEXT) | instid1(SALU_CYCLE_1)
	s_and_b32 s2, vcc_lo, s2
	s_and_saveexec_b32 s3, s2
	s_delay_alu instid0(SALU_CYCLE_1)
	s_xor_b32 s2, exec_lo, s3
	s_cbranch_execz .LBB14_36
; %bb.35:
	v_dual_mov_b32 v19, v2 :: v_dual_ashrrev_i32 v7, 31, v6
	s_delay_alu instid0(VALU_DEP_1)
	v_pk_mul_f32 v[4:5], v[22:23], v[18:19] op_sel_hi:[0,1]
	v_pk_mul_f32 v[20:21], v[20:21], v[18:19] op_sel_hi:[0,1]
	;; [unrolled: 1-line block ×4, first 2 shown]
	s_wait_kmcnt 0x0
	v_lshl_add_u64 v[18:19], v[6:7], 3, s[0:1]
	v_pk_fma_f32 v[4:5], v[2:3], v[0:1], v[4:5] op_sel_hi:[1,0,1]
	v_pk_fma_f32 v[6:7], v[2:3], v[8:9], v[20:21] op_sel_hi:[1,0,1]
	;; [unrolled: 1-line block ×4, first 2 shown]
                                        ; implicit-def: $vgpr22
                                        ; implicit-def: $vgpr8
                                        ; implicit-def: $vgpr20
                                        ; implicit-def: $vgpr10
                                        ; implicit-def: $vgpr16
                                        ; implicit-def: $vgpr12
                                        ; implicit-def: $vgpr14
	s_clause 0x1
	global_store_b128 v[18:19], v[4:7], off
	global_store_b128 v[18:19], v[0:3], off offset:16
                                        ; implicit-def: $vgpr0
                                        ; implicit-def: $vgpr2_vgpr3
                                        ; implicit-def: $vgpr4_vgpr5
                                        ; implicit-def: $vgpr18
                                        ; implicit-def: $vgpr6
.LBB14_36:
	s_wait_xcnt 0x0
	s_and_not1_saveexec_b32 s2, s2
	s_cbranch_execz .LBB14_6
; %bb.37:
	v_dual_ashrrev_i32 v7, 31, v6 :: v_dual_mov_b32 v19, v2
	s_wait_kmcnt 0x0
	s_delay_alu instid0(VALU_DEP_1) | instskip(NEXT) | instid1(VALU_DEP_2)
	v_lshl_add_u64 v[32:33], v[6:7], 3, s[0:1]
	v_pk_mul_f32 v[6:7], v[22:23], v[18:19] op_sel_hi:[0,1]
	v_pk_mul_f32 v[20:21], v[20:21], v[18:19] op_sel_hi:[0,1]
	;; [unrolled: 1-line block ×4, first 2 shown]
	s_clause 0x1
	global_load_b128 v[24:27], v[32:33], off
	global_load_b128 v[28:31], v[32:33], off offset:16
	v_pk_fma_f32 v[0:1], v[2:3], v[0:1], v[6:7] op_sel_hi:[1,0,1]
	v_pk_fma_f32 v[6:7], v[2:3], v[8:9], v[20:21] op_sel_hi:[1,0,1]
	v_pk_fma_f32 v[8:9], v[2:3], v[10:11], v[16:17] op_sel_hi:[1,0,1]
	v_pk_fma_f32 v[2:3], v[2:3], v[12:13], v[14:15] op_sel_hi:[1,0,1]
	v_xor_b32_e32 v22, 0x80000000, v5
	s_wait_loadcnt 0x1
	v_dual_mov_b32 v23, v4 :: v_dual_mov_b32 v10, v27
	v_pk_fma_f32 v[0:1], v[4:5], v[24:25], v[0:1] op_sel_hi:[1,0,1]
	v_pk_fma_f32 v[6:7], v[4:5], v[26:27], v[6:7] op_sel_hi:[1,0,1]
	s_wait_loadcnt 0x0
	v_pk_fma_f32 v[8:9], v[4:5], v[28:29], v[8:9] op_sel_hi:[1,0,1]
	v_pk_fma_f32 v[12:13], v[4:5], v[30:31], v[2:3] op_sel_hi:[1,0,1]
	v_mov_b32_e32 v14, v31
	v_pk_fma_f32 v[0:1], v[22:23], v[24:25], v[0:1] op_sel:[0,1,0]
	v_pk_fma_f32 v[2:3], v[22:23], v[10:11], v[6:7] op_sel_hi:[1,0,1]
	v_pk_fma_f32 v[4:5], v[22:23], v[28:29], v[8:9] op_sel:[0,1,0]
	s_delay_alu instid0(VALU_DEP_4)
	v_pk_fma_f32 v[6:7], v[22:23], v[14:15], v[12:13] op_sel_hi:[1,0,1]
	s_clause 0x1
	global_store_b128 v[32:33], v[0:3], off
	global_store_b128 v[32:33], v[4:7], off offset:16
	s_sendmsg sendmsg(MSG_DEALLOC_VGPRS)
	s_endpgm
	.section	.rodata,"a",@progbits
	.p2align	6, 0x0
	.amdhsa_kernel _ZN9rocsparseL18bsrxmvn_4x4_kernelILj128ELj64E21rocsparse_complex_numIfEiiS2_S2_S2_EEvT3_20rocsparse_direction_NS_24const_host_device_scalarIT1_EES3_PKS3_PKT2_SC_S9_PKT4_PKT5_S7_PT6_21rocsparse_index_base_b
		.amdhsa_group_segment_fixed_size 0
		.amdhsa_private_segment_fixed_size 0
		.amdhsa_kernarg_size 96
		.amdhsa_user_sgpr_count 2
		.amdhsa_user_sgpr_dispatch_ptr 0
		.amdhsa_user_sgpr_queue_ptr 0
		.amdhsa_user_sgpr_kernarg_segment_ptr 1
		.amdhsa_user_sgpr_dispatch_id 0
		.amdhsa_user_sgpr_kernarg_preload_length 0
		.amdhsa_user_sgpr_kernarg_preload_offset 0
		.amdhsa_user_sgpr_private_segment_size 0
		.amdhsa_wavefront_size32 1
		.amdhsa_uses_dynamic_stack 0
		.amdhsa_enable_private_segment 0
		.amdhsa_system_sgpr_workgroup_id_x 1
		.amdhsa_system_sgpr_workgroup_id_y 0
		.amdhsa_system_sgpr_workgroup_id_z 0
		.amdhsa_system_sgpr_workgroup_info 0
		.amdhsa_system_vgpr_workitem_id 0
		.amdhsa_next_free_vgpr 139
		.amdhsa_next_free_sgpr 16
		.amdhsa_named_barrier_count 0
		.amdhsa_reserve_vcc 1
		.amdhsa_float_round_mode_32 0
		.amdhsa_float_round_mode_16_64 0
		.amdhsa_float_denorm_mode_32 3
		.amdhsa_float_denorm_mode_16_64 3
		.amdhsa_fp16_overflow 0
		.amdhsa_memory_ordered 1
		.amdhsa_forward_progress 1
		.amdhsa_inst_pref_size 65
		.amdhsa_round_robin_scheduling 0
		.amdhsa_exception_fp_ieee_invalid_op 0
		.amdhsa_exception_fp_denorm_src 0
		.amdhsa_exception_fp_ieee_div_zero 0
		.amdhsa_exception_fp_ieee_overflow 0
		.amdhsa_exception_fp_ieee_underflow 0
		.amdhsa_exception_fp_ieee_inexact 0
		.amdhsa_exception_int_div_zero 0
	.end_amdhsa_kernel
	.section	.text._ZN9rocsparseL18bsrxmvn_4x4_kernelILj128ELj64E21rocsparse_complex_numIfEiiS2_S2_S2_EEvT3_20rocsparse_direction_NS_24const_host_device_scalarIT1_EES3_PKS3_PKT2_SC_S9_PKT4_PKT5_S7_PT6_21rocsparse_index_base_b,"axG",@progbits,_ZN9rocsparseL18bsrxmvn_4x4_kernelILj128ELj64E21rocsparse_complex_numIfEiiS2_S2_S2_EEvT3_20rocsparse_direction_NS_24const_host_device_scalarIT1_EES3_PKS3_PKT2_SC_S9_PKT4_PKT5_S7_PT6_21rocsparse_index_base_b,comdat
.Lfunc_end14:
	.size	_ZN9rocsparseL18bsrxmvn_4x4_kernelILj128ELj64E21rocsparse_complex_numIfEiiS2_S2_S2_EEvT3_20rocsparse_direction_NS_24const_host_device_scalarIT1_EES3_PKS3_PKT2_SC_S9_PKT4_PKT5_S7_PT6_21rocsparse_index_base_b, .Lfunc_end14-_ZN9rocsparseL18bsrxmvn_4x4_kernelILj128ELj64E21rocsparse_complex_numIfEiiS2_S2_S2_EEvT3_20rocsparse_direction_NS_24const_host_device_scalarIT1_EES3_PKS3_PKT2_SC_S9_PKT4_PKT5_S7_PT6_21rocsparse_index_base_b
                                        ; -- End function
	.set _ZN9rocsparseL18bsrxmvn_4x4_kernelILj128ELj64E21rocsparse_complex_numIfEiiS2_S2_S2_EEvT3_20rocsparse_direction_NS_24const_host_device_scalarIT1_EES3_PKS3_PKT2_SC_S9_PKT4_PKT5_S7_PT6_21rocsparse_index_base_b.num_vgpr, 139
	.set _ZN9rocsparseL18bsrxmvn_4x4_kernelILj128ELj64E21rocsparse_complex_numIfEiiS2_S2_S2_EEvT3_20rocsparse_direction_NS_24const_host_device_scalarIT1_EES3_PKS3_PKT2_SC_S9_PKT4_PKT5_S7_PT6_21rocsparse_index_base_b.num_agpr, 0
	.set _ZN9rocsparseL18bsrxmvn_4x4_kernelILj128ELj64E21rocsparse_complex_numIfEiiS2_S2_S2_EEvT3_20rocsparse_direction_NS_24const_host_device_scalarIT1_EES3_PKS3_PKT2_SC_S9_PKT4_PKT5_S7_PT6_21rocsparse_index_base_b.numbered_sgpr, 16
	.set _ZN9rocsparseL18bsrxmvn_4x4_kernelILj128ELj64E21rocsparse_complex_numIfEiiS2_S2_S2_EEvT3_20rocsparse_direction_NS_24const_host_device_scalarIT1_EES3_PKS3_PKT2_SC_S9_PKT4_PKT5_S7_PT6_21rocsparse_index_base_b.num_named_barrier, 0
	.set _ZN9rocsparseL18bsrxmvn_4x4_kernelILj128ELj64E21rocsparse_complex_numIfEiiS2_S2_S2_EEvT3_20rocsparse_direction_NS_24const_host_device_scalarIT1_EES3_PKS3_PKT2_SC_S9_PKT4_PKT5_S7_PT6_21rocsparse_index_base_b.private_seg_size, 0
	.set _ZN9rocsparseL18bsrxmvn_4x4_kernelILj128ELj64E21rocsparse_complex_numIfEiiS2_S2_S2_EEvT3_20rocsparse_direction_NS_24const_host_device_scalarIT1_EES3_PKS3_PKT2_SC_S9_PKT4_PKT5_S7_PT6_21rocsparse_index_base_b.uses_vcc, 1
	.set _ZN9rocsparseL18bsrxmvn_4x4_kernelILj128ELj64E21rocsparse_complex_numIfEiiS2_S2_S2_EEvT3_20rocsparse_direction_NS_24const_host_device_scalarIT1_EES3_PKS3_PKT2_SC_S9_PKT4_PKT5_S7_PT6_21rocsparse_index_base_b.uses_flat_scratch, 1
	.set _ZN9rocsparseL18bsrxmvn_4x4_kernelILj128ELj64E21rocsparse_complex_numIfEiiS2_S2_S2_EEvT3_20rocsparse_direction_NS_24const_host_device_scalarIT1_EES3_PKS3_PKT2_SC_S9_PKT4_PKT5_S7_PT6_21rocsparse_index_base_b.has_dyn_sized_stack, 0
	.set _ZN9rocsparseL18bsrxmvn_4x4_kernelILj128ELj64E21rocsparse_complex_numIfEiiS2_S2_S2_EEvT3_20rocsparse_direction_NS_24const_host_device_scalarIT1_EES3_PKS3_PKT2_SC_S9_PKT4_PKT5_S7_PT6_21rocsparse_index_base_b.has_recursion, 0
	.set _ZN9rocsparseL18bsrxmvn_4x4_kernelILj128ELj64E21rocsparse_complex_numIfEiiS2_S2_S2_EEvT3_20rocsparse_direction_NS_24const_host_device_scalarIT1_EES3_PKS3_PKT2_SC_S9_PKT4_PKT5_S7_PT6_21rocsparse_index_base_b.has_indirect_call, 0
	.section	.AMDGPU.csdata,"",@progbits
; Kernel info:
; codeLenInByte = 8216
; TotalNumSgprs: 18
; NumVgprs: 139
; ScratchSize: 0
; MemoryBound: 0
; FloatMode: 240
; IeeeMode: 1
; LDSByteSize: 0 bytes/workgroup (compile time only)
; SGPRBlocks: 0
; VGPRBlocks: 8
; NumSGPRsForWavesPerEU: 18
; NumVGPRsForWavesPerEU: 139
; NamedBarCnt: 0
; Occupancy: 7
; WaveLimiterHint : 1
; COMPUTE_PGM_RSRC2:SCRATCH_EN: 0
; COMPUTE_PGM_RSRC2:USER_SGPR: 2
; COMPUTE_PGM_RSRC2:TRAP_HANDLER: 0
; COMPUTE_PGM_RSRC2:TGID_X_EN: 1
; COMPUTE_PGM_RSRC2:TGID_Y_EN: 0
; COMPUTE_PGM_RSRC2:TGID_Z_EN: 0
; COMPUTE_PGM_RSRC2:TIDIG_COMP_CNT: 0
	.section	.text._ZN9rocsparseL18bsrxmvn_4x4_kernelILj128ELj4E21rocsparse_complex_numIdEiiS2_S2_S2_EEvT3_20rocsparse_direction_NS_24const_host_device_scalarIT1_EES3_PKS3_PKT2_SC_S9_PKT4_PKT5_S7_PT6_21rocsparse_index_base_b,"axG",@progbits,_ZN9rocsparseL18bsrxmvn_4x4_kernelILj128ELj4E21rocsparse_complex_numIdEiiS2_S2_S2_EEvT3_20rocsparse_direction_NS_24const_host_device_scalarIT1_EES3_PKS3_PKT2_SC_S9_PKT4_PKT5_S7_PT6_21rocsparse_index_base_b,comdat
	.globl	_ZN9rocsparseL18bsrxmvn_4x4_kernelILj128ELj4E21rocsparse_complex_numIdEiiS2_S2_S2_EEvT3_20rocsparse_direction_NS_24const_host_device_scalarIT1_EES3_PKS3_PKT2_SC_S9_PKT4_PKT5_S7_PT6_21rocsparse_index_base_b ; -- Begin function _ZN9rocsparseL18bsrxmvn_4x4_kernelILj128ELj4E21rocsparse_complex_numIdEiiS2_S2_S2_EEvT3_20rocsparse_direction_NS_24const_host_device_scalarIT1_EES3_PKS3_PKT2_SC_S9_PKT4_PKT5_S7_PT6_21rocsparse_index_base_b
	.p2align	8
	.type	_ZN9rocsparseL18bsrxmvn_4x4_kernelILj128ELj4E21rocsparse_complex_numIdEiiS2_S2_S2_EEvT3_20rocsparse_direction_NS_24const_host_device_scalarIT1_EES3_PKS3_PKT2_SC_S9_PKT4_PKT5_S7_PT6_21rocsparse_index_base_b,@function
_ZN9rocsparseL18bsrxmvn_4x4_kernelILj128ELj4E21rocsparse_complex_numIdEiiS2_S2_S2_EEvT3_20rocsparse_direction_NS_24const_host_device_scalarIT1_EES3_PKS3_PKT2_SC_S9_PKT4_PKT5_S7_PT6_21rocsparse_index_base_b: ; @_ZN9rocsparseL18bsrxmvn_4x4_kernelILj128ELj4E21rocsparse_complex_numIdEiiS2_S2_S2_EEvT3_20rocsparse_direction_NS_24const_host_device_scalarIT1_EES3_PKS3_PKT2_SC_S9_PKT4_PKT5_S7_PT6_21rocsparse_index_base_b
; %bb.0:
	s_clause 0x1
	s_load_b64 s[12:13], s[0:1], 0x68
	s_load_b64 s[2:3], s[0:1], 0x8
	v_mov_b32_e32 v1, 0
	s_add_nc_u64 s[4:5], s[0:1], 8
	s_load_b64 s[6:7], s[0:1], 0x50
	s_wait_kmcnt 0x0
	s_bitcmp1_b32 s13, 0
	s_cselect_b32 s3, s5, s3
	s_cselect_b32 s2, s4, s2
	flat_load_b128 v[6:9], v1, s[2:3]
	s_wait_xcnt 0x0
	s_add_nc_u64 s[2:3], s[0:1], 0x50
	s_delay_alu instid0(SALU_CYCLE_1)
	s_cselect_b32 s3, s3, s7
	s_cselect_b32 s2, s2, s6
	flat_load_b128 v[2:5], v1, s[2:3]
	s_wait_loadcnt_dscnt 0x101
	v_cmp_eq_f64_e32 vcc_lo, 0, v[6:7]
	s_wait_xcnt 0x0
	v_cmp_eq_f64_e64 s2, 0, v[8:9]
	s_and_b32 s4, vcc_lo, s2
	s_mov_b32 s2, -1
	s_and_saveexec_b32 s3, s4
	s_cbranch_execz .LBB15_2
; %bb.1:
	s_wait_loadcnt_dscnt 0x0
	v_cmp_neq_f64_e32 vcc_lo, 1.0, v[2:3]
	v_cmp_neq_f64_e64 s2, 0, v[4:5]
	s_or_b32 s2, vcc_lo, s2
	s_delay_alu instid0(SALU_CYCLE_1)
	s_or_not1_b32 s2, s2, exec_lo
.LBB15_2:
	s_or_b32 exec_lo, exec_lo, s3
	s_and_saveexec_b32 s3, s2
	s_cbranch_execz .LBB15_8
; %bb.3:
	s_clause 0x1
	s_load_b64 s[4:5], s[0:1], 0x20
	s_load_b64 s[2:3], s[0:1], 0x0
	s_bfe_u32 s6, ttmp6, 0x4000c
	s_and_b32 s7, ttmp6, 15
	s_add_co_i32 s6, s6, 1
	s_getreg_b32 s8, hwreg(HW_REG_IB_STS2, 6, 4)
	s_mul_i32 s6, ttmp9, s6
	v_lshrrev_b32_e32 v1, 2, v0
	s_add_co_i32 s7, s7, s6
	s_cmp_eq_u32 s8, 0
	s_cselect_b32 s6, ttmp9, s7
	s_delay_alu instid0(VALU_DEP_1) | instid1(SALU_CYCLE_1)
	v_lshl_or_b32 v26, s6, 5, v1
	s_mov_b32 s6, 0
	s_wait_kmcnt 0x0
	s_cmp_lg_u64 s[4:5], 0
	s_cbranch_scc0 .LBB15_9
; %bb.4:
	s_load_b32 s6, s[0:1], 0x18
	s_mov_b32 s7, 0
                                        ; implicit-def: $vgpr1
	s_wait_kmcnt 0x0
	v_cmp_gt_i32_e32 vcc_lo, s6, v26
	s_mov_b32 s6, 0
	s_and_saveexec_b32 s8, vcc_lo
	s_delay_alu instid0(SALU_CYCLE_1)
	s_xor_b32 s8, exec_lo, s8
	s_cbranch_execz .LBB15_6
; %bb.5:
	global_load_b32 v1, v26, s[4:5] scale_offset
	s_mov_b32 s6, exec_lo
	s_wait_loadcnt 0x0
	v_subrev_nc_u32_e32 v1, s12, v1
.LBB15_6:
	s_or_b32 exec_lo, exec_lo, s8
	s_delay_alu instid0(SALU_CYCLE_1)
	s_and_b32 vcc_lo, exec_lo, s7
	s_cbranch_vccz .LBB15_10
.LBB15_7:
	v_cmp_gt_i32_e32 vcc_lo, s2, v26
	s_and_not1_b32 s2, s6, exec_lo
	s_and_b32 s4, vcc_lo, exec_lo
	s_delay_alu instid0(SALU_CYCLE_1) | instskip(NEXT) | instid1(SALU_CYCLE_1)
	s_or_b32 s6, s2, s4
	s_and_b32 exec_lo, exec_lo, s6
	s_cbranch_execnz .LBB15_11
.LBB15_8:
	s_sendmsg sendmsg(MSG_DEALLOC_VGPRS)
	s_endpgm
.LBB15_9:
                                        ; implicit-def: $vgpr1
	s_cbranch_execnz .LBB15_7
.LBB15_10:
	s_delay_alu instid0(VALU_DEP_1)
	v_mov_b32_e32 v26, v1
	s_and_b32 exec_lo, exec_lo, s6
	s_cbranch_execz .LBB15_8
.LBB15_11:
	s_load_b256 s[4:11], s[0:1], 0x28
	s_wait_kmcnt 0x0
	global_load_b32 v32, v26, s[4:5] scale_offset
	s_cmp_eq_u64 s[6:7], 0
	s_cselect_b32 vcc_lo, -1, 0
	v_ashrrev_i32_e32 v27, 31, v26
	s_cmp_eq_u32 s3, 1
	s_delay_alu instid0(VALU_DEP_1) | instskip(SKIP_1) | instid1(VALU_DEP_2)
	v_lshlrev_b64_e32 v[10:11], 2, v[26:27]
	v_and_b32_e32 v27, 3, v0
	v_add_nc_u64_e32 v[12:13], s[4:5], v[10:11]
	v_add_nc_u64_e32 v[10:11], s[6:7], v[10:11]
	s_wait_xcnt 0x0
	s_load_b64 s[4:5], s[0:1], 0x48
	s_delay_alu instid0(VALU_DEP_2) | instskip(NEXT) | instid1(VALU_DEP_1)
	v_add_nc_u64_e32 v[12:13], 4, v[12:13]
	v_cndmask_b32_e32 v11, v11, v13, vcc_lo
	s_wait_loadcnt 0x0
	v_subrev_nc_u32_e32 v0, s12, v32
	s_delay_alu instid0(VALU_DEP_1) | instskip(SKIP_2) | instid1(VALU_DEP_1)
	v_dual_cndmask_b32 v10, v10, v12, vcc_lo :: v_dual_add_nc_u32 v16, v0, v27
	global_load_b32 v10, v[10:11], off
	v_ashrrev_i32_e32 v17, 31, v16
	v_lshlrev_b64_e32 v[0:1], 8, v[16:17]
	s_delay_alu instid0(VALU_DEP_1) | instskip(SKIP_2) | instid1(VALU_DEP_1)
	v_add_nc_u64_e32 v[18:19], s[10:11], v[0:1]
	s_wait_loadcnt 0x0
	v_subrev_nc_u32_e32 v17, s12, v10
	v_cmp_lt_i32_e64 s2, v16, v17
	s_cbranch_scc1 .LBB15_23
; %bb.12:
	v_mov_b64_e32 v[0:1], 0
	v_mov_b64_e32 v[28:29], 0
	;; [unrolled: 1-line block ×8, first 2 shown]
	s_and_saveexec_b32 s3, s2
	s_cbranch_execz .LBB15_22
; %bb.13:
	v_add_nc_u32_e32 v0, v32, v27
	v_not_b32_e32 v1, v32
	v_mov_b64_e32 v[12:13], 0
	v_mov_b64_e32 v[24:25], 0
	;; [unrolled: 1-line block ×3, first 2 shown]
	v_subrev_nc_u32_e32 v0, s12, v0
	v_mov_b64_e32 v[22:23], 0
	v_mov_b64_e32 v[10:11], 0
	;; [unrolled: 1-line block ×4, first 2 shown]
	v_add_max_i32_e64 v0, v0, 4, v17
	v_mov_b64_e32 v[30:31], v[18:19]
	s_delay_alu instid0(VALU_DEP_2) | instskip(NEXT) | instid1(VALU_DEP_1)
	v_add3_u32 v0, s12, v0, v1
	v_sub_nc_u32_e32 v34, v0, v27
	v_mov_b64_e32 v[0:1], 0
	s_delay_alu instid0(VALU_DEP_2) | instskip(NEXT) | instid1(VALU_DEP_1)
	v_and_b32_e32 v33, 12, v34
	v_cmp_ne_u32_e32 vcc_lo, 12, v33
	v_mov_b32_e32 v33, v16
	s_and_saveexec_b32 s6, vcc_lo
	s_cbranch_execz .LBB15_17
; %bb.14:
	v_dual_mov_b32 v33, v16 :: v_dual_lshrrev_b32 v10, 2, v34
	v_mov_b64_e32 v[0:1], 0
	v_mov_b64_e32 v[28:29], 0
	;; [unrolled: 1-line block ×3, first 2 shown]
	s_delay_alu instid0(VALU_DEP_4)
	v_add_nc_u32_e32 v12, 1, v10
	v_mov_b64_e32 v[10:11], 0
	v_mov_b64_e32 v[22:23], 0
	;; [unrolled: 1-line block ×4, first 2 shown]
	v_and_b32_e32 v30, 3, v12
	v_mov_b64_e32 v[12:13], 0
	s_mov_b32 s7, 0
	s_delay_alu instid0(VALU_DEP_2)
	v_sub_nc_u32_e32 v35, 0, v30
	v_mov_b64_e32 v[30:31], v[18:19]
.LBB15_15:                              ; =>This Inner Loop Header: Depth=1
	global_load_b32 v68, v33, s[8:9] scale_offset
	s_clause 0x7
	global_load_b128 v[36:39], v[30:31], off offset:16
	global_load_b128 v[40:43], v[30:31], off
	global_load_b128 v[44:47], v[30:31], off offset:80
	global_load_b128 v[48:51], v[30:31], off offset:64
	;; [unrolled: 1-line block ×6, first 2 shown]
	v_add_co_u32 v35, s10, v35, 1
	s_or_b32 s7, s10, s7
	s_wait_xcnt 0x8
	v_add_nc_u32_e32 v33, 4, v33
	s_wait_loadcnt 0x8
	v_subrev_nc_u32_e32 v68, s12, v68
	s_delay_alu instid0(VALU_DEP_1)
	v_lshlrev_b32_e32 v116, 2, v68
	s_wait_kmcnt 0x0
	s_clause 0x1
	global_load_b128 v[68:71], v116, s[4:5] scale_offset
	global_load_b128 v[72:75], v116, s[4:5] offset:16 scale_offset
	s_clause 0x7
	global_load_b128 v[76:79], v[30:31], off offset:48
	global_load_b128 v[80:83], v[30:31], off offset:32
	;; [unrolled: 1-line block ×8, first 2 shown]
	s_clause 0x1
	global_load_b128 v[108:111], v116, s[4:5] offset:32 scale_offset
	global_load_b128 v[112:115], v116, s[4:5] offset:48 scale_offset
	s_wait_xcnt 0x2
	v_add_nc_u64_e32 v[30:31], 0x400, v[30:31]
	s_wait_loadcnt 0xb
	v_fmac_f64_e32 v[28:29], v[40:41], v[68:69]
	v_fmac_f64_e32 v[0:1], v[42:43], v[68:69]
	v_fmac_f64_e32 v[24:25], v[48:49], v[68:69]
	v_fmac_f64_e32 v[12:13], v[50:51], v[68:69]
	v_fmac_f64_e32 v[22:23], v[56:57], v[68:69]
	v_fmac_f64_e32 v[14:15], v[58:59], v[68:69]
	v_fmac_f64_e32 v[20:21], v[64:65], v[68:69]
	v_fmac_f64_e32 v[10:11], v[66:67], v[68:69]
	v_fma_f64 v[28:29], -v[42:43], v[70:71], v[28:29]
	v_fmac_f64_e32 v[0:1], v[40:41], v[70:71]
	v_fma_f64 v[24:25], -v[50:51], v[70:71], v[24:25]
	v_fmac_f64_e32 v[12:13], v[48:49], v[70:71]
	v_fma_f64 v[22:23], -v[58:59], v[70:71], v[22:23]
	v_fmac_f64_e32 v[14:15], v[56:57], v[70:71]
	v_fma_f64 v[20:21], -v[66:67], v[70:71], v[20:21]
	v_fmac_f64_e32 v[10:11], v[64:65], v[70:71]
	s_wait_loadcnt 0xa
	v_fmac_f64_e32 v[28:29], v[36:37], v[72:73]
	v_fmac_f64_e32 v[0:1], v[38:39], v[72:73]
	v_fmac_f64_e32 v[24:25], v[44:45], v[72:73]
	v_fmac_f64_e32 v[12:13], v[46:47], v[72:73]
	v_fmac_f64_e32 v[22:23], v[52:53], v[72:73]
	v_fmac_f64_e32 v[14:15], v[54:55], v[72:73]
	v_fmac_f64_e32 v[20:21], v[60:61], v[72:73]
	v_fmac_f64_e32 v[10:11], v[62:63], v[72:73]
	v_fma_f64 v[28:29], -v[38:39], v[74:75], v[28:29]
	v_fmac_f64_e32 v[0:1], v[36:37], v[74:75]
	v_fma_f64 v[24:25], -v[46:47], v[74:75], v[24:25]
	v_fmac_f64_e32 v[12:13], v[44:45], v[74:75]
	v_fma_f64 v[22:23], -v[54:55], v[74:75], v[22:23]
	v_fmac_f64_e32 v[14:15], v[52:53], v[74:75]
	v_fma_f64 v[20:21], -v[62:63], v[74:75], v[20:21]
	v_fmac_f64_e32 v[10:11], v[60:61], v[74:75]
	;; [unrolled: 17-line block ×4, first 2 shown]
	s_and_not1_b32 exec_lo, exec_lo, s7
	s_cbranch_execnz .LBB15_15
; %bb.16:
	s_or_b32 exec_lo, exec_lo, s7
.LBB15_17:
	s_delay_alu instid0(SALU_CYCLE_1) | instskip(NEXT) | instid1(SALU_CYCLE_1)
	s_or_b32 exec_lo, exec_lo, s6
	s_mov_b32 s6, exec_lo
	v_cmpx_lt_u32_e32 11, v34
	s_cbranch_execz .LBB15_21
; %bb.18:
	s_mov_b32 s7, 0
.LBB15_19:                              ; =>This Inner Loop Header: Depth=1
	global_load_b32 v142, v33, s[8:9] scale_offset
	s_clause 0x13
	global_load_b128 v[34:37], v[30:31], off offset:48
	global_load_b128 v[38:41], v[30:31], off offset:32
	;; [unrolled: 1-line block ×3, first 2 shown]
	global_load_b128 v[46:49], v[30:31], off
	global_load_b128 v[50:53], v[30:31], off offset:112
	global_load_b128 v[54:57], v[30:31], off offset:96
	global_load_b128 v[58:61], v[30:31], off offset:80
	global_load_b128 v[62:65], v[30:31], off offset:64
	global_load_b128 v[66:69], v[30:31], off offset:176
	global_load_b128 v[70:73], v[30:31], off offset:160
	global_load_b128 v[74:77], v[30:31], off offset:144
	global_load_b128 v[78:81], v[30:31], off offset:128
	global_load_b128 v[82:85], v[30:31], off offset:240
	global_load_b128 v[86:89], v[30:31], off offset:224
	global_load_b128 v[90:93], v[30:31], off offset:208
	global_load_b128 v[94:97], v[30:31], off offset:192
	global_load_b128 v[98:101], v[30:31], off offset:1072
	global_load_b128 v[102:105], v[30:31], off offset:1056
	global_load_b128 v[106:109], v[30:31], off offset:1040
	global_load_b128 v[110:113], v[30:31], off offset:1024
	s_clause 0x2
	global_load_b32 v154, v33, s[8:9] offset:16 scale_offset
	global_load_b32 v155, v33, s[8:9] offset:32 scale_offset
	;; [unrolled: 1-line block ×3, first 2 shown]
	s_clause 0x6
	global_load_b128 v[114:117], v[30:31], off offset:1136
	global_load_b128 v[118:121], v[30:31], off offset:1120
	;; [unrolled: 1-line block ×7, first 2 shown]
	s_wait_xcnt 0x7
	v_add_nc_u32_e32 v33, 16, v33
	s_delay_alu instid0(VALU_DEP_1) | instskip(SKIP_3) | instid1(VALU_DEP_1)
	v_cmp_ge_i32_e32 vcc_lo, v33, v17
	s_or_b32 s7, vcc_lo, s7
	s_wait_loadcnt 0x1e
	v_subrev_nc_u32_e32 v142, s12, v142
	v_lshlrev_b32_e32 v157, 2, v142
	s_wait_kmcnt 0x0
	s_clause 0x1
	global_load_b128 v[142:145], v157, s[4:5] scale_offset
	global_load_b128 v[146:149], v157, s[4:5] offset:16 scale_offset
	s_wait_loadcnt 0x1
	v_fmac_f64_e32 v[28:29], v[46:47], v[142:143]
	v_fmac_f64_e32 v[0:1], v[48:49], v[142:143]
	;; [unrolled: 1-line block ×8, first 2 shown]
	v_fma_f64 v[28:29], -v[48:49], v[144:145], v[28:29]
	v_fmac_f64_e32 v[0:1], v[46:47], v[144:145]
	v_fma_f64 v[150:151], -v[64:65], v[144:145], v[24:25]
	v_fmac_f64_e32 v[12:13], v[62:63], v[144:145]
	;; [unrolled: 2-line block ×4, first 2 shown]
	s_clause 0x4
	global_load_b128 v[46:49], v[30:31], off offset:1152
	global_load_b128 v[22:25], v[30:31], off offset:1248
	;; [unrolled: 1-line block ×5, first 2 shown]
	s_wait_loadcnt 0x5
	v_fmac_f64_e32 v[28:29], v[42:43], v[146:147]
	v_fmac_f64_e32 v[0:1], v[44:45], v[146:147]
	;; [unrolled: 1-line block ×8, first 2 shown]
	v_fma_f64 v[28:29], -v[44:45], v[148:149], v[28:29]
	v_fmac_f64_e32 v[0:1], v[42:43], v[148:149]
	global_load_b128 v[42:45], v[30:31], off offset:2096
	v_fma_f64 v[150:151], -v[60:61], v[148:149], v[150:151]
	v_fmac_f64_e32 v[12:13], v[58:59], v[148:149]
	global_load_b128 v[58:61], v[30:31], off offset:2080
	;; [unrolled: 3-line block ×3, first 2 shown]
	v_fma_f64 v[20:21], -v[92:93], v[148:149], v[20:21]
	v_fmac_f64_e32 v[10:11], v[90:91], v[148:149]
	s_clause 0x1
	global_load_b128 v[90:93], v157, s[4:5] offset:32 scale_offset
	global_load_b128 v[142:145], v157, s[4:5] offset:48 scale_offset
	s_wait_loadcnt 0x1
	v_fmac_f64_e32 v[28:29], v[38:39], v[90:91]
	v_fmac_f64_e32 v[0:1], v[40:41], v[90:91]
	;; [unrolled: 1-line block ×8, first 2 shown]
	v_fma_f64 v[28:29], -v[40:41], v[92:93], v[28:29]
	v_fmac_f64_e32 v[0:1], v[38:39], v[92:93]
	v_fma_f64 v[146:147], -v[56:57], v[92:93], v[150:151]
	v_fmac_f64_e32 v[12:13], v[54:55], v[92:93]
	;; [unrolled: 2-line block ×4, first 2 shown]
	v_subrev_nc_u32_e32 v150, s12, v154
	s_clause 0x4
	global_load_b128 v[38:41], v[30:31], off offset:2048
	global_load_b128 v[70:73], v[30:31], off offset:2144
	;; [unrolled: 1-line block ×5, first 2 shown]
	v_lshlrev_b32_e32 v150, 2, v150
	s_wait_loadcnt 0x5
	v_fmac_f64_e32 v[28:29], v[34:35], v[142:143]
	v_fmac_f64_e32 v[0:1], v[36:37], v[142:143]
	;; [unrolled: 1-line block ×8, first 2 shown]
	v_fma_f64 v[28:29], -v[36:37], v[144:145], v[28:29]
	v_fmac_f64_e32 v[0:1], v[34:35], v[144:145]
	global_load_b128 v[34:37], v[30:31], off offset:2224
	v_fma_f64 v[146:147], -v[52:53], v[144:145], v[146:147]
	v_fmac_f64_e32 v[12:13], v[50:51], v[144:145]
	global_load_b128 v[50:53], v[30:31], off offset:2208
	;; [unrolled: 3-line block ×3, first 2 shown]
	v_fma_f64 v[20:21], -v[84:85], v[144:145], v[20:21]
	v_fmac_f64_e32 v[10:11], v[82:83], v[144:145]
	s_clause 0x1
	global_load_b128 v[82:85], v150, s[4:5] scale_offset
	global_load_b128 v[142:145], v150, s[4:5] offset:16 scale_offset
	s_wait_loadcnt 0x1
	v_fmac_f64_e32 v[28:29], v[110:111], v[82:83]
	v_fmac_f64_e32 v[0:1], v[112:113], v[82:83]
	;; [unrolled: 1-line block ×8, first 2 shown]
	v_fma_f64 v[28:29], -v[112:113], v[84:85], v[28:29]
	v_fmac_f64_e32 v[0:1], v[110:111], v[84:85]
	v_fma_f64 v[146:147], -v[128:129], v[84:85], v[146:147]
	v_fmac_f64_e32 v[12:13], v[126:127], v[84:85]
	v_fma_f64 v[148:149], -v[48:49], v[84:85], v[148:149]
	v_fmac_f64_e32 v[14:15], v[46:47], v[84:85]
	v_fma_f64 v[20:21], -v[96:97], v[84:85], v[20:21]
	v_fmac_f64_e32 v[10:11], v[94:95], v[84:85]
	s_clause 0x4
	global_load_b128 v[110:113], v[30:31], off offset:2176
	global_load_b128 v[46:49], v[30:31], off offset:2272
	global_load_b128 v[126:129], v[30:31], off offset:2288
	global_load_b128 v[82:85], v[30:31], off offset:2256
	global_load_b128 v[94:97], v[30:31], off offset:2240
	s_wait_loadcnt 0x5
	v_fmac_f64_e32 v[28:29], v[106:107], v[142:143]
	v_fmac_f64_e32 v[0:1], v[108:109], v[142:143]
	;; [unrolled: 1-line block ×8, first 2 shown]
	v_fma_f64 v[28:29], -v[108:109], v[144:145], v[28:29]
	v_fmac_f64_e32 v[0:1], v[106:107], v[144:145]
	global_load_b128 v[106:109], v[30:31], off offset:3120
	v_fma_f64 v[146:147], -v[124:125], v[144:145], v[146:147]
	v_fmac_f64_e32 v[12:13], v[122:123], v[144:145]
	global_load_b128 v[122:125], v[30:31], off offset:3104
	;; [unrolled: 3-line block ×3, first 2 shown]
	v_fma_f64 v[20:21], -v[80:81], v[144:145], v[20:21]
	v_fmac_f64_e32 v[10:11], v[78:79], v[144:145]
	s_clause 0x1
	global_load_b128 v[78:81], v150, s[4:5] offset:32 scale_offset
	global_load_b128 v[142:145], v150, s[4:5] offset:48 scale_offset
	s_wait_xcnt 0x0
	v_subrev_nc_u32_e32 v150, s12, v155
	s_delay_alu instid0(VALU_DEP_1)
	v_lshlrev_b32_e32 v150, 2, v150
	s_wait_loadcnt 0x1
	v_fmac_f64_e32 v[28:29], v[102:103], v[78:79]
	v_fmac_f64_e32 v[0:1], v[104:105], v[78:79]
	;; [unrolled: 1-line block ×8, first 2 shown]
	v_fma_f64 v[28:29], -v[104:105], v[80:81], v[28:29]
	v_fmac_f64_e32 v[0:1], v[102:103], v[80:81]
	global_load_b128 v[102:105], v[30:31], off offset:3072
	v_fma_f64 v[146:147], -v[120:121], v[80:81], v[146:147]
	v_fmac_f64_e32 v[12:13], v[118:119], v[80:81]
	global_load_b128 v[118:121], v[30:31], off offset:3184
	;; [unrolled: 3-line block ×3, first 2 shown]
	v_fma_f64 v[24:25], -v[24:25], v[80:81], v[20:21]
	v_fmac_f64_e32 v[10:11], v[22:23], v[80:81]
	s_clause 0x1
	global_load_b128 v[20:23], v[30:31], off offset:3152
	global_load_b128 v[78:81], v[30:31], off offset:3136
	s_wait_loadcnt 0x5
	v_fmac_f64_e32 v[28:29], v[98:99], v[142:143]
	v_fmac_f64_e32 v[0:1], v[100:101], v[142:143]
	;; [unrolled: 1-line block ×8, first 2 shown]
	v_fma_f64 v[28:29], -v[100:101], v[144:145], v[28:29]
	v_fmac_f64_e32 v[0:1], v[98:99], v[144:145]
	global_load_b128 v[98:101], v150, s[4:5] scale_offset
	v_fma_f64 v[146:147], -v[116:117], v[144:145], v[146:147]
	v_fmac_f64_e32 v[12:13], v[114:115], v[144:145]
	global_load_b128 v[114:117], v150, s[4:5] offset:16 scale_offset
	v_fma_f64 v[148:149], -v[132:133], v[144:145], v[148:149]
	v_fmac_f64_e32 v[14:15], v[130:131], v[144:145]
	global_load_b128 v[130:133], v[30:31], off offset:3216
	v_fma_f64 v[24:25], -v[64:65], v[144:145], v[24:25]
	v_fmac_f64_e32 v[10:11], v[62:63], v[144:145]
	global_load_b128 v[62:65], v[30:31], off offset:3200
	global_load_b128 v[142:145], v150, s[4:5] offset:32 scale_offset
	s_wait_loadcnt 0x4
	v_fmac_f64_e32 v[28:29], v[38:39], v[98:99]
	v_fmac_f64_e32 v[0:1], v[40:41], v[98:99]
	v_fmac_f64_e32 v[146:147], v[90:91], v[98:99]
	v_fmac_f64_e32 v[12:13], v[92:93], v[98:99]
	v_fmac_f64_e32 v[148:149], v[110:111], v[98:99]
	v_fmac_f64_e32 v[14:15], v[112:113], v[98:99]
	v_fmac_f64_e32 v[24:25], v[94:95], v[98:99]
	v_fmac_f64_e32 v[10:11], v[96:97], v[98:99]
	v_fma_f64 v[28:29], -v[40:41], v[100:101], v[28:29]
	v_fmac_f64_e32 v[0:1], v[38:39], v[100:101]
	global_load_b128 v[38:41], v150, s[4:5] offset:48 scale_offset
	s_wait_xcnt 0x0
	v_subrev_nc_u32_e32 v150, s12, v156
	v_fma_f64 v[146:147], -v[92:93], v[100:101], v[146:147]
	v_fmac_f64_e32 v[12:13], v[90:91], v[100:101]
	global_load_b128 v[90:93], v[30:31], off offset:3264
	v_dual_fma_f64 v[148:149], -v[112:113], v[100:101], v[148:149] :: v_dual_lshlrev_b32 v154, 2, v150
	v_fmac_f64_e32 v[14:15], v[110:111], v[100:101]
	v_fma_f64 v[24:25], -v[96:97], v[100:101], v[24:25]
	v_fmac_f64_e32 v[10:11], v[94:95], v[100:101]
	global_load_b128 v[110:113], v154, s[4:5] scale_offset
	s_clause 0x1
	global_load_b128 v[94:97], v[30:31], off offset:3280
	global_load_b128 v[98:101], v[30:31], off offset:3232
	s_wait_loadcnt 0x8
	v_fmac_f64_e32 v[28:29], v[74:75], v[114:115]
	v_fmac_f64_e32 v[0:1], v[76:77], v[114:115]
	;; [unrolled: 1-line block ×8, first 2 shown]
	v_fma_f64 v[28:29], -v[76:77], v[116:117], v[28:29]
	v_fmac_f64_e32 v[0:1], v[74:75], v[116:117]
	global_load_b128 v[74:77], v154, s[4:5] offset:16 scale_offset
	v_fma_f64 v[150:151], -v[88:89], v[116:117], v[146:147]
	v_fmac_f64_e32 v[12:13], v[86:87], v[116:117]
	global_load_b128 v[86:89], v[30:31], off offset:3296
	v_fma_f64 v[152:153], -v[68:69], v[116:117], v[148:149]
	v_fmac_f64_e32 v[14:15], v[66:67], v[116:117]
	global_load_b128 v[66:69], v154, s[4:5] offset:32 scale_offset
	v_fma_f64 v[24:25], -v[84:85], v[116:117], v[24:25]
	v_fmac_f64_e32 v[10:11], v[82:83], v[116:117]
	s_clause 0x1
	global_load_b128 v[82:85], v[30:31], off offset:3248
	global_load_b128 v[114:117], v[30:31], off offset:3312
	global_load_b128 v[146:149], v154, s[4:5] offset:48 scale_offset
	s_wait_xcnt 0x1
	v_add_nc_u64_e32 v[30:31], 0x1000, v[30:31]
	s_wait_loadcnt 0xb
	v_fmac_f64_e32 v[28:29], v[58:59], v[142:143]
	v_fmac_f64_e32 v[0:1], v[60:61], v[142:143]
	v_fmac_f64_e32 v[150:151], v[70:71], v[142:143]
	v_fmac_f64_e32 v[12:13], v[72:73], v[142:143]
	v_fmac_f64_e32 v[152:153], v[50:51], v[142:143]
	v_fmac_f64_e32 v[14:15], v[52:53], v[142:143]
	v_fmac_f64_e32 v[24:25], v[46:47], v[142:143]
	v_fmac_f64_e32 v[10:11], v[48:49], v[142:143]
	v_fma_f64 v[28:29], -v[60:61], v[144:145], v[28:29]
	v_fmac_f64_e32 v[0:1], v[58:59], v[144:145]
	v_fma_f64 v[58:59], -v[72:73], v[144:145], v[150:151]
	v_fmac_f64_e32 v[12:13], v[70:71], v[144:145]
	v_fma_f64 v[52:53], -v[52:53], v[144:145], v[152:153]
	v_fmac_f64_e32 v[14:15], v[50:51], v[144:145]
	v_fma_f64 v[24:25], -v[48:49], v[144:145], v[24:25]
	v_fmac_f64_e32 v[10:11], v[46:47], v[144:145]
	s_wait_loadcnt 0xa
	v_fmac_f64_e32 v[28:29], v[42:43], v[38:39]
	v_fmac_f64_e32 v[0:1], v[44:45], v[38:39]
	v_fmac_f64_e32 v[58:59], v[54:55], v[38:39]
	v_fmac_f64_e32 v[12:13], v[56:57], v[38:39]
	v_fmac_f64_e32 v[52:53], v[34:35], v[38:39]
	v_fmac_f64_e32 v[14:15], v[36:37], v[38:39]
	v_fmac_f64_e32 v[24:25], v[126:127], v[38:39]
	v_fmac_f64_e32 v[10:11], v[128:129], v[38:39]
	v_fma_f64 v[28:29], -v[44:45], v[40:41], v[28:29]
	v_fmac_f64_e32 v[0:1], v[42:43], v[40:41]
	v_fma_f64 v[38:39], -v[56:57], v[40:41], v[58:59]
	v_fmac_f64_e32 v[12:13], v[54:55], v[40:41]
	v_fma_f64 v[36:37], -v[36:37], v[40:41], v[52:53]
	v_fmac_f64_e32 v[14:15], v[34:35], v[40:41]
	v_fma_f64 v[24:25], -v[128:129], v[40:41], v[24:25]
	v_fmac_f64_e32 v[10:11], v[126:127], v[40:41]
	;; [unrolled: 17-line block ×6, first 2 shown]
	s_and_not1_b32 exec_lo, exec_lo, s7
	s_cbranch_execnz .LBB15_19
; %bb.20:
	s_or_b32 exec_lo, exec_lo, s7
.LBB15_21:
	s_delay_alu instid0(SALU_CYCLE_1)
	s_or_b32 exec_lo, exec_lo, s6
.LBB15_22:
	s_delay_alu instid0(SALU_CYCLE_1)
	s_or_b32 exec_lo, exec_lo, s3
	s_cbranch_execz .LBB15_24
	s_branch .LBB15_35
.LBB15_23:
                                        ; implicit-def: $vgpr0_vgpr1
                                        ; implicit-def: $vgpr28_vgpr29
                                        ; implicit-def: $vgpr20_vgpr21
                                        ; implicit-def: $vgpr10_vgpr11
                                        ; implicit-def: $vgpr22_vgpr23
                                        ; implicit-def: $vgpr14_vgpr15
                                        ; implicit-def: $vgpr24_vgpr25
                                        ; implicit-def: $vgpr12_vgpr13
.LBB15_24:
	v_mov_b64_e32 v[0:1], 0
	v_mov_b64_e32 v[28:29], 0
	;; [unrolled: 1-line block ×8, first 2 shown]
	s_and_saveexec_b32 s3, s2
	s_cbranch_execz .LBB15_34
; %bb.25:
	v_add_nc_u32_e32 v0, v32, v27
	v_not_b32_e32 v1, v32
	v_mov_b64_e32 v[12:13], 0
	v_mov_b64_e32 v[24:25], 0
	v_mov_b64_e32 v[14:15], 0
	v_subrev_nc_u32_e32 v0, s12, v0
	v_mov_b64_e32 v[22:23], 0
	v_mov_b64_e32 v[10:11], 0
	;; [unrolled: 1-line block ×4, first 2 shown]
	v_add_max_i32_e64 v0, v0, 4, v17
	s_mov_b32 s2, exec_lo
	s_delay_alu instid0(VALU_DEP_1) | instskip(NEXT) | instid1(VALU_DEP_1)
	v_add3_u32 v0, s12, v0, v1
	v_sub_nc_u32_e32 v30, v0, v27
	v_mov_b64_e32 v[0:1], 0
	s_delay_alu instid0(VALU_DEP_2) | instskip(NEXT) | instid1(VALU_DEP_1)
	v_and_b32_e32 v31, 12, v30
	v_cmpx_ne_u32_e32 12, v31
	s_cbranch_execz .LBB15_29
; %bb.26:
	v_lshrrev_b32_e32 v0, 2, v30
	v_mov_b64_e32 v[28:29], 0
	v_mov_b64_e32 v[20:21], 0
	;; [unrolled: 1-line block ×4, first 2 shown]
	v_add_nc_u32_e32 v12, 1, v0
	v_mov_b64_e32 v[0:1], 0
	v_mov_b64_e32 v[14:15], 0
	;; [unrolled: 1-line block ×3, first 2 shown]
	s_mov_b32 s6, 0
	v_and_b32_e32 v31, 3, v12
	v_mov_b64_e32 v[12:13], 0
	s_delay_alu instid0(VALU_DEP_2)
	v_sub_nc_u32_e32 v31, 0, v31
.LBB15_27:                              ; =>This Inner Loop Header: Depth=1
	global_load_b32 v48, v16, s[8:9] scale_offset
	s_clause 0x3
	global_load_b128 v[32:35], v[18:19], off offset:48
	global_load_b128 v[36:39], v[18:19], off offset:32
	;; [unrolled: 1-line block ×3, first 2 shown]
	global_load_b128 v[44:47], v[18:19], off
	v_add_co_u32 v31, s7, v31, 1
	s_or_b32 s6, s7, s6
	s_wait_xcnt 0x4
	v_add_nc_u32_e32 v16, 4, v16
	s_wait_loadcnt 0x4
	v_subrev_nc_u32_e32 v48, s12, v48
	s_delay_alu instid0(VALU_DEP_1)
	v_lshlrev_b32_e32 v108, 2, v48
	s_wait_kmcnt 0x0
	global_load_b128 v[48:51], v108, s[4:5] scale_offset
	s_clause 0x3
	global_load_b128 v[52:55], v[18:19], off offset:112
	global_load_b128 v[56:59], v[18:19], off offset:96
	;; [unrolled: 1-line block ×4, first 2 shown]
	global_load_b128 v[68:71], v108, s[4:5] offset:16 scale_offset
	s_clause 0x3
	global_load_b128 v[72:75], v[18:19], off offset:176
	global_load_b128 v[76:79], v[18:19], off offset:160
	;; [unrolled: 1-line block ×4, first 2 shown]
	s_clause 0x1
	global_load_b128 v[88:91], v108, s[4:5] offset:32 scale_offset
	global_load_b128 v[92:95], v108, s[4:5] offset:48 scale_offset
	s_clause 0x3
	global_load_b128 v[96:99], v[18:19], off offset:192
	global_load_b128 v[100:103], v[18:19], off offset:208
	;; [unrolled: 1-line block ×3, first 2 shown]
	; meta instruction
	global_load_b128 v[108:111], v[18:19], off offset:240
	s_wait_xcnt 0x0
	v_add_nc_u64_e32 v[18:19], 0x400, v[18:19]
	s_wait_loadcnt 0xf
	v_fmac_f64_e32 v[28:29], v[44:45], v[48:49]
	v_fmac_f64_e32 v[0:1], v[46:47], v[48:49]
	v_fmac_f64_e32 v[24:25], v[40:41], v[48:49]
	v_fmac_f64_e32 v[12:13], v[42:43], v[48:49]
	v_fmac_f64_e32 v[22:23], v[36:37], v[48:49]
	v_fmac_f64_e32 v[14:15], v[38:39], v[48:49]
	v_fmac_f64_e32 v[20:21], v[32:33], v[48:49]
	v_fmac_f64_e32 v[10:11], v[34:35], v[48:49]
	v_fma_f64 v[28:29], -v[46:47], v[50:51], v[28:29]
	v_fmac_f64_e32 v[0:1], v[44:45], v[50:51]
	v_fma_f64 v[24:25], -v[42:43], v[50:51], v[24:25]
	v_fmac_f64_e32 v[12:13], v[40:41], v[50:51]
	v_fma_f64 v[22:23], -v[38:39], v[50:51], v[22:23]
	v_fmac_f64_e32 v[14:15], v[36:37], v[50:51]
	v_fma_f64 v[20:21], -v[34:35], v[50:51], v[20:21]
	v_fmac_f64_e32 v[10:11], v[32:33], v[50:51]
	s_wait_loadcnt 0xa
	v_fmac_f64_e32 v[28:29], v[64:65], v[68:69]
	v_fmac_f64_e32 v[0:1], v[66:67], v[68:69]
	v_fmac_f64_e32 v[24:25], v[60:61], v[68:69]
	v_fmac_f64_e32 v[12:13], v[62:63], v[68:69]
	v_fmac_f64_e32 v[22:23], v[56:57], v[68:69]
	v_fmac_f64_e32 v[14:15], v[58:59], v[68:69]
	v_fmac_f64_e32 v[20:21], v[52:53], v[68:69]
	v_fmac_f64_e32 v[10:11], v[54:55], v[68:69]
	v_fma_f64 v[28:29], -v[66:67], v[70:71], v[28:29]
	v_fmac_f64_e32 v[0:1], v[64:65], v[70:71]
	v_fma_f64 v[24:25], -v[62:63], v[70:71], v[24:25]
	v_fmac_f64_e32 v[12:13], v[60:61], v[70:71]
	v_fma_f64 v[22:23], -v[58:59], v[70:71], v[22:23]
	v_fmac_f64_e32 v[14:15], v[56:57], v[70:71]
	v_fma_f64 v[20:21], -v[54:55], v[70:71], v[20:21]
	v_fmac_f64_e32 v[10:11], v[52:53], v[70:71]
	;; [unrolled: 17-line block ×3, first 2 shown]
	s_wait_loadcnt 0x3
	v_fmac_f64_e32 v[28:29], v[96:97], v[92:93]
	v_fmac_f64_e32 v[0:1], v[98:99], v[92:93]
	s_wait_loadcnt 0x2
	v_fmac_f64_e32 v[24:25], v[100:101], v[92:93]
	v_fmac_f64_e32 v[12:13], v[102:103], v[92:93]
	;; [unrolled: 3-line block ×4, first 2 shown]
	v_fma_f64 v[28:29], -v[98:99], v[94:95], v[28:29]
	v_fmac_f64_e32 v[0:1], v[96:97], v[94:95]
	v_fma_f64 v[24:25], -v[102:103], v[94:95], v[24:25]
	v_fmac_f64_e32 v[12:13], v[100:101], v[94:95]
	;; [unrolled: 2-line block ×4, first 2 shown]
	s_and_not1_b32 exec_lo, exec_lo, s6
	s_cbranch_execnz .LBB15_27
; %bb.28:
	s_or_b32 exec_lo, exec_lo, s6
.LBB15_29:
	s_delay_alu instid0(SALU_CYCLE_1) | instskip(NEXT) | instid1(SALU_CYCLE_1)
	s_or_b32 exec_lo, exec_lo, s2
	s_mov_b32 s2, exec_lo
	v_cmpx_lt_u32_e32 11, v30
	s_cbranch_execz .LBB15_33
; %bb.30:
	s_mov_b32 s6, 0
.LBB15_31:                              ; =>This Inner Loop Header: Depth=1
	global_load_b32 v118, v16, s[8:9] scale_offset
	s_clause 0xd
	global_load_b128 v[30:33], v[18:19], off offset:48
	global_load_b128 v[34:37], v[18:19], off offset:32
	;; [unrolled: 1-line block ×3, first 2 shown]
	global_load_b128 v[42:45], v[18:19], off
	global_load_b128 v[46:49], v[18:19], off offset:112
	global_load_b128 v[50:53], v[18:19], off offset:96
	;; [unrolled: 1-line block ×10, first 2 shown]
	s_clause 0x2
	global_load_b32 v130, v16, s[8:9] offset:16 scale_offset
	global_load_b32 v132, v16, s[8:9] offset:32 scale_offset
	;; [unrolled: 1-line block ×3, first 2 shown]
	s_clause 0x7
	global_load_b128 v[86:89], v[18:19], off offset:208
	global_load_b128 v[90:93], v[18:19], off offset:192
	;; [unrolled: 1-line block ×8, first 2 shown]
	s_wait_xcnt 0x8
	v_add_nc_u32_e32 v16, 16, v16
	s_delay_alu instid0(VALU_DEP_1) | instskip(SKIP_3) | instid1(VALU_DEP_1)
	v_cmp_ge_i32_e32 vcc_lo, v16, v17
	s_or_b32 s6, vcc_lo, s6
	s_wait_loadcnt 0x19
	v_subrev_nc_u32_e32 v118, s12, v118
	v_lshlrev_b32_e32 v131, 2, v118
	s_wait_kmcnt 0x0
	s_clause 0x1
	global_load_b128 v[118:121], v131, s[4:5] scale_offset
	global_load_b128 v[122:125], v131, s[4:5] offset:16 scale_offset
	s_wait_loadcnt 0xc
	v_subrev_nc_u32_e32 v130, s12, v130
	s_delay_alu instid0(VALU_DEP_1)
	v_lshlrev_b32_e32 v134, 2, v130
	s_wait_loadcnt 0x1
	v_fmac_f64_e32 v[28:29], v[42:43], v[118:119]
	v_fmac_f64_e32 v[0:1], v[44:45], v[118:119]
	;; [unrolled: 1-line block ×8, first 2 shown]
	v_fma_f64 v[126:127], -v[44:45], v[120:121], v[28:29]
	v_fmac_f64_e32 v[0:1], v[42:43], v[120:121]
	v_fma_f64 v[128:129], -v[40:41], v[120:121], v[24:25]
	v_fmac_f64_e32 v[12:13], v[38:39], v[120:121]
	;; [unrolled: 2-line block ×4, first 2 shown]
	s_clause 0x4
	global_load_b128 v[42:45], v[18:19], off offset:1104
	global_load_b128 v[38:41], v[18:19], off offset:1088
	global_load_b128 v[22:25], v[18:19], off offset:1200
	global_load_b128 v[28:31], v[18:19], off offset:1184
	global_load_b128 v[32:35], v[18:19], off offset:1168
	s_wait_loadcnt 0x5
	v_fmac_f64_e32 v[126:127], v[58:59], v[122:123]
	v_fmac_f64_e32 v[0:1], v[60:61], v[122:123]
	;; [unrolled: 1-line block ×8, first 2 shown]
	v_fma_f64 v[126:127], -v[60:61], v[124:125], v[126:127]
	v_fmac_f64_e32 v[0:1], v[58:59], v[124:125]
	global_load_b128 v[58:61], v[18:19], off offset:1152
	v_fma_f64 v[128:129], -v[56:57], v[124:125], v[128:129]
	v_fmac_f64_e32 v[12:13], v[54:55], v[124:125]
	global_load_b128 v[54:57], v[18:19], off offset:1264
	;; [unrolled: 3-line block ×4, first 2 shown]
	s_clause 0x1
	global_load_b128 v[118:121], v131, s[4:5] offset:32 scale_offset
	global_load_b128 v[122:125], v131, s[4:5] offset:48 scale_offset
	s_wait_loadcnt 0x1
	v_fmac_f64_e32 v[126:127], v[74:75], v[118:119]
	v_fmac_f64_e32 v[0:1], v[76:77], v[118:119]
	;; [unrolled: 1-line block ×8, first 2 shown]
	v_fma_f64 v[126:127], -v[76:77], v[120:121], v[126:127]
	v_fmac_f64_e32 v[0:1], v[74:75], v[120:121]
	v_fma_f64 v[128:129], -v[72:73], v[120:121], v[128:129]
	v_fmac_f64_e32 v[12:13], v[70:71], v[120:121]
	;; [unrolled: 2-line block ×4, first 2 shown]
	s_clause 0x4
	global_load_b128 v[74:77], v[18:19], off offset:1216
	global_load_b128 v[66:69], v[18:19], off offset:2080
	;; [unrolled: 1-line block ×5, first 2 shown]
	s_wait_loadcnt 0x5
	v_fmac_f64_e32 v[126:127], v[90:91], v[122:123]
	v_fmac_f64_e32 v[0:1], v[92:93], v[122:123]
	;; [unrolled: 1-line block ×8, first 2 shown]
	v_fma_f64 v[126:127], -v[92:93], v[124:125], v[126:127]
	v_fmac_f64_e32 v[0:1], v[90:91], v[124:125]
	global_load_b128 v[90:93], v[18:19], off offset:2160
	v_fma_f64 v[128:129], -v[88:89], v[124:125], v[128:129]
	v_fmac_f64_e32 v[12:13], v[86:87], v[124:125]
	global_load_b128 v[86:89], v[18:19], off offset:2144
	;; [unrolled: 3-line block ×3, first 2 shown]
	v_fma_f64 v[20:21], -v[80:81], v[124:125], v[20:21]
	v_fmac_f64_e32 v[10:11], v[78:79], v[124:125]
	s_clause 0x1
	global_load_b128 v[78:81], v134, s[4:5] scale_offset
	global_load_b128 v[122:125], v134, s[4:5] offset:16 scale_offset
	s_wait_loadcnt 0x1
	v_fmac_f64_e32 v[126:127], v[106:107], v[78:79]
	v_fmac_f64_e32 v[0:1], v[108:109], v[78:79]
	;; [unrolled: 1-line block ×8, first 2 shown]
	v_fma_f64 v[126:127], -v[108:109], v[80:81], v[126:127]
	v_fmac_f64_e32 v[0:1], v[106:107], v[80:81]
	v_fma_f64 v[128:129], -v[104:105], v[80:81], v[128:129]
	v_fmac_f64_e32 v[12:13], v[102:103], v[80:81]
	;; [unrolled: 2-line block ×4, first 2 shown]
	s_clause 0x4
	global_load_b128 v[106:109], v[18:19], off offset:2112
	global_load_b128 v[98:101], v[18:19], off offset:2208
	;; [unrolled: 1-line block ×5, first 2 shown]
	s_wait_loadcnt 0x5
	v_fmac_f64_e32 v[126:127], v[38:39], v[122:123]
	v_fmac_f64_e32 v[0:1], v[40:41], v[122:123]
	;; [unrolled: 1-line block ×8, first 2 shown]
	v_fma_f64 v[126:127], -v[40:41], v[124:125], v[126:127]
	v_fmac_f64_e32 v[0:1], v[38:39], v[124:125]
	global_load_b128 v[36:39], v[18:19], off offset:2288
	v_fma_f64 v[44:45], -v[44:45], v[124:125], v[128:129]
	v_fmac_f64_e32 v[12:13], v[42:43], v[124:125]
	global_load_b128 v[40:43], v[18:19], off offset:2272
	;; [unrolled: 3-line block ×3, first 2 shown]
	v_fma_f64 v[20:21], -v[112:113], v[124:125], v[20:21]
	v_fmac_f64_e32 v[10:11], v[110:111], v[124:125]
	s_clause 0x1
	global_load_b128 v[110:113], v134, s[4:5] offset:32 scale_offset
	global_load_b128 v[122:125], v134, s[4:5] offset:48 scale_offset
	s_wait_loadcnt 0x1
	v_fmac_f64_e32 v[128:129], v[28:29], v[110:111]
	v_fmac_f64_e32 v[126:127], v[58:59], v[110:111]
	;; [unrolled: 1-line block ×8, first 2 shown]
	v_fma_f64 v[128:129], -v[30:31], v[112:113], v[128:129]
	v_fma_f64 v[126:127], -v[60:61], v[112:113], v[126:127]
	v_fmac_f64_e32 v[0:1], v[58:59], v[112:113]
	v_fma_f64 v[44:45], -v[34:35], v[112:113], v[44:45]
	v_fmac_f64_e32 v[12:13], v[32:33], v[112:113]
	v_fmac_f64_e32 v[14:15], v[28:29], v[112:113]
	v_fma_f64 v[24:25], -v[24:25], v[112:113], v[20:21]
	v_fmac_f64_e32 v[10:11], v[22:23], v[112:113]
	s_clause 0x4
	global_load_b128 v[58:61], v[18:19], off offset:2240
	global_load_b128 v[28:31], v[18:19], off offset:3104
	;; [unrolled: 1-line block ×5, first 2 shown]
	s_wait_loadcnt 0x5
	v_fmac_f64_e32 v[128:129], v[50:51], v[122:123]
	v_fmac_f64_e32 v[126:127], v[74:75], v[122:123]
	;; [unrolled: 1-line block ×8, first 2 shown]
	v_fma_f64 v[128:129], -v[52:53], v[124:125], v[128:129]
	v_subrev_nc_u32_e32 v52, s12, v132
	v_fma_f64 v[126:127], -v[76:77], v[124:125], v[126:127]
	v_fmac_f64_e32 v[0:1], v[74:75], v[124:125]
	global_load_b128 v[74:77], v[18:19], off offset:3184
	v_fma_f64 v[130:131], -v[48:49], v[124:125], v[44:45]
	v_lshlrev_b32_e32 v132, 2, v52
	v_fmac_f64_e32 v[12:13], v[46:47], v[124:125]
	global_load_b128 v[44:47], v[18:19], off offset:3168
	v_fmac_f64_e32 v[14:15], v[50:51], v[124:125]
	global_load_b128 v[48:51], v[18:19], off offset:3152
	v_fma_f64 v[24:25], -v[56:57], v[124:125], v[24:25]
	v_fmac_f64_e32 v[10:11], v[54:55], v[124:125]
	s_clause 0x1
	global_load_b128 v[52:55], v132, s[4:5] scale_offset
	global_load_b128 v[122:125], v132, s[4:5] offset:16 scale_offset
	s_wait_loadcnt 0x1
	v_fmac_f64_e32 v[126:127], v[118:119], v[52:53]
	v_fmac_f64_e32 v[128:129], v[66:67], v[52:53]
	;; [unrolled: 1-line block ×8, first 2 shown]
	v_fma_f64 v[56:57], -v[120:121], v[54:55], v[126:127]
	v_fma_f64 v[128:129], -v[68:69], v[54:55], v[128:129]
	v_fmac_f64_e32 v[14:15], v[66:67], v[54:55]
	global_load_b128 v[66:69], v132, s[4:5] offset:32 scale_offset
	v_fmac_f64_e32 v[0:1], v[118:119], v[54:55]
	global_load_b128 v[118:121], v[18:19], off offset:3136
	v_fma_f64 v[126:127], -v[64:65], v[54:55], v[130:131]
	v_fmac_f64_e32 v[12:13], v[62:63], v[54:55]
	global_load_b128 v[62:65], v[18:19], off offset:3248
	v_fma_f64 v[24:25], -v[72:73], v[54:55], v[24:25]
	v_fmac_f64_e32 v[10:11], v[70:71], v[54:55]
	global_load_b128 v[52:55], v[18:19], off offset:3232
	global_load_b128 v[70:73], v132, s[4:5] offset:48 scale_offset
	v_subrev_nc_u32_e32 v130, s12, v133
	s_delay_alu instid0(VALU_DEP_1)
	v_lshlrev_b32_e32 v130, 2, v130
	s_wait_loadcnt 0x5
	v_fmac_f64_e32 v[56:57], v[106:107], v[122:123]
	v_fmac_f64_e32 v[128:129], v[86:87], v[122:123]
	;; [unrolled: 1-line block ×8, first 2 shown]
	v_fma_f64 v[56:57], -v[108:109], v[124:125], v[56:57]
	v_fma_f64 v[128:129], -v[88:89], v[124:125], v[128:129]
	v_fmac_f64_e32 v[14:15], v[86:87], v[124:125]
	global_load_b128 v[86:89], v[18:19], off offset:3200
	v_fmac_f64_e32 v[0:1], v[106:107], v[124:125]
	global_load_b128 v[106:109], v[18:19], off offset:3216
	v_fma_f64 v[126:127], -v[84:85], v[124:125], v[126:127]
	v_fmac_f64_e32 v[12:13], v[82:83], v[124:125]
	global_load_b128 v[82:85], v130, s[4:5] scale_offset
	v_fma_f64 v[24:25], -v[92:93], v[124:125], v[24:25]
	v_fmac_f64_e32 v[10:11], v[90:91], v[124:125]
	global_load_b128 v[90:93], v[18:19], off offset:3280
	global_load_b128 v[122:125], v130, s[4:5] offset:16 scale_offset
	s_wait_loadcnt 0x9
	v_fmac_f64_e32 v[56:57], v[94:95], v[66:67]
	v_fmac_f64_e32 v[0:1], v[96:97], v[66:67]
	;; [unrolled: 1-line block ×8, first 2 shown]
	v_fma_f64 v[56:57], -v[96:97], v[68:69], v[56:57]
	v_fmac_f64_e32 v[0:1], v[94:95], v[68:69]
	global_load_b128 v[94:97], v130, s[4:5] offset:48 scale_offset
	v_fma_f64 v[126:127], -v[80:81], v[68:69], v[126:127]
	v_fmac_f64_e32 v[12:13], v[78:79], v[68:69]
	global_load_b128 v[78:81], v130, s[4:5] offset:32 scale_offset
	v_fma_f64 v[128:129], -v[100:101], v[68:69], v[128:129]
	v_fmac_f64_e32 v[14:15], v[98:99], v[68:69]
	global_load_b128 v[98:101], v[18:19], off offset:3264
	v_fma_f64 v[24:25], -v[104:105], v[68:69], v[24:25]
	v_fmac_f64_e32 v[10:11], v[102:103], v[68:69]
	s_clause 0x1
	global_load_b128 v[66:69], v[18:19], off offset:3296
	global_load_b128 v[102:105], v[18:19], off offset:3312
	s_wait_xcnt 0x0
	v_add_nc_u64_e32 v[18:19], 0x1000, v[18:19]
	s_wait_loadcnt 0xa
	v_fmac_f64_e32 v[56:57], v[58:59], v[70:71]
	v_fmac_f64_e32 v[0:1], v[60:61], v[70:71]
	v_fmac_f64_e32 v[126:127], v[114:115], v[70:71]
	v_fmac_f64_e32 v[12:13], v[116:117], v[70:71]
	v_fmac_f64_e32 v[128:129], v[40:41], v[70:71]
	v_fmac_f64_e32 v[14:15], v[42:43], v[70:71]
	v_fmac_f64_e32 v[24:25], v[36:37], v[70:71]
	v_fmac_f64_e32 v[10:11], v[38:39], v[70:71]
	v_fma_f64 v[56:57], -v[60:61], v[72:73], v[56:57]
	v_fmac_f64_e32 v[0:1], v[58:59], v[72:73]
	v_fma_f64 v[58:59], -v[116:117], v[72:73], v[126:127]
	v_fmac_f64_e32 v[12:13], v[114:115], v[72:73]
	v_fma_f64 v[42:43], -v[42:43], v[72:73], v[128:129]
	v_fmac_f64_e32 v[14:15], v[40:41], v[72:73]
	v_fma_f64 v[24:25], -v[38:39], v[72:73], v[24:25]
	v_fmac_f64_e32 v[10:11], v[36:37], v[72:73]
	s_wait_loadcnt 0x7
	v_fmac_f64_e32 v[56:57], v[110:111], v[82:83]
	v_fmac_f64_e32 v[0:1], v[112:113], v[82:83]
	v_fmac_f64_e32 v[58:59], v[20:21], v[82:83]
	v_fmac_f64_e32 v[12:13], v[22:23], v[82:83]
	v_fmac_f64_e32 v[42:43], v[28:29], v[82:83]
	v_fmac_f64_e32 v[14:15], v[30:31], v[82:83]
	v_fmac_f64_e32 v[24:25], v[32:33], v[82:83]
	v_fmac_f64_e32 v[10:11], v[34:35], v[82:83]
	v_fma_f64 v[36:37], -v[112:113], v[84:85], v[56:57]
	v_fmac_f64_e32 v[0:1], v[110:111], v[84:85]
	v_fma_f64 v[22:23], -v[22:23], v[84:85], v[58:59]
	v_fmac_f64_e32 v[12:13], v[20:21], v[84:85]
	v_fma_f64 v[20:21], -v[30:31], v[84:85], v[42:43]
	v_fmac_f64_e32 v[14:15], v[28:29], v[84:85]
	v_fma_f64 v[24:25], -v[34:35], v[84:85], v[24:25]
	v_fmac_f64_e32 v[10:11], v[32:33], v[84:85]
	;; [unrolled: 17-line block ×4, first 2 shown]
	s_wait_loadcnt 0x2
	v_fmac_f64_e32 v[28:29], v[98:99], v[94:95]
	v_fmac_f64_e32 v[0:1], v[100:101], v[94:95]
	;; [unrolled: 1-line block ×4, first 2 shown]
	s_wait_loadcnt 0x1
	v_fmac_f64_e32 v[20:21], v[66:67], v[94:95]
	v_fmac_f64_e32 v[14:15], v[68:69], v[94:95]
	s_wait_loadcnt 0x0
	v_fmac_f64_e32 v[30:31], v[102:103], v[94:95]
	v_fmac_f64_e32 v[10:11], v[104:105], v[94:95]
	v_fma_f64 v[28:29], -v[100:101], v[96:97], v[28:29]
	v_fmac_f64_e32 v[0:1], v[98:99], v[96:97]
	v_fma_f64 v[24:25], -v[92:93], v[96:97], v[22:23]
	;; [unrolled: 2-line block ×4, first 2 shown]
	v_fmac_f64_e32 v[10:11], v[102:103], v[96:97]
	s_and_not1_b32 exec_lo, exec_lo, s6
	s_cbranch_execnz .LBB15_31
; %bb.32:
	s_or_b32 exec_lo, exec_lo, s6
.LBB15_33:
	s_delay_alu instid0(SALU_CYCLE_1)
	s_or_b32 exec_lo, exec_lo, s2
.LBB15_34:
	s_delay_alu instid0(SALU_CYCLE_1)
	s_or_b32 exec_lo, exec_lo, s3
.LBB15_35:
	v_mbcnt_lo_u32_b32 v42, -1, 0
	s_delay_alu instid0(VALU_DEP_1) | instskip(NEXT) | instid1(VALU_DEP_1)
	v_xor_b32_e32 v16, 2, v42
	v_cmp_gt_i32_e32 vcc_lo, 32, v16
	v_cndmask_b32_e32 v16, v42, v16, vcc_lo
	s_delay_alu instid0(VALU_DEP_1)
	v_lshlrev_b32_e32 v41, 2, v16
	ds_bpermute_b32 v16, v41, v28
	ds_bpermute_b32 v17, v41, v29
	ds_bpermute_b32 v18, v41, v0
	ds_bpermute_b32 v19, v41, v1
	ds_bpermute_b32 v30, v41, v24
	ds_bpermute_b32 v31, v41, v25
	s_wait_dscnt 0x4
	v_add_f64_e32 v[16:17], v[28:29], v[16:17]
	s_wait_dscnt 0x2
	v_add_f64_e32 v[28:29], v[0:1], v[18:19]
	;; [unrolled: 2-line block ×3, first 2 shown]
	ds_bpermute_b32 v36, v41, v14
	ds_bpermute_b32 v37, v41, v15
	;; [unrolled: 1-line block ×10, first 2 shown]
	s_wait_dscnt 0x8
	v_add_f64_e32 v[18:19], v[14:15], v[36:37]
	s_wait_dscnt 0x6
	v_add_f64_e32 v[14:15], v[20:21], v[38:39]
	s_wait_dscnt 0x4
	v_dual_add_f64 v[24:25], v[12:13], v[32:33] :: v_dual_bitop2_b32 v20, 1, v42 bitop3:0x14
	s_delay_alu instid0(VALU_DEP_1)
	v_cmp_gt_i32_e32 vcc_lo, 32, v20
	s_wait_dscnt 0x0
	v_add_f64_e32 v[10:11], v[10:11], v[40:41]
	v_cndmask_b32_e32 v20, v42, v20, vcc_lo
	v_add_f64_e32 v[12:13], v[22:23], v[34:35]
	v_cmp_eq_u32_e32 vcc_lo, 3, v27
	s_delay_alu instid0(VALU_DEP_3)
	v_lshlrev_b32_e32 v35, 2, v20
	ds_bpermute_b32 v20, v35, v16
	ds_bpermute_b32 v21, v35, v17
	;; [unrolled: 1-line block ×16, first 2 shown]
	s_and_b32 exec_lo, exec_lo, vcc_lo
	s_cbranch_execz .LBB15_8
; %bb.36:
	s_wait_dscnt 0x4
	v_add_f64_e32 v[38:39], v[24:25], v[38:39]
	v_add_f64_e32 v[28:29], v[28:29], v[40:41]
	v_add_f64_e32 v[36:37], v[18:19], v[36:37]
	s_wait_dscnt 0x0
	v_add_f64_e32 v[34:35], v[10:11], v[34:35]
	v_add_f64_e32 v[40:41], v[16:17], v[20:21]
	;; [unrolled: 1-line block ×5, first 2 shown]
	v_cmp_eq_f64_e32 vcc_lo, 0, v[2:3]
	v_cmp_eq_f64_e64 s2, 0, v[4:5]
	s_load_b64 s[0:1], s[0:1], 0x60
	v_mul_f64_e64 v[18:19], v[38:39], -v[8:9]
	v_mul_f64_e32 v[20:21], v[6:7], v[38:39]
	v_mul_f64_e64 v[14:15], v[36:37], -v[8:9]
	v_mul_f64_e32 v[16:17], v[6:7], v[36:37]
	;; [unrolled: 2-line block ×3, first 2 shown]
	s_and_b32 s2, vcc_lo, s2
	v_fmac_f64_e32 v[18:19], v[6:7], v[0:1]
	v_fmac_f64_e32 v[20:21], v[8:9], v[0:1]
	v_dual_mul_f64 v[22:23], v[28:29], -v[8:9] :: v_dual_lshlrev_b32 v0, 2, v26
	v_mul_f64_e32 v[24:25], v[6:7], v[28:29]
	v_fmac_f64_e32 v[14:15], v[6:7], v[30:31]
	v_fmac_f64_e32 v[16:17], v[8:9], v[30:31]
	;; [unrolled: 1-line block ×6, first 2 shown]
	s_and_saveexec_b32 s3, s2
	s_delay_alu instid0(SALU_CYCLE_1)
	s_xor_b32 s2, exec_lo, s3
	s_cbranch_execz .LBB15_38
; %bb.37:
	s_wait_kmcnt 0x0
	s_clause 0x3
	global_store_b128 v0, v[22:25], s[0:1] scale_offset
	global_store_b128 v0, v[18:21], s[0:1] offset:16 scale_offset
	global_store_b128 v0, v[14:17], s[0:1] offset:32 scale_offset
	;; [unrolled: 1-line block ×3, first 2 shown]
                                        ; implicit-def: $vgpr4_vgpr5
                                        ; implicit-def: $vgpr22_vgpr23
                                        ; implicit-def: $vgpr0
                                        ; implicit-def: $vgpr18_vgpr19
                                        ; implicit-def: $vgpr14_vgpr15
                                        ; implicit-def: $vgpr10_vgpr11
.LBB15_38:
	s_wait_xcnt 0x0
	s_and_not1_saveexec_b32 s2, s2
	s_cbranch_execz .LBB15_8
; %bb.39:
	s_wait_kmcnt 0x0
	s_clause 0x3
	global_load_b128 v[6:9], v0, s[0:1] scale_offset
	global_load_b128 v[26:29], v0, s[0:1] offset:16 scale_offset
	global_load_b128 v[30:33], v0, s[0:1] offset:32 scale_offset
	;; [unrolled: 1-line block ×3, first 2 shown]
	s_wait_loadcnt 0x3
	v_fmac_f64_e32 v[22:23], v[2:3], v[6:7]
	v_fmac_f64_e32 v[24:25], v[4:5], v[6:7]
	s_wait_loadcnt 0x2
	v_fmac_f64_e32 v[18:19], v[2:3], v[26:27]
	v_fmac_f64_e32 v[20:21], v[4:5], v[26:27]
	;; [unrolled: 3-line block ×4, first 2 shown]
	v_fma_f64 v[22:23], -v[4:5], v[8:9], v[22:23]
	v_fmac_f64_e32 v[24:25], v[2:3], v[8:9]
	v_fma_f64 v[18:19], -v[4:5], v[28:29], v[18:19]
	v_fmac_f64_e32 v[20:21], v[2:3], v[28:29]
	;; [unrolled: 2-line block ×4, first 2 shown]
	s_clause 0x3
	global_store_b128 v0, v[22:25], s[0:1] scale_offset
	global_store_b128 v0, v[18:21], s[0:1] offset:16 scale_offset
	global_store_b128 v0, v[14:17], s[0:1] offset:32 scale_offset
	;; [unrolled: 1-line block ×3, first 2 shown]
	s_sendmsg sendmsg(MSG_DEALLOC_VGPRS)
	s_endpgm
	.section	.rodata,"a",@progbits
	.p2align	6, 0x0
	.amdhsa_kernel _ZN9rocsparseL18bsrxmvn_4x4_kernelILj128ELj4E21rocsparse_complex_numIdEiiS2_S2_S2_EEvT3_20rocsparse_direction_NS_24const_host_device_scalarIT1_EES3_PKS3_PKT2_SC_S9_PKT4_PKT5_S7_PT6_21rocsparse_index_base_b
		.amdhsa_group_segment_fixed_size 0
		.amdhsa_private_segment_fixed_size 0
		.amdhsa_kernarg_size 112
		.amdhsa_user_sgpr_count 2
		.amdhsa_user_sgpr_dispatch_ptr 0
		.amdhsa_user_sgpr_queue_ptr 0
		.amdhsa_user_sgpr_kernarg_segment_ptr 1
		.amdhsa_user_sgpr_dispatch_id 0
		.amdhsa_user_sgpr_kernarg_preload_length 0
		.amdhsa_user_sgpr_kernarg_preload_offset 0
		.amdhsa_user_sgpr_private_segment_size 0
		.amdhsa_wavefront_size32 1
		.amdhsa_uses_dynamic_stack 0
		.amdhsa_enable_private_segment 0
		.amdhsa_system_sgpr_workgroup_id_x 1
		.amdhsa_system_sgpr_workgroup_id_y 0
		.amdhsa_system_sgpr_workgroup_id_z 0
		.amdhsa_system_sgpr_workgroup_info 0
		.amdhsa_system_vgpr_workitem_id 0
		.amdhsa_next_free_vgpr 158
		.amdhsa_next_free_sgpr 14
		.amdhsa_named_barrier_count 0
		.amdhsa_reserve_vcc 1
		.amdhsa_float_round_mode_32 0
		.amdhsa_float_round_mode_16_64 0
		.amdhsa_float_denorm_mode_32 3
		.amdhsa_float_denorm_mode_16_64 3
		.amdhsa_fp16_overflow 0
		.amdhsa_memory_ordered 1
		.amdhsa_forward_progress 1
		.amdhsa_inst_pref_size 65
		.amdhsa_round_robin_scheduling 0
		.amdhsa_exception_fp_ieee_invalid_op 0
		.amdhsa_exception_fp_denorm_src 0
		.amdhsa_exception_fp_ieee_div_zero 0
		.amdhsa_exception_fp_ieee_overflow 0
		.amdhsa_exception_fp_ieee_underflow 0
		.amdhsa_exception_fp_ieee_inexact 0
		.amdhsa_exception_int_div_zero 0
	.end_amdhsa_kernel
	.section	.text._ZN9rocsparseL18bsrxmvn_4x4_kernelILj128ELj4E21rocsparse_complex_numIdEiiS2_S2_S2_EEvT3_20rocsparse_direction_NS_24const_host_device_scalarIT1_EES3_PKS3_PKT2_SC_S9_PKT4_PKT5_S7_PT6_21rocsparse_index_base_b,"axG",@progbits,_ZN9rocsparseL18bsrxmvn_4x4_kernelILj128ELj4E21rocsparse_complex_numIdEiiS2_S2_S2_EEvT3_20rocsparse_direction_NS_24const_host_device_scalarIT1_EES3_PKS3_PKT2_SC_S9_PKT4_PKT5_S7_PT6_21rocsparse_index_base_b,comdat
.Lfunc_end15:
	.size	_ZN9rocsparseL18bsrxmvn_4x4_kernelILj128ELj4E21rocsparse_complex_numIdEiiS2_S2_S2_EEvT3_20rocsparse_direction_NS_24const_host_device_scalarIT1_EES3_PKS3_PKT2_SC_S9_PKT4_PKT5_S7_PT6_21rocsparse_index_base_b, .Lfunc_end15-_ZN9rocsparseL18bsrxmvn_4x4_kernelILj128ELj4E21rocsparse_complex_numIdEiiS2_S2_S2_EEvT3_20rocsparse_direction_NS_24const_host_device_scalarIT1_EES3_PKS3_PKT2_SC_S9_PKT4_PKT5_S7_PT6_21rocsparse_index_base_b
                                        ; -- End function
	.set _ZN9rocsparseL18bsrxmvn_4x4_kernelILj128ELj4E21rocsparse_complex_numIdEiiS2_S2_S2_EEvT3_20rocsparse_direction_NS_24const_host_device_scalarIT1_EES3_PKS3_PKT2_SC_S9_PKT4_PKT5_S7_PT6_21rocsparse_index_base_b.num_vgpr, 158
	.set _ZN9rocsparseL18bsrxmvn_4x4_kernelILj128ELj4E21rocsparse_complex_numIdEiiS2_S2_S2_EEvT3_20rocsparse_direction_NS_24const_host_device_scalarIT1_EES3_PKS3_PKT2_SC_S9_PKT4_PKT5_S7_PT6_21rocsparse_index_base_b.num_agpr, 0
	.set _ZN9rocsparseL18bsrxmvn_4x4_kernelILj128ELj4E21rocsparse_complex_numIdEiiS2_S2_S2_EEvT3_20rocsparse_direction_NS_24const_host_device_scalarIT1_EES3_PKS3_PKT2_SC_S9_PKT4_PKT5_S7_PT6_21rocsparse_index_base_b.numbered_sgpr, 14
	.set _ZN9rocsparseL18bsrxmvn_4x4_kernelILj128ELj4E21rocsparse_complex_numIdEiiS2_S2_S2_EEvT3_20rocsparse_direction_NS_24const_host_device_scalarIT1_EES3_PKS3_PKT2_SC_S9_PKT4_PKT5_S7_PT6_21rocsparse_index_base_b.num_named_barrier, 0
	.set _ZN9rocsparseL18bsrxmvn_4x4_kernelILj128ELj4E21rocsparse_complex_numIdEiiS2_S2_S2_EEvT3_20rocsparse_direction_NS_24const_host_device_scalarIT1_EES3_PKS3_PKT2_SC_S9_PKT4_PKT5_S7_PT6_21rocsparse_index_base_b.private_seg_size, 0
	.set _ZN9rocsparseL18bsrxmvn_4x4_kernelILj128ELj4E21rocsparse_complex_numIdEiiS2_S2_S2_EEvT3_20rocsparse_direction_NS_24const_host_device_scalarIT1_EES3_PKS3_PKT2_SC_S9_PKT4_PKT5_S7_PT6_21rocsparse_index_base_b.uses_vcc, 1
	.set _ZN9rocsparseL18bsrxmvn_4x4_kernelILj128ELj4E21rocsparse_complex_numIdEiiS2_S2_S2_EEvT3_20rocsparse_direction_NS_24const_host_device_scalarIT1_EES3_PKS3_PKT2_SC_S9_PKT4_PKT5_S7_PT6_21rocsparse_index_base_b.uses_flat_scratch, 0
	.set _ZN9rocsparseL18bsrxmvn_4x4_kernelILj128ELj4E21rocsparse_complex_numIdEiiS2_S2_S2_EEvT3_20rocsparse_direction_NS_24const_host_device_scalarIT1_EES3_PKS3_PKT2_SC_S9_PKT4_PKT5_S7_PT6_21rocsparse_index_base_b.has_dyn_sized_stack, 0
	.set _ZN9rocsparseL18bsrxmvn_4x4_kernelILj128ELj4E21rocsparse_complex_numIdEiiS2_S2_S2_EEvT3_20rocsparse_direction_NS_24const_host_device_scalarIT1_EES3_PKS3_PKT2_SC_S9_PKT4_PKT5_S7_PT6_21rocsparse_index_base_b.has_recursion, 0
	.set _ZN9rocsparseL18bsrxmvn_4x4_kernelILj128ELj4E21rocsparse_complex_numIdEiiS2_S2_S2_EEvT3_20rocsparse_direction_NS_24const_host_device_scalarIT1_EES3_PKS3_PKT2_SC_S9_PKT4_PKT5_S7_PT6_21rocsparse_index_base_b.has_indirect_call, 0
	.section	.AMDGPU.csdata,"",@progbits
; Kernel info:
; codeLenInByte = 8224
; TotalNumSgprs: 16
; NumVgprs: 158
; ScratchSize: 0
; MemoryBound: 1
; FloatMode: 240
; IeeeMode: 1
; LDSByteSize: 0 bytes/workgroup (compile time only)
; SGPRBlocks: 0
; VGPRBlocks: 9
; NumSGPRsForWavesPerEU: 16
; NumVGPRsForWavesPerEU: 158
; NamedBarCnt: 0
; Occupancy: 6
; WaveLimiterHint : 1
; COMPUTE_PGM_RSRC2:SCRATCH_EN: 0
; COMPUTE_PGM_RSRC2:USER_SGPR: 2
; COMPUTE_PGM_RSRC2:TRAP_HANDLER: 0
; COMPUTE_PGM_RSRC2:TGID_X_EN: 1
; COMPUTE_PGM_RSRC2:TGID_Y_EN: 0
; COMPUTE_PGM_RSRC2:TGID_Z_EN: 0
; COMPUTE_PGM_RSRC2:TIDIG_COMP_CNT: 0
	.section	.text._ZN9rocsparseL18bsrxmvn_4x4_kernelILj128ELj8E21rocsparse_complex_numIdEiiS2_S2_S2_EEvT3_20rocsparse_direction_NS_24const_host_device_scalarIT1_EES3_PKS3_PKT2_SC_S9_PKT4_PKT5_S7_PT6_21rocsparse_index_base_b,"axG",@progbits,_ZN9rocsparseL18bsrxmvn_4x4_kernelILj128ELj8E21rocsparse_complex_numIdEiiS2_S2_S2_EEvT3_20rocsparse_direction_NS_24const_host_device_scalarIT1_EES3_PKS3_PKT2_SC_S9_PKT4_PKT5_S7_PT6_21rocsparse_index_base_b,comdat
	.globl	_ZN9rocsparseL18bsrxmvn_4x4_kernelILj128ELj8E21rocsparse_complex_numIdEiiS2_S2_S2_EEvT3_20rocsparse_direction_NS_24const_host_device_scalarIT1_EES3_PKS3_PKT2_SC_S9_PKT4_PKT5_S7_PT6_21rocsparse_index_base_b ; -- Begin function _ZN9rocsparseL18bsrxmvn_4x4_kernelILj128ELj8E21rocsparse_complex_numIdEiiS2_S2_S2_EEvT3_20rocsparse_direction_NS_24const_host_device_scalarIT1_EES3_PKS3_PKT2_SC_S9_PKT4_PKT5_S7_PT6_21rocsparse_index_base_b
	.p2align	8
	.type	_ZN9rocsparseL18bsrxmvn_4x4_kernelILj128ELj8E21rocsparse_complex_numIdEiiS2_S2_S2_EEvT3_20rocsparse_direction_NS_24const_host_device_scalarIT1_EES3_PKS3_PKT2_SC_S9_PKT4_PKT5_S7_PT6_21rocsparse_index_base_b,@function
_ZN9rocsparseL18bsrxmvn_4x4_kernelILj128ELj8E21rocsparse_complex_numIdEiiS2_S2_S2_EEvT3_20rocsparse_direction_NS_24const_host_device_scalarIT1_EES3_PKS3_PKT2_SC_S9_PKT4_PKT5_S7_PT6_21rocsparse_index_base_b: ; @_ZN9rocsparseL18bsrxmvn_4x4_kernelILj128ELj8E21rocsparse_complex_numIdEiiS2_S2_S2_EEvT3_20rocsparse_direction_NS_24const_host_device_scalarIT1_EES3_PKS3_PKT2_SC_S9_PKT4_PKT5_S7_PT6_21rocsparse_index_base_b
; %bb.0:
	s_clause 0x1
	s_load_b64 s[12:13], s[0:1], 0x68
	s_load_b64 s[2:3], s[0:1], 0x8
	v_mov_b32_e32 v1, 0
	s_add_nc_u64 s[4:5], s[0:1], 8
	s_load_b64 s[6:7], s[0:1], 0x50
	s_wait_kmcnt 0x0
	s_bitcmp1_b32 s13, 0
	s_cselect_b32 s3, s5, s3
	s_cselect_b32 s2, s4, s2
	flat_load_b128 v[6:9], v1, s[2:3]
	s_wait_xcnt 0x0
	s_add_nc_u64 s[2:3], s[0:1], 0x50
	s_delay_alu instid0(SALU_CYCLE_1)
	s_cselect_b32 s3, s3, s7
	s_cselect_b32 s2, s2, s6
	flat_load_b128 v[2:5], v1, s[2:3]
	s_wait_loadcnt_dscnt 0x101
	v_cmp_eq_f64_e32 vcc_lo, 0, v[6:7]
	s_wait_xcnt 0x0
	v_cmp_eq_f64_e64 s2, 0, v[8:9]
	s_and_b32 s4, vcc_lo, s2
	s_mov_b32 s2, -1
	s_and_saveexec_b32 s3, s4
	s_cbranch_execz .LBB16_2
; %bb.1:
	s_wait_loadcnt_dscnt 0x0
	v_cmp_neq_f64_e32 vcc_lo, 1.0, v[2:3]
	v_cmp_neq_f64_e64 s2, 0, v[4:5]
	s_or_b32 s2, vcc_lo, s2
	s_delay_alu instid0(SALU_CYCLE_1)
	s_or_not1_b32 s2, s2, exec_lo
.LBB16_2:
	s_or_b32 exec_lo, exec_lo, s3
	s_and_saveexec_b32 s3, s2
	s_cbranch_execz .LBB16_8
; %bb.3:
	s_clause 0x1
	s_load_b64 s[4:5], s[0:1], 0x20
	s_load_b64 s[2:3], s[0:1], 0x0
	s_bfe_u32 s6, ttmp6, 0x4000c
	s_and_b32 s7, ttmp6, 15
	s_add_co_i32 s6, s6, 1
	s_getreg_b32 s8, hwreg(HW_REG_IB_STS2, 6, 4)
	s_mul_i32 s6, ttmp9, s6
	v_lshrrev_b32_e32 v1, 3, v0
	s_add_co_i32 s7, s7, s6
	s_cmp_eq_u32 s8, 0
	s_cselect_b32 s6, ttmp9, s7
	s_delay_alu instid0(VALU_DEP_1) | instid1(SALU_CYCLE_1)
	v_lshl_or_b32 v26, s6, 4, v1
	s_mov_b32 s6, 0
	s_wait_kmcnt 0x0
	s_cmp_lg_u64 s[4:5], 0
	s_cbranch_scc0 .LBB16_9
; %bb.4:
	s_load_b32 s6, s[0:1], 0x18
	s_mov_b32 s7, 0
                                        ; implicit-def: $vgpr1
	s_wait_kmcnt 0x0
	v_cmp_gt_i32_e32 vcc_lo, s6, v26
	s_mov_b32 s6, 0
	s_and_saveexec_b32 s8, vcc_lo
	s_delay_alu instid0(SALU_CYCLE_1)
	s_xor_b32 s8, exec_lo, s8
	s_cbranch_execz .LBB16_6
; %bb.5:
	global_load_b32 v1, v26, s[4:5] scale_offset
	s_mov_b32 s6, exec_lo
	s_wait_loadcnt 0x0
	v_subrev_nc_u32_e32 v1, s12, v1
.LBB16_6:
	s_or_b32 exec_lo, exec_lo, s8
	s_delay_alu instid0(SALU_CYCLE_1)
	s_and_b32 vcc_lo, exec_lo, s7
	s_cbranch_vccz .LBB16_10
.LBB16_7:
	v_cmp_gt_i32_e32 vcc_lo, s2, v26
	s_and_not1_b32 s2, s6, exec_lo
	s_and_b32 s4, vcc_lo, exec_lo
	s_delay_alu instid0(SALU_CYCLE_1) | instskip(NEXT) | instid1(SALU_CYCLE_1)
	s_or_b32 s6, s2, s4
	s_and_b32 exec_lo, exec_lo, s6
	s_cbranch_execnz .LBB16_11
.LBB16_8:
	s_sendmsg sendmsg(MSG_DEALLOC_VGPRS)
	s_endpgm
.LBB16_9:
                                        ; implicit-def: $vgpr1
	s_cbranch_execnz .LBB16_7
.LBB16_10:
	s_delay_alu instid0(VALU_DEP_1)
	v_mov_b32_e32 v26, v1
	s_and_b32 exec_lo, exec_lo, s6
	s_cbranch_execz .LBB16_8
.LBB16_11:
	s_load_b256 s[4:11], s[0:1], 0x28
	s_wait_kmcnt 0x0
	global_load_b32 v32, v26, s[4:5] scale_offset
	s_cmp_eq_u64 s[6:7], 0
	s_cselect_b32 vcc_lo, -1, 0
	v_ashrrev_i32_e32 v27, 31, v26
	s_cmp_eq_u32 s3, 1
	s_delay_alu instid0(VALU_DEP_1) | instskip(SKIP_1) | instid1(VALU_DEP_2)
	v_lshlrev_b64_e32 v[10:11], 2, v[26:27]
	v_and_b32_e32 v27, 7, v0
	v_add_nc_u64_e32 v[12:13], s[4:5], v[10:11]
	v_add_nc_u64_e32 v[10:11], s[6:7], v[10:11]
	s_wait_xcnt 0x0
	s_load_b64 s[4:5], s[0:1], 0x48
	s_delay_alu instid0(VALU_DEP_2) | instskip(NEXT) | instid1(VALU_DEP_1)
	v_add_nc_u64_e32 v[12:13], 4, v[12:13]
	v_cndmask_b32_e32 v11, v11, v13, vcc_lo
	s_wait_loadcnt 0x0
	v_subrev_nc_u32_e32 v0, s12, v32
	s_delay_alu instid0(VALU_DEP_1) | instskip(SKIP_2) | instid1(VALU_DEP_1)
	v_dual_cndmask_b32 v10, v10, v12, vcc_lo :: v_dual_add_nc_u32 v16, v0, v27
	global_load_b32 v10, v[10:11], off
	v_ashrrev_i32_e32 v17, 31, v16
	v_lshlrev_b64_e32 v[0:1], 8, v[16:17]
	s_delay_alu instid0(VALU_DEP_1) | instskip(SKIP_2) | instid1(VALU_DEP_1)
	v_add_nc_u64_e32 v[18:19], s[10:11], v[0:1]
	s_wait_loadcnt 0x0
	v_subrev_nc_u32_e32 v17, s12, v10
	v_cmp_lt_i32_e64 s2, v16, v17
	s_cbranch_scc1 .LBB16_23
; %bb.12:
	v_mov_b64_e32 v[0:1], 0
	v_mov_b64_e32 v[28:29], 0
	;; [unrolled: 1-line block ×8, first 2 shown]
	s_and_saveexec_b32 s3, s2
	s_cbranch_execz .LBB16_22
; %bb.13:
	v_add_nc_u32_e32 v0, v32, v27
	v_not_b32_e32 v1, v32
	v_mov_b64_e32 v[12:13], 0
	v_mov_b64_e32 v[24:25], 0
	v_mov_b64_e32 v[14:15], 0
	v_subrev_nc_u32_e32 v0, s12, v0
	v_mov_b64_e32 v[22:23], 0
	v_mov_b64_e32 v[10:11], 0
	v_mov_b64_e32 v[20:21], 0
	v_mov_b64_e32 v[28:29], 0
	v_add_max_i32_e64 v0, v0, 8, v17
	v_mov_b64_e32 v[30:31], v[18:19]
	s_delay_alu instid0(VALU_DEP_2) | instskip(NEXT) | instid1(VALU_DEP_1)
	v_add3_u32 v0, s12, v0, v1
	v_sub_nc_u32_e32 v34, v0, v27
	v_mov_b64_e32 v[0:1], 0
	s_delay_alu instid0(VALU_DEP_2) | instskip(NEXT) | instid1(VALU_DEP_1)
	v_and_b32_e32 v33, 24, v34
	v_cmp_ne_u32_e32 vcc_lo, 24, v33
	v_mov_b32_e32 v33, v16
	s_and_saveexec_b32 s6, vcc_lo
	s_cbranch_execz .LBB16_17
; %bb.14:
	v_dual_mov_b32 v33, v16 :: v_dual_lshrrev_b32 v10, 3, v34
	v_mov_b64_e32 v[0:1], 0
	v_mov_b64_e32 v[28:29], 0
	;; [unrolled: 1-line block ×3, first 2 shown]
	s_delay_alu instid0(VALU_DEP_4)
	v_add_nc_u32_e32 v12, 1, v10
	v_mov_b64_e32 v[10:11], 0
	v_mov_b64_e32 v[22:23], 0
	;; [unrolled: 1-line block ×4, first 2 shown]
	v_and_b32_e32 v30, 3, v12
	v_mov_b64_e32 v[12:13], 0
	s_mov_b32 s7, 0
	s_delay_alu instid0(VALU_DEP_2)
	v_sub_nc_u32_e32 v35, 0, v30
	v_mov_b64_e32 v[30:31], v[18:19]
.LBB16_15:                              ; =>This Inner Loop Header: Depth=1
	global_load_b32 v68, v33, s[8:9] scale_offset
	s_clause 0x7
	global_load_b128 v[36:39], v[30:31], off offset:16
	global_load_b128 v[40:43], v[30:31], off
	global_load_b128 v[44:47], v[30:31], off offset:80
	global_load_b128 v[48:51], v[30:31], off offset:64
	;; [unrolled: 1-line block ×6, first 2 shown]
	v_add_co_u32 v35, s10, v35, 1
	s_or_b32 s7, s10, s7
	s_wait_xcnt 0x8
	v_add_nc_u32_e32 v33, 8, v33
	s_wait_loadcnt 0x8
	v_subrev_nc_u32_e32 v68, s12, v68
	s_delay_alu instid0(VALU_DEP_1)
	v_lshlrev_b32_e32 v116, 2, v68
	s_wait_kmcnt 0x0
	s_clause 0x1
	global_load_b128 v[68:71], v116, s[4:5] scale_offset
	global_load_b128 v[72:75], v116, s[4:5] offset:16 scale_offset
	s_clause 0x7
	global_load_b128 v[76:79], v[30:31], off offset:48
	global_load_b128 v[80:83], v[30:31], off offset:32
	;; [unrolled: 1-line block ×8, first 2 shown]
	s_clause 0x1
	global_load_b128 v[108:111], v116, s[4:5] offset:32 scale_offset
	global_load_b128 v[112:115], v116, s[4:5] offset:48 scale_offset
	s_wait_xcnt 0x2
	v_add_nc_u64_e32 v[30:31], 0x800, v[30:31]
	s_wait_loadcnt 0xb
	v_fmac_f64_e32 v[28:29], v[40:41], v[68:69]
	v_fmac_f64_e32 v[0:1], v[42:43], v[68:69]
	v_fmac_f64_e32 v[24:25], v[48:49], v[68:69]
	v_fmac_f64_e32 v[12:13], v[50:51], v[68:69]
	v_fmac_f64_e32 v[22:23], v[56:57], v[68:69]
	v_fmac_f64_e32 v[14:15], v[58:59], v[68:69]
	v_fmac_f64_e32 v[20:21], v[64:65], v[68:69]
	v_fmac_f64_e32 v[10:11], v[66:67], v[68:69]
	v_fma_f64 v[28:29], -v[42:43], v[70:71], v[28:29]
	v_fmac_f64_e32 v[0:1], v[40:41], v[70:71]
	v_fma_f64 v[24:25], -v[50:51], v[70:71], v[24:25]
	v_fmac_f64_e32 v[12:13], v[48:49], v[70:71]
	v_fma_f64 v[22:23], -v[58:59], v[70:71], v[22:23]
	v_fmac_f64_e32 v[14:15], v[56:57], v[70:71]
	v_fma_f64 v[20:21], -v[66:67], v[70:71], v[20:21]
	v_fmac_f64_e32 v[10:11], v[64:65], v[70:71]
	s_wait_loadcnt 0xa
	v_fmac_f64_e32 v[28:29], v[36:37], v[72:73]
	v_fmac_f64_e32 v[0:1], v[38:39], v[72:73]
	v_fmac_f64_e32 v[24:25], v[44:45], v[72:73]
	v_fmac_f64_e32 v[12:13], v[46:47], v[72:73]
	v_fmac_f64_e32 v[22:23], v[52:53], v[72:73]
	v_fmac_f64_e32 v[14:15], v[54:55], v[72:73]
	v_fmac_f64_e32 v[20:21], v[60:61], v[72:73]
	v_fmac_f64_e32 v[10:11], v[62:63], v[72:73]
	v_fma_f64 v[28:29], -v[38:39], v[74:75], v[28:29]
	v_fmac_f64_e32 v[0:1], v[36:37], v[74:75]
	v_fma_f64 v[24:25], -v[46:47], v[74:75], v[24:25]
	v_fmac_f64_e32 v[12:13], v[44:45], v[74:75]
	v_fma_f64 v[22:23], -v[54:55], v[74:75], v[22:23]
	v_fmac_f64_e32 v[14:15], v[52:53], v[74:75]
	v_fma_f64 v[20:21], -v[62:63], v[74:75], v[20:21]
	v_fmac_f64_e32 v[10:11], v[60:61], v[74:75]
	;; [unrolled: 17-line block ×4, first 2 shown]
	s_and_not1_b32 exec_lo, exec_lo, s7
	s_cbranch_execnz .LBB16_15
; %bb.16:
	s_or_b32 exec_lo, exec_lo, s7
.LBB16_17:
	s_delay_alu instid0(SALU_CYCLE_1) | instskip(NEXT) | instid1(SALU_CYCLE_1)
	s_or_b32 exec_lo, exec_lo, s6
	s_mov_b32 s6, exec_lo
	v_cmpx_lt_u32_e32 23, v34
	s_cbranch_execz .LBB16_21
; %bb.18:
	s_mov_b32 s7, 0
.LBB16_19:                              ; =>This Inner Loop Header: Depth=1
	global_load_b32 v142, v33, s[8:9] scale_offset
	s_clause 0x13
	global_load_b128 v[34:37], v[30:31], off offset:48
	global_load_b128 v[38:41], v[30:31], off offset:32
	;; [unrolled: 1-line block ×3, first 2 shown]
	global_load_b128 v[46:49], v[30:31], off
	global_load_b128 v[50:53], v[30:31], off offset:112
	global_load_b128 v[54:57], v[30:31], off offset:96
	;; [unrolled: 1-line block ×16, first 2 shown]
	s_clause 0x2
	global_load_b32 v154, v33, s[8:9] offset:32 scale_offset
	global_load_b32 v155, v33, s[8:9] offset:64 scale_offset
	;; [unrolled: 1-line block ×3, first 2 shown]
	s_clause 0x6
	global_load_b128 v[114:117], v[30:31], off offset:2160
	global_load_b128 v[118:121], v[30:31], off offset:2144
	;; [unrolled: 1-line block ×7, first 2 shown]
	s_wait_xcnt 0x7
	v_add_nc_u32_e32 v33, 32, v33
	s_delay_alu instid0(VALU_DEP_1) | instskip(SKIP_3) | instid1(VALU_DEP_1)
	v_cmp_ge_i32_e32 vcc_lo, v33, v17
	s_or_b32 s7, vcc_lo, s7
	s_wait_loadcnt 0x1e
	v_subrev_nc_u32_e32 v142, s12, v142
	v_lshlrev_b32_e32 v157, 2, v142
	s_wait_kmcnt 0x0
	s_clause 0x1
	global_load_b128 v[142:145], v157, s[4:5] scale_offset
	global_load_b128 v[146:149], v157, s[4:5] offset:16 scale_offset
	s_wait_loadcnt 0x1
	v_fmac_f64_e32 v[28:29], v[46:47], v[142:143]
	v_fmac_f64_e32 v[0:1], v[48:49], v[142:143]
	;; [unrolled: 1-line block ×8, first 2 shown]
	v_fma_f64 v[28:29], -v[48:49], v[144:145], v[28:29]
	v_fmac_f64_e32 v[0:1], v[46:47], v[144:145]
	v_fma_f64 v[150:151], -v[64:65], v[144:145], v[24:25]
	v_fmac_f64_e32 v[12:13], v[62:63], v[144:145]
	;; [unrolled: 2-line block ×4, first 2 shown]
	s_clause 0x4
	global_load_b128 v[46:49], v[30:31], off offset:2176
	global_load_b128 v[22:25], v[30:31], off offset:2272
	;; [unrolled: 1-line block ×5, first 2 shown]
	s_wait_loadcnt 0x5
	v_fmac_f64_e32 v[28:29], v[42:43], v[146:147]
	v_fmac_f64_e32 v[0:1], v[44:45], v[146:147]
	v_fmac_f64_e32 v[150:151], v[58:59], v[146:147]
	v_fmac_f64_e32 v[12:13], v[60:61], v[146:147]
	v_fmac_f64_e32 v[152:153], v[74:75], v[146:147]
	v_fmac_f64_e32 v[14:15], v[76:77], v[146:147]
	v_fmac_f64_e32 v[20:21], v[90:91], v[146:147]
	v_fmac_f64_e32 v[10:11], v[92:93], v[146:147]
	v_fma_f64 v[28:29], -v[44:45], v[148:149], v[28:29]
	v_fmac_f64_e32 v[0:1], v[42:43], v[148:149]
	global_load_b128 v[42:45], v[30:31], off offset:4144
	v_fma_f64 v[150:151], -v[60:61], v[148:149], v[150:151]
	v_fmac_f64_e32 v[12:13], v[58:59], v[148:149]
	global_load_b128 v[58:61], v[30:31], off offset:4128
	;; [unrolled: 3-line block ×3, first 2 shown]
	v_fma_f64 v[20:21], -v[92:93], v[148:149], v[20:21]
	v_fmac_f64_e32 v[10:11], v[90:91], v[148:149]
	s_clause 0x1
	global_load_b128 v[90:93], v157, s[4:5] offset:32 scale_offset
	global_load_b128 v[142:145], v157, s[4:5] offset:48 scale_offset
	s_wait_loadcnt 0x1
	v_fmac_f64_e32 v[28:29], v[38:39], v[90:91]
	v_fmac_f64_e32 v[0:1], v[40:41], v[90:91]
	;; [unrolled: 1-line block ×8, first 2 shown]
	v_fma_f64 v[28:29], -v[40:41], v[92:93], v[28:29]
	v_fmac_f64_e32 v[0:1], v[38:39], v[92:93]
	v_fma_f64 v[146:147], -v[56:57], v[92:93], v[150:151]
	v_fmac_f64_e32 v[12:13], v[54:55], v[92:93]
	;; [unrolled: 2-line block ×4, first 2 shown]
	v_subrev_nc_u32_e32 v150, s12, v154
	s_clause 0x4
	global_load_b128 v[38:41], v[30:31], off offset:4096
	global_load_b128 v[70:73], v[30:31], off offset:4192
	;; [unrolled: 1-line block ×5, first 2 shown]
	v_lshlrev_b32_e32 v150, 2, v150
	s_wait_loadcnt 0x5
	v_fmac_f64_e32 v[28:29], v[34:35], v[142:143]
	v_fmac_f64_e32 v[0:1], v[36:37], v[142:143]
	;; [unrolled: 1-line block ×8, first 2 shown]
	v_fma_f64 v[28:29], -v[36:37], v[144:145], v[28:29]
	v_fmac_f64_e32 v[0:1], v[34:35], v[144:145]
	global_load_b128 v[34:37], v[30:31], off offset:4272
	v_fma_f64 v[146:147], -v[52:53], v[144:145], v[146:147]
	v_fmac_f64_e32 v[12:13], v[50:51], v[144:145]
	global_load_b128 v[50:53], v[30:31], off offset:4256
	;; [unrolled: 3-line block ×3, first 2 shown]
	v_fma_f64 v[20:21], -v[84:85], v[144:145], v[20:21]
	v_fmac_f64_e32 v[10:11], v[82:83], v[144:145]
	s_clause 0x1
	global_load_b128 v[82:85], v150, s[4:5] scale_offset
	global_load_b128 v[142:145], v150, s[4:5] offset:16 scale_offset
	s_wait_loadcnt 0x1
	v_fmac_f64_e32 v[28:29], v[110:111], v[82:83]
	v_fmac_f64_e32 v[0:1], v[112:113], v[82:83]
	v_fmac_f64_e32 v[146:147], v[126:127], v[82:83]
	v_fmac_f64_e32 v[12:13], v[128:129], v[82:83]
	v_fmac_f64_e32 v[148:149], v[46:47], v[82:83]
	v_fmac_f64_e32 v[14:15], v[48:49], v[82:83]
	v_fmac_f64_e32 v[20:21], v[94:95], v[82:83]
	v_fmac_f64_e32 v[10:11], v[96:97], v[82:83]
	v_fma_f64 v[28:29], -v[112:113], v[84:85], v[28:29]
	v_fmac_f64_e32 v[0:1], v[110:111], v[84:85]
	v_fma_f64 v[146:147], -v[128:129], v[84:85], v[146:147]
	v_fmac_f64_e32 v[12:13], v[126:127], v[84:85]
	;; [unrolled: 2-line block ×4, first 2 shown]
	s_clause 0x4
	global_load_b128 v[110:113], v[30:31], off offset:4224
	global_load_b128 v[46:49], v[30:31], off offset:4320
	global_load_b128 v[126:129], v[30:31], off offset:4336
	global_load_b128 v[82:85], v[30:31], off offset:4304
	global_load_b128 v[94:97], v[30:31], off offset:4288
	s_wait_loadcnt 0x5
	v_fmac_f64_e32 v[28:29], v[106:107], v[142:143]
	v_fmac_f64_e32 v[0:1], v[108:109], v[142:143]
	;; [unrolled: 1-line block ×8, first 2 shown]
	v_fma_f64 v[28:29], -v[108:109], v[144:145], v[28:29]
	v_fmac_f64_e32 v[0:1], v[106:107], v[144:145]
	global_load_b128 v[106:109], v[30:31], off offset:6192
	v_fma_f64 v[146:147], -v[124:125], v[144:145], v[146:147]
	v_fmac_f64_e32 v[12:13], v[122:123], v[144:145]
	global_load_b128 v[122:125], v[30:31], off offset:6176
	;; [unrolled: 3-line block ×3, first 2 shown]
	v_fma_f64 v[20:21], -v[80:81], v[144:145], v[20:21]
	v_fmac_f64_e32 v[10:11], v[78:79], v[144:145]
	s_clause 0x1
	global_load_b128 v[78:81], v150, s[4:5] offset:32 scale_offset
	global_load_b128 v[142:145], v150, s[4:5] offset:48 scale_offset
	s_wait_xcnt 0x0
	v_subrev_nc_u32_e32 v150, s12, v155
	s_delay_alu instid0(VALU_DEP_1)
	v_lshlrev_b32_e32 v150, 2, v150
	s_wait_loadcnt 0x1
	v_fmac_f64_e32 v[28:29], v[102:103], v[78:79]
	v_fmac_f64_e32 v[0:1], v[104:105], v[78:79]
	;; [unrolled: 1-line block ×8, first 2 shown]
	v_fma_f64 v[28:29], -v[104:105], v[80:81], v[28:29]
	v_fmac_f64_e32 v[0:1], v[102:103], v[80:81]
	global_load_b128 v[102:105], v[30:31], off offset:6144
	v_fma_f64 v[146:147], -v[120:121], v[80:81], v[146:147]
	v_fmac_f64_e32 v[12:13], v[118:119], v[80:81]
	global_load_b128 v[118:121], v[30:31], off offset:6256
	v_fma_f64 v[148:149], -v[136:137], v[80:81], v[148:149]
	v_fmac_f64_e32 v[14:15], v[134:135], v[80:81]
	global_load_b128 v[134:137], v[30:31], off offset:6240
	v_fma_f64 v[24:25], -v[24:25], v[80:81], v[20:21]
	v_fmac_f64_e32 v[10:11], v[22:23], v[80:81]
	s_clause 0x1
	global_load_b128 v[20:23], v[30:31], off offset:6224
	global_load_b128 v[78:81], v[30:31], off offset:6208
	s_wait_loadcnt 0x5
	v_fmac_f64_e32 v[28:29], v[98:99], v[142:143]
	v_fmac_f64_e32 v[0:1], v[100:101], v[142:143]
	;; [unrolled: 1-line block ×8, first 2 shown]
	v_fma_f64 v[28:29], -v[100:101], v[144:145], v[28:29]
	v_fmac_f64_e32 v[0:1], v[98:99], v[144:145]
	global_load_b128 v[98:101], v150, s[4:5] scale_offset
	v_fma_f64 v[146:147], -v[116:117], v[144:145], v[146:147]
	v_fmac_f64_e32 v[12:13], v[114:115], v[144:145]
	global_load_b128 v[114:117], v150, s[4:5] offset:16 scale_offset
	v_fma_f64 v[148:149], -v[132:133], v[144:145], v[148:149]
	v_fmac_f64_e32 v[14:15], v[130:131], v[144:145]
	global_load_b128 v[130:133], v[30:31], off offset:6288
	v_fma_f64 v[24:25], -v[64:65], v[144:145], v[24:25]
	v_fmac_f64_e32 v[10:11], v[62:63], v[144:145]
	global_load_b128 v[62:65], v[30:31], off offset:6272
	global_load_b128 v[142:145], v150, s[4:5] offset:32 scale_offset
	s_wait_loadcnt 0x4
	v_fmac_f64_e32 v[28:29], v[38:39], v[98:99]
	v_fmac_f64_e32 v[0:1], v[40:41], v[98:99]
	;; [unrolled: 1-line block ×8, first 2 shown]
	v_fma_f64 v[28:29], -v[40:41], v[100:101], v[28:29]
	v_fmac_f64_e32 v[0:1], v[38:39], v[100:101]
	global_load_b128 v[38:41], v150, s[4:5] offset:48 scale_offset
	s_wait_xcnt 0x0
	v_subrev_nc_u32_e32 v150, s12, v156
	v_fma_f64 v[146:147], -v[92:93], v[100:101], v[146:147]
	v_fmac_f64_e32 v[12:13], v[90:91], v[100:101]
	global_load_b128 v[90:93], v[30:31], off offset:6336
	v_dual_fma_f64 v[148:149], -v[112:113], v[100:101], v[148:149] :: v_dual_lshlrev_b32 v154, 2, v150
	v_fmac_f64_e32 v[14:15], v[110:111], v[100:101]
	v_fma_f64 v[24:25], -v[96:97], v[100:101], v[24:25]
	v_fmac_f64_e32 v[10:11], v[94:95], v[100:101]
	global_load_b128 v[110:113], v154, s[4:5] scale_offset
	s_clause 0x1
	global_load_b128 v[94:97], v[30:31], off offset:6352
	global_load_b128 v[98:101], v[30:31], off offset:6304
	s_wait_loadcnt 0x8
	v_fmac_f64_e32 v[28:29], v[74:75], v[114:115]
	v_fmac_f64_e32 v[0:1], v[76:77], v[114:115]
	;; [unrolled: 1-line block ×8, first 2 shown]
	v_fma_f64 v[28:29], -v[76:77], v[116:117], v[28:29]
	v_fmac_f64_e32 v[0:1], v[74:75], v[116:117]
	global_load_b128 v[74:77], v154, s[4:5] offset:16 scale_offset
	v_fma_f64 v[150:151], -v[88:89], v[116:117], v[146:147]
	v_fmac_f64_e32 v[12:13], v[86:87], v[116:117]
	global_load_b128 v[86:89], v[30:31], off offset:6368
	v_fma_f64 v[152:153], -v[68:69], v[116:117], v[148:149]
	v_fmac_f64_e32 v[14:15], v[66:67], v[116:117]
	global_load_b128 v[66:69], v154, s[4:5] offset:32 scale_offset
	v_fma_f64 v[24:25], -v[84:85], v[116:117], v[24:25]
	v_fmac_f64_e32 v[10:11], v[82:83], v[116:117]
	s_clause 0x1
	global_load_b128 v[82:85], v[30:31], off offset:6320
	global_load_b128 v[114:117], v[30:31], off offset:6384
	global_load_b128 v[146:149], v154, s[4:5] offset:48 scale_offset
	s_wait_xcnt 0x1
	v_add_nc_u64_e32 v[30:31], 0x2000, v[30:31]
	s_wait_loadcnt 0xb
	v_fmac_f64_e32 v[28:29], v[58:59], v[142:143]
	v_fmac_f64_e32 v[0:1], v[60:61], v[142:143]
	v_fmac_f64_e32 v[150:151], v[70:71], v[142:143]
	v_fmac_f64_e32 v[12:13], v[72:73], v[142:143]
	v_fmac_f64_e32 v[152:153], v[50:51], v[142:143]
	v_fmac_f64_e32 v[14:15], v[52:53], v[142:143]
	v_fmac_f64_e32 v[24:25], v[46:47], v[142:143]
	v_fmac_f64_e32 v[10:11], v[48:49], v[142:143]
	v_fma_f64 v[28:29], -v[60:61], v[144:145], v[28:29]
	v_fmac_f64_e32 v[0:1], v[58:59], v[144:145]
	v_fma_f64 v[58:59], -v[72:73], v[144:145], v[150:151]
	v_fmac_f64_e32 v[12:13], v[70:71], v[144:145]
	v_fma_f64 v[52:53], -v[52:53], v[144:145], v[152:153]
	v_fmac_f64_e32 v[14:15], v[50:51], v[144:145]
	v_fma_f64 v[24:25], -v[48:49], v[144:145], v[24:25]
	v_fmac_f64_e32 v[10:11], v[46:47], v[144:145]
	s_wait_loadcnt 0xa
	v_fmac_f64_e32 v[28:29], v[42:43], v[38:39]
	v_fmac_f64_e32 v[0:1], v[44:45], v[38:39]
	v_fmac_f64_e32 v[58:59], v[54:55], v[38:39]
	v_fmac_f64_e32 v[12:13], v[56:57], v[38:39]
	v_fmac_f64_e32 v[52:53], v[34:35], v[38:39]
	v_fmac_f64_e32 v[14:15], v[36:37], v[38:39]
	v_fmac_f64_e32 v[24:25], v[126:127], v[38:39]
	v_fmac_f64_e32 v[10:11], v[128:129], v[38:39]
	v_fma_f64 v[28:29], -v[44:45], v[40:41], v[28:29]
	v_fmac_f64_e32 v[0:1], v[42:43], v[40:41]
	v_fma_f64 v[38:39], -v[56:57], v[40:41], v[58:59]
	v_fmac_f64_e32 v[12:13], v[54:55], v[40:41]
	v_fma_f64 v[36:37], -v[36:37], v[40:41], v[52:53]
	v_fmac_f64_e32 v[14:15], v[34:35], v[40:41]
	v_fma_f64 v[24:25], -v[128:129], v[40:41], v[24:25]
	v_fmac_f64_e32 v[10:11], v[126:127], v[40:41]
	;; [unrolled: 17-line block ×6, first 2 shown]
	s_and_not1_b32 exec_lo, exec_lo, s7
	s_cbranch_execnz .LBB16_19
; %bb.20:
	s_or_b32 exec_lo, exec_lo, s7
.LBB16_21:
	s_delay_alu instid0(SALU_CYCLE_1)
	s_or_b32 exec_lo, exec_lo, s6
.LBB16_22:
	s_delay_alu instid0(SALU_CYCLE_1)
	s_or_b32 exec_lo, exec_lo, s3
	s_cbranch_execz .LBB16_24
	s_branch .LBB16_35
.LBB16_23:
                                        ; implicit-def: $vgpr0_vgpr1
                                        ; implicit-def: $vgpr28_vgpr29
                                        ; implicit-def: $vgpr20_vgpr21
                                        ; implicit-def: $vgpr10_vgpr11
                                        ; implicit-def: $vgpr22_vgpr23
                                        ; implicit-def: $vgpr14_vgpr15
                                        ; implicit-def: $vgpr24_vgpr25
                                        ; implicit-def: $vgpr12_vgpr13
.LBB16_24:
	v_mov_b64_e32 v[0:1], 0
	v_mov_b64_e32 v[28:29], 0
	;; [unrolled: 1-line block ×8, first 2 shown]
	s_and_saveexec_b32 s3, s2
	s_cbranch_execz .LBB16_34
; %bb.25:
	v_add_nc_u32_e32 v0, v32, v27
	v_not_b32_e32 v1, v32
	v_mov_b64_e32 v[12:13], 0
	v_mov_b64_e32 v[24:25], 0
	;; [unrolled: 1-line block ×3, first 2 shown]
	v_subrev_nc_u32_e32 v0, s12, v0
	v_mov_b64_e32 v[22:23], 0
	v_mov_b64_e32 v[10:11], 0
	;; [unrolled: 1-line block ×4, first 2 shown]
	v_add_max_i32_e64 v0, v0, 8, v17
	s_mov_b32 s2, exec_lo
	s_delay_alu instid0(VALU_DEP_1) | instskip(NEXT) | instid1(VALU_DEP_1)
	v_add3_u32 v0, s12, v0, v1
	v_sub_nc_u32_e32 v30, v0, v27
	v_mov_b64_e32 v[0:1], 0
	s_delay_alu instid0(VALU_DEP_2) | instskip(NEXT) | instid1(VALU_DEP_1)
	v_and_b32_e32 v31, 24, v30
	v_cmpx_ne_u32_e32 24, v31
	s_cbranch_execz .LBB16_29
; %bb.26:
	v_lshrrev_b32_e32 v0, 3, v30
	v_mov_b64_e32 v[28:29], 0
	v_mov_b64_e32 v[20:21], 0
	;; [unrolled: 1-line block ×4, first 2 shown]
	v_add_nc_u32_e32 v12, 1, v0
	v_mov_b64_e32 v[0:1], 0
	v_mov_b64_e32 v[14:15], 0
	;; [unrolled: 1-line block ×3, first 2 shown]
	s_mov_b32 s6, 0
	v_and_b32_e32 v31, 3, v12
	v_mov_b64_e32 v[12:13], 0
	s_delay_alu instid0(VALU_DEP_2)
	v_sub_nc_u32_e32 v31, 0, v31
.LBB16_27:                              ; =>This Inner Loop Header: Depth=1
	global_load_b32 v48, v16, s[8:9] scale_offset
	s_clause 0x3
	global_load_b128 v[32:35], v[18:19], off offset:48
	global_load_b128 v[36:39], v[18:19], off offset:32
	;; [unrolled: 1-line block ×3, first 2 shown]
	global_load_b128 v[44:47], v[18:19], off
	v_add_co_u32 v31, s7, v31, 1
	s_or_b32 s6, s7, s6
	s_wait_xcnt 0x4
	v_add_nc_u32_e32 v16, 8, v16
	s_wait_loadcnt 0x4
	v_subrev_nc_u32_e32 v48, s12, v48
	s_delay_alu instid0(VALU_DEP_1)
	v_lshlrev_b32_e32 v108, 2, v48
	s_wait_kmcnt 0x0
	global_load_b128 v[48:51], v108, s[4:5] scale_offset
	s_clause 0x3
	global_load_b128 v[52:55], v[18:19], off offset:112
	global_load_b128 v[56:59], v[18:19], off offset:96
	;; [unrolled: 1-line block ×4, first 2 shown]
	global_load_b128 v[68:71], v108, s[4:5] offset:16 scale_offset
	s_clause 0x3
	global_load_b128 v[72:75], v[18:19], off offset:176
	global_load_b128 v[76:79], v[18:19], off offset:160
	;; [unrolled: 1-line block ×4, first 2 shown]
	s_clause 0x1
	global_load_b128 v[88:91], v108, s[4:5] offset:32 scale_offset
	global_load_b128 v[92:95], v108, s[4:5] offset:48 scale_offset
	s_clause 0x3
	global_load_b128 v[96:99], v[18:19], off offset:192
	global_load_b128 v[100:103], v[18:19], off offset:208
	;; [unrolled: 1-line block ×3, first 2 shown]
	; meta instruction
	global_load_b128 v[108:111], v[18:19], off offset:240
	s_wait_xcnt 0x0
	v_add_nc_u64_e32 v[18:19], 0x800, v[18:19]
	s_wait_loadcnt 0xf
	v_fmac_f64_e32 v[28:29], v[44:45], v[48:49]
	v_fmac_f64_e32 v[0:1], v[46:47], v[48:49]
	v_fmac_f64_e32 v[24:25], v[40:41], v[48:49]
	v_fmac_f64_e32 v[12:13], v[42:43], v[48:49]
	v_fmac_f64_e32 v[22:23], v[36:37], v[48:49]
	v_fmac_f64_e32 v[14:15], v[38:39], v[48:49]
	v_fmac_f64_e32 v[20:21], v[32:33], v[48:49]
	v_fmac_f64_e32 v[10:11], v[34:35], v[48:49]
	v_fma_f64 v[28:29], -v[46:47], v[50:51], v[28:29]
	v_fmac_f64_e32 v[0:1], v[44:45], v[50:51]
	v_fma_f64 v[24:25], -v[42:43], v[50:51], v[24:25]
	v_fmac_f64_e32 v[12:13], v[40:41], v[50:51]
	v_fma_f64 v[22:23], -v[38:39], v[50:51], v[22:23]
	v_fmac_f64_e32 v[14:15], v[36:37], v[50:51]
	v_fma_f64 v[20:21], -v[34:35], v[50:51], v[20:21]
	v_fmac_f64_e32 v[10:11], v[32:33], v[50:51]
	s_wait_loadcnt 0xa
	v_fmac_f64_e32 v[28:29], v[64:65], v[68:69]
	v_fmac_f64_e32 v[0:1], v[66:67], v[68:69]
	v_fmac_f64_e32 v[24:25], v[60:61], v[68:69]
	v_fmac_f64_e32 v[12:13], v[62:63], v[68:69]
	v_fmac_f64_e32 v[22:23], v[56:57], v[68:69]
	v_fmac_f64_e32 v[14:15], v[58:59], v[68:69]
	v_fmac_f64_e32 v[20:21], v[52:53], v[68:69]
	v_fmac_f64_e32 v[10:11], v[54:55], v[68:69]
	v_fma_f64 v[28:29], -v[66:67], v[70:71], v[28:29]
	v_fmac_f64_e32 v[0:1], v[64:65], v[70:71]
	v_fma_f64 v[24:25], -v[62:63], v[70:71], v[24:25]
	v_fmac_f64_e32 v[12:13], v[60:61], v[70:71]
	v_fma_f64 v[22:23], -v[58:59], v[70:71], v[22:23]
	v_fmac_f64_e32 v[14:15], v[56:57], v[70:71]
	v_fma_f64 v[20:21], -v[54:55], v[70:71], v[20:21]
	v_fmac_f64_e32 v[10:11], v[52:53], v[70:71]
	;; [unrolled: 17-line block ×3, first 2 shown]
	s_wait_loadcnt 0x3
	v_fmac_f64_e32 v[28:29], v[96:97], v[92:93]
	v_fmac_f64_e32 v[0:1], v[98:99], v[92:93]
	s_wait_loadcnt 0x2
	v_fmac_f64_e32 v[24:25], v[100:101], v[92:93]
	v_fmac_f64_e32 v[12:13], v[102:103], v[92:93]
	;; [unrolled: 3-line block ×4, first 2 shown]
	v_fma_f64 v[28:29], -v[98:99], v[94:95], v[28:29]
	v_fmac_f64_e32 v[0:1], v[96:97], v[94:95]
	v_fma_f64 v[24:25], -v[102:103], v[94:95], v[24:25]
	v_fmac_f64_e32 v[12:13], v[100:101], v[94:95]
	;; [unrolled: 2-line block ×4, first 2 shown]
	s_and_not1_b32 exec_lo, exec_lo, s6
	s_cbranch_execnz .LBB16_27
; %bb.28:
	s_or_b32 exec_lo, exec_lo, s6
.LBB16_29:
	s_delay_alu instid0(SALU_CYCLE_1) | instskip(NEXT) | instid1(SALU_CYCLE_1)
	s_or_b32 exec_lo, exec_lo, s2
	s_mov_b32 s2, exec_lo
	v_cmpx_lt_u32_e32 23, v30
	s_cbranch_execz .LBB16_33
; %bb.30:
	s_mov_b32 s6, 0
.LBB16_31:                              ; =>This Inner Loop Header: Depth=1
	global_load_b32 v118, v16, s[8:9] scale_offset
	s_clause 0xd
	global_load_b128 v[30:33], v[18:19], off offset:48
	global_load_b128 v[34:37], v[18:19], off offset:32
	;; [unrolled: 1-line block ×3, first 2 shown]
	global_load_b128 v[42:45], v[18:19], off
	global_load_b128 v[46:49], v[18:19], off offset:112
	global_load_b128 v[50:53], v[18:19], off offset:96
	;; [unrolled: 1-line block ×10, first 2 shown]
	s_clause 0x2
	global_load_b32 v130, v16, s[8:9] offset:32 scale_offset
	global_load_b32 v132, v16, s[8:9] offset:64 scale_offset
	;; [unrolled: 1-line block ×3, first 2 shown]
	s_clause 0x7
	global_load_b128 v[86:89], v[18:19], off offset:208
	global_load_b128 v[90:93], v[18:19], off offset:192
	;; [unrolled: 1-line block ×8, first 2 shown]
	s_wait_xcnt 0x8
	v_add_nc_u32_e32 v16, 32, v16
	s_delay_alu instid0(VALU_DEP_1) | instskip(SKIP_3) | instid1(VALU_DEP_1)
	v_cmp_ge_i32_e32 vcc_lo, v16, v17
	s_or_b32 s6, vcc_lo, s6
	s_wait_loadcnt 0x19
	v_subrev_nc_u32_e32 v118, s12, v118
	v_lshlrev_b32_e32 v131, 2, v118
	s_wait_kmcnt 0x0
	s_clause 0x1
	global_load_b128 v[118:121], v131, s[4:5] scale_offset
	global_load_b128 v[122:125], v131, s[4:5] offset:16 scale_offset
	s_wait_loadcnt 0xc
	v_subrev_nc_u32_e32 v130, s12, v130
	s_delay_alu instid0(VALU_DEP_1)
	v_lshlrev_b32_e32 v134, 2, v130
	s_wait_loadcnt 0x1
	v_fmac_f64_e32 v[28:29], v[42:43], v[118:119]
	v_fmac_f64_e32 v[0:1], v[44:45], v[118:119]
	;; [unrolled: 1-line block ×8, first 2 shown]
	v_fma_f64 v[126:127], -v[44:45], v[120:121], v[28:29]
	v_fmac_f64_e32 v[0:1], v[42:43], v[120:121]
	v_fma_f64 v[128:129], -v[40:41], v[120:121], v[24:25]
	v_fmac_f64_e32 v[12:13], v[38:39], v[120:121]
	;; [unrolled: 2-line block ×4, first 2 shown]
	s_clause 0x4
	global_load_b128 v[42:45], v[18:19], off offset:2128
	global_load_b128 v[38:41], v[18:19], off offset:2112
	;; [unrolled: 1-line block ×5, first 2 shown]
	s_wait_loadcnt 0x5
	v_fmac_f64_e32 v[126:127], v[58:59], v[122:123]
	v_fmac_f64_e32 v[0:1], v[60:61], v[122:123]
	;; [unrolled: 1-line block ×8, first 2 shown]
	v_fma_f64 v[126:127], -v[60:61], v[124:125], v[126:127]
	v_fmac_f64_e32 v[0:1], v[58:59], v[124:125]
	global_load_b128 v[58:61], v[18:19], off offset:2176
	v_fma_f64 v[128:129], -v[56:57], v[124:125], v[128:129]
	v_fmac_f64_e32 v[12:13], v[54:55], v[124:125]
	global_load_b128 v[54:57], v[18:19], off offset:2288
	v_fma_f64 v[36:37], -v[52:53], v[124:125], v[36:37]
	v_fmac_f64_e32 v[14:15], v[50:51], v[124:125]
	global_load_b128 v[50:53], v[18:19], off offset:2272
	v_fma_f64 v[20:21], -v[48:49], v[124:125], v[20:21]
	v_fmac_f64_e32 v[10:11], v[46:47], v[124:125]
	global_load_b128 v[46:49], v[18:19], off offset:2256
	s_clause 0x1
	global_load_b128 v[118:121], v131, s[4:5] offset:32 scale_offset
	global_load_b128 v[122:125], v131, s[4:5] offset:48 scale_offset
	s_wait_loadcnt 0x1
	v_fmac_f64_e32 v[126:127], v[74:75], v[118:119]
	v_fmac_f64_e32 v[0:1], v[76:77], v[118:119]
	;; [unrolled: 1-line block ×8, first 2 shown]
	v_fma_f64 v[126:127], -v[76:77], v[120:121], v[126:127]
	v_fmac_f64_e32 v[0:1], v[74:75], v[120:121]
	v_fma_f64 v[128:129], -v[72:73], v[120:121], v[128:129]
	v_fmac_f64_e32 v[12:13], v[70:71], v[120:121]
	v_fma_f64 v[36:37], -v[68:69], v[120:121], v[36:37]
	v_fmac_f64_e32 v[14:15], v[66:67], v[120:121]
	v_fma_f64 v[20:21], -v[64:65], v[120:121], v[20:21]
	v_fmac_f64_e32 v[10:11], v[62:63], v[120:121]
	s_clause 0x4
	global_load_b128 v[74:77], v[18:19], off offset:2240
	global_load_b128 v[66:69], v[18:19], off offset:4128
	;; [unrolled: 1-line block ×5, first 2 shown]
	s_wait_loadcnt 0x5
	v_fmac_f64_e32 v[126:127], v[90:91], v[122:123]
	v_fmac_f64_e32 v[0:1], v[92:93], v[122:123]
	;; [unrolled: 1-line block ×8, first 2 shown]
	v_fma_f64 v[126:127], -v[92:93], v[124:125], v[126:127]
	v_fmac_f64_e32 v[0:1], v[90:91], v[124:125]
	global_load_b128 v[90:93], v[18:19], off offset:4208
	v_fma_f64 v[128:129], -v[88:89], v[124:125], v[128:129]
	v_fmac_f64_e32 v[12:13], v[86:87], v[124:125]
	global_load_b128 v[86:89], v[18:19], off offset:4192
	;; [unrolled: 3-line block ×3, first 2 shown]
	v_fma_f64 v[20:21], -v[80:81], v[124:125], v[20:21]
	v_fmac_f64_e32 v[10:11], v[78:79], v[124:125]
	s_clause 0x1
	global_load_b128 v[78:81], v134, s[4:5] scale_offset
	global_load_b128 v[122:125], v134, s[4:5] offset:16 scale_offset
	s_wait_loadcnt 0x1
	v_fmac_f64_e32 v[126:127], v[106:107], v[78:79]
	v_fmac_f64_e32 v[0:1], v[108:109], v[78:79]
	;; [unrolled: 1-line block ×8, first 2 shown]
	v_fma_f64 v[126:127], -v[108:109], v[80:81], v[126:127]
	v_fmac_f64_e32 v[0:1], v[106:107], v[80:81]
	v_fma_f64 v[128:129], -v[104:105], v[80:81], v[128:129]
	v_fmac_f64_e32 v[12:13], v[102:103], v[80:81]
	;; [unrolled: 2-line block ×4, first 2 shown]
	s_clause 0x4
	global_load_b128 v[106:109], v[18:19], off offset:4160
	global_load_b128 v[98:101], v[18:19], off offset:4256
	;; [unrolled: 1-line block ×5, first 2 shown]
	s_wait_loadcnt 0x5
	v_fmac_f64_e32 v[126:127], v[38:39], v[122:123]
	v_fmac_f64_e32 v[0:1], v[40:41], v[122:123]
	;; [unrolled: 1-line block ×8, first 2 shown]
	v_fma_f64 v[126:127], -v[40:41], v[124:125], v[126:127]
	v_fmac_f64_e32 v[0:1], v[38:39], v[124:125]
	global_load_b128 v[36:39], v[18:19], off offset:4336
	v_fma_f64 v[44:45], -v[44:45], v[124:125], v[128:129]
	v_fmac_f64_e32 v[12:13], v[42:43], v[124:125]
	global_load_b128 v[40:43], v[18:19], off offset:4320
	;; [unrolled: 3-line block ×3, first 2 shown]
	v_fma_f64 v[20:21], -v[112:113], v[124:125], v[20:21]
	v_fmac_f64_e32 v[10:11], v[110:111], v[124:125]
	s_clause 0x1
	global_load_b128 v[110:113], v134, s[4:5] offset:32 scale_offset
	global_load_b128 v[122:125], v134, s[4:5] offset:48 scale_offset
	s_wait_loadcnt 0x1
	v_fmac_f64_e32 v[128:129], v[28:29], v[110:111]
	v_fmac_f64_e32 v[126:127], v[58:59], v[110:111]
	;; [unrolled: 1-line block ×8, first 2 shown]
	v_fma_f64 v[128:129], -v[30:31], v[112:113], v[128:129]
	v_fma_f64 v[126:127], -v[60:61], v[112:113], v[126:127]
	v_fmac_f64_e32 v[0:1], v[58:59], v[112:113]
	v_fma_f64 v[44:45], -v[34:35], v[112:113], v[44:45]
	v_fmac_f64_e32 v[12:13], v[32:33], v[112:113]
	v_fmac_f64_e32 v[14:15], v[28:29], v[112:113]
	v_fma_f64 v[24:25], -v[24:25], v[112:113], v[20:21]
	v_fmac_f64_e32 v[10:11], v[22:23], v[112:113]
	s_clause 0x4
	global_load_b128 v[58:61], v[18:19], off offset:4288
	global_load_b128 v[28:31], v[18:19], off offset:6176
	;; [unrolled: 1-line block ×5, first 2 shown]
	s_wait_loadcnt 0x5
	v_fmac_f64_e32 v[128:129], v[50:51], v[122:123]
	v_fmac_f64_e32 v[126:127], v[74:75], v[122:123]
	;; [unrolled: 1-line block ×8, first 2 shown]
	v_fma_f64 v[128:129], -v[52:53], v[124:125], v[128:129]
	v_subrev_nc_u32_e32 v52, s12, v132
	v_fma_f64 v[126:127], -v[76:77], v[124:125], v[126:127]
	v_fmac_f64_e32 v[0:1], v[74:75], v[124:125]
	global_load_b128 v[74:77], v[18:19], off offset:6256
	v_fma_f64 v[130:131], -v[48:49], v[124:125], v[44:45]
	v_lshlrev_b32_e32 v132, 2, v52
	v_fmac_f64_e32 v[12:13], v[46:47], v[124:125]
	global_load_b128 v[44:47], v[18:19], off offset:6240
	v_fmac_f64_e32 v[14:15], v[50:51], v[124:125]
	global_load_b128 v[48:51], v[18:19], off offset:6224
	v_fma_f64 v[24:25], -v[56:57], v[124:125], v[24:25]
	v_fmac_f64_e32 v[10:11], v[54:55], v[124:125]
	s_clause 0x1
	global_load_b128 v[52:55], v132, s[4:5] scale_offset
	global_load_b128 v[122:125], v132, s[4:5] offset:16 scale_offset
	s_wait_loadcnt 0x1
	v_fmac_f64_e32 v[126:127], v[118:119], v[52:53]
	v_fmac_f64_e32 v[128:129], v[66:67], v[52:53]
	;; [unrolled: 1-line block ×8, first 2 shown]
	v_fma_f64 v[56:57], -v[120:121], v[54:55], v[126:127]
	v_fma_f64 v[128:129], -v[68:69], v[54:55], v[128:129]
	v_fmac_f64_e32 v[14:15], v[66:67], v[54:55]
	global_load_b128 v[66:69], v132, s[4:5] offset:32 scale_offset
	v_fmac_f64_e32 v[0:1], v[118:119], v[54:55]
	global_load_b128 v[118:121], v[18:19], off offset:6208
	v_fma_f64 v[126:127], -v[64:65], v[54:55], v[130:131]
	v_fmac_f64_e32 v[12:13], v[62:63], v[54:55]
	global_load_b128 v[62:65], v[18:19], off offset:6320
	v_fma_f64 v[24:25], -v[72:73], v[54:55], v[24:25]
	v_fmac_f64_e32 v[10:11], v[70:71], v[54:55]
	global_load_b128 v[52:55], v[18:19], off offset:6304
	global_load_b128 v[70:73], v132, s[4:5] offset:48 scale_offset
	v_subrev_nc_u32_e32 v130, s12, v133
	s_delay_alu instid0(VALU_DEP_1)
	v_lshlrev_b32_e32 v130, 2, v130
	s_wait_loadcnt 0x5
	v_fmac_f64_e32 v[56:57], v[106:107], v[122:123]
	v_fmac_f64_e32 v[128:129], v[86:87], v[122:123]
	;; [unrolled: 1-line block ×8, first 2 shown]
	v_fma_f64 v[56:57], -v[108:109], v[124:125], v[56:57]
	v_fma_f64 v[128:129], -v[88:89], v[124:125], v[128:129]
	v_fmac_f64_e32 v[14:15], v[86:87], v[124:125]
	global_load_b128 v[86:89], v[18:19], off offset:6272
	v_fmac_f64_e32 v[0:1], v[106:107], v[124:125]
	global_load_b128 v[106:109], v[18:19], off offset:6288
	v_fma_f64 v[126:127], -v[84:85], v[124:125], v[126:127]
	v_fmac_f64_e32 v[12:13], v[82:83], v[124:125]
	global_load_b128 v[82:85], v130, s[4:5] scale_offset
	v_fma_f64 v[24:25], -v[92:93], v[124:125], v[24:25]
	v_fmac_f64_e32 v[10:11], v[90:91], v[124:125]
	global_load_b128 v[90:93], v[18:19], off offset:6352
	global_load_b128 v[122:125], v130, s[4:5] offset:16 scale_offset
	s_wait_loadcnt 0x9
	v_fmac_f64_e32 v[56:57], v[94:95], v[66:67]
	v_fmac_f64_e32 v[0:1], v[96:97], v[66:67]
	;; [unrolled: 1-line block ×8, first 2 shown]
	v_fma_f64 v[56:57], -v[96:97], v[68:69], v[56:57]
	v_fmac_f64_e32 v[0:1], v[94:95], v[68:69]
	global_load_b128 v[94:97], v130, s[4:5] offset:48 scale_offset
	v_fma_f64 v[126:127], -v[80:81], v[68:69], v[126:127]
	v_fmac_f64_e32 v[12:13], v[78:79], v[68:69]
	global_load_b128 v[78:81], v130, s[4:5] offset:32 scale_offset
	v_fma_f64 v[128:129], -v[100:101], v[68:69], v[128:129]
	v_fmac_f64_e32 v[14:15], v[98:99], v[68:69]
	global_load_b128 v[98:101], v[18:19], off offset:6336
	v_fma_f64 v[24:25], -v[104:105], v[68:69], v[24:25]
	v_fmac_f64_e32 v[10:11], v[102:103], v[68:69]
	s_clause 0x1
	global_load_b128 v[66:69], v[18:19], off offset:6368
	global_load_b128 v[102:105], v[18:19], off offset:6384
	s_wait_xcnt 0x0
	v_add_nc_u64_e32 v[18:19], 0x2000, v[18:19]
	s_wait_loadcnt 0xa
	v_fmac_f64_e32 v[56:57], v[58:59], v[70:71]
	v_fmac_f64_e32 v[0:1], v[60:61], v[70:71]
	v_fmac_f64_e32 v[126:127], v[114:115], v[70:71]
	v_fmac_f64_e32 v[12:13], v[116:117], v[70:71]
	v_fmac_f64_e32 v[128:129], v[40:41], v[70:71]
	v_fmac_f64_e32 v[14:15], v[42:43], v[70:71]
	v_fmac_f64_e32 v[24:25], v[36:37], v[70:71]
	v_fmac_f64_e32 v[10:11], v[38:39], v[70:71]
	v_fma_f64 v[56:57], -v[60:61], v[72:73], v[56:57]
	v_fmac_f64_e32 v[0:1], v[58:59], v[72:73]
	v_fma_f64 v[58:59], -v[116:117], v[72:73], v[126:127]
	v_fmac_f64_e32 v[12:13], v[114:115], v[72:73]
	v_fma_f64 v[42:43], -v[42:43], v[72:73], v[128:129]
	v_fmac_f64_e32 v[14:15], v[40:41], v[72:73]
	v_fma_f64 v[24:25], -v[38:39], v[72:73], v[24:25]
	v_fmac_f64_e32 v[10:11], v[36:37], v[72:73]
	s_wait_loadcnt 0x7
	v_fmac_f64_e32 v[56:57], v[110:111], v[82:83]
	v_fmac_f64_e32 v[0:1], v[112:113], v[82:83]
	v_fmac_f64_e32 v[58:59], v[20:21], v[82:83]
	v_fmac_f64_e32 v[12:13], v[22:23], v[82:83]
	v_fmac_f64_e32 v[42:43], v[28:29], v[82:83]
	v_fmac_f64_e32 v[14:15], v[30:31], v[82:83]
	v_fmac_f64_e32 v[24:25], v[32:33], v[82:83]
	v_fmac_f64_e32 v[10:11], v[34:35], v[82:83]
	v_fma_f64 v[36:37], -v[112:113], v[84:85], v[56:57]
	v_fmac_f64_e32 v[0:1], v[110:111], v[84:85]
	v_fma_f64 v[22:23], -v[22:23], v[84:85], v[58:59]
	v_fmac_f64_e32 v[12:13], v[20:21], v[84:85]
	v_fma_f64 v[20:21], -v[30:31], v[84:85], v[42:43]
	v_fmac_f64_e32 v[14:15], v[28:29], v[84:85]
	v_fma_f64 v[24:25], -v[34:35], v[84:85], v[24:25]
	v_fmac_f64_e32 v[10:11], v[32:33], v[84:85]
	;; [unrolled: 17-line block ×4, first 2 shown]
	s_wait_loadcnt 0x2
	v_fmac_f64_e32 v[28:29], v[98:99], v[94:95]
	v_fmac_f64_e32 v[0:1], v[100:101], v[94:95]
	;; [unrolled: 1-line block ×4, first 2 shown]
	s_wait_loadcnt 0x1
	v_fmac_f64_e32 v[20:21], v[66:67], v[94:95]
	v_fmac_f64_e32 v[14:15], v[68:69], v[94:95]
	s_wait_loadcnt 0x0
	v_fmac_f64_e32 v[30:31], v[102:103], v[94:95]
	v_fmac_f64_e32 v[10:11], v[104:105], v[94:95]
	v_fma_f64 v[28:29], -v[100:101], v[96:97], v[28:29]
	v_fmac_f64_e32 v[0:1], v[98:99], v[96:97]
	v_fma_f64 v[24:25], -v[92:93], v[96:97], v[22:23]
	;; [unrolled: 2-line block ×4, first 2 shown]
	v_fmac_f64_e32 v[10:11], v[102:103], v[96:97]
	s_and_not1_b32 exec_lo, exec_lo, s6
	s_cbranch_execnz .LBB16_31
; %bb.32:
	s_or_b32 exec_lo, exec_lo, s6
.LBB16_33:
	s_delay_alu instid0(SALU_CYCLE_1)
	s_or_b32 exec_lo, exec_lo, s2
.LBB16_34:
	s_delay_alu instid0(SALU_CYCLE_1)
	s_or_b32 exec_lo, exec_lo, s3
.LBB16_35:
	v_mbcnt_lo_u32_b32 v44, -1, 0
	s_delay_alu instid0(VALU_DEP_1) | instskip(NEXT) | instid1(VALU_DEP_1)
	v_xor_b32_e32 v16, 4, v44
	v_cmp_gt_i32_e32 vcc_lo, 32, v16
	v_cndmask_b32_e32 v16, v44, v16, vcc_lo
	s_delay_alu instid0(VALU_DEP_1)
	v_lshlrev_b32_e32 v41, 2, v16
	ds_bpermute_b32 v30, v41, v24
	ds_bpermute_b32 v31, v41, v25
	s_wait_dscnt 0x0
	v_add_f64_e32 v[24:25], v[24:25], v[30:31]
	ds_bpermute_b32 v18, v41, v0
	ds_bpermute_b32 v19, v41, v1
	;; [unrolled: 1-line block ×14, first 2 shown]
	s_wait_dscnt 0xc
	v_dual_add_f64 v[18:19], v[0:1], v[18:19] :: v_dual_bitop2_b32 v0, 2, v44 bitop3:0x14
	s_wait_dscnt 0xa
	v_add_f64_e32 v[12:13], v[12:13], v[32:33]
	s_wait_dscnt 0x8
	v_add_f64_e32 v[14:15], v[14:15], v[36:37]
	;; [unrolled: 2-line block ×3, first 2 shown]
	v_cmp_gt_i32_e32 vcc_lo, 32, v0
	s_wait_dscnt 0x4
	v_add_f64_e32 v[16:17], v[28:29], v[16:17]
	s_wait_dscnt 0x2
	v_add_f64_e32 v[30:31], v[22:23], v[34:35]
	;; [unrolled: 2-line block ×3, first 2 shown]
	v_cndmask_b32_e32 v0, v44, v0, vcc_lo
	s_delay_alu instid0(VALU_DEP_1)
	v_lshlrev_b32_e32 v28, 2, v0
	ds_bpermute_b32 v22, v28, v24
	ds_bpermute_b32 v23, v28, v25
	;; [unrolled: 1-line block ×16, first 2 shown]
	s_wait_dscnt 0xc
	v_add_f64_e32 v[28:29], v[18:19], v[10:11]
	v_add_f64_e32 v[10:11], v[24:25], v[22:23]
	s_wait_dscnt 0xa
	v_add_f64_e32 v[22:23], v[12:13], v[34:35]
	s_wait_dscnt 0x8
	;; [unrolled: 2-line block ×3, first 2 shown]
	v_add_f64_e32 v[14:15], v[20:21], v[40:41]
	v_xor_b32_e32 v20, 1, v44
	s_wait_dscnt 0x4
	v_add_f64_e32 v[0:1], v[16:17], v[0:1]
	s_wait_dscnt 0x2
	v_add_f64_e32 v[12:13], v[30:31], v[36:37]
	v_cmp_gt_i32_e32 vcc_lo, 32, v20
	v_cndmask_b32_e32 v20, v44, v20, vcc_lo
	s_wait_dscnt 0x0
	v_add_f64_e32 v[16:17], v[32:33], v[42:43]
	v_cmp_eq_u32_e32 vcc_lo, 7, v27
	s_delay_alu instid0(VALU_DEP_3)
	v_lshlrev_b32_e32 v35, 2, v20
	ds_bpermute_b32 v40, v35, v28
	ds_bpermute_b32 v41, v35, v29
	;; [unrolled: 1-line block ×16, first 2 shown]
	s_and_b32 exec_lo, exec_lo, vcc_lo
	s_cbranch_execz .LBB16_8
; %bb.36:
	s_wait_dscnt 0xe
	v_add_f64_e32 v[28:29], v[28:29], v[40:41]
	s_wait_dscnt 0xa
	v_add_f64_e32 v[38:39], v[22:23], v[38:39]
	;; [unrolled: 2-line block ×4, first 2 shown]
	v_add_f64_e32 v[0:1], v[0:1], v[20:21]
	v_add_f64_e32 v[40:41], v[10:11], v[24:25]
	;; [unrolled: 1-line block ×4, first 2 shown]
	v_cmp_eq_f64_e32 vcc_lo, 0, v[2:3]
	v_cmp_eq_f64_e64 s2, 0, v[4:5]
	s_load_b64 s[0:1], s[0:1], 0x60
	v_mul_f64_e64 v[22:23], v[28:29], -v[8:9]
	v_mul_f64_e32 v[24:25], v[6:7], v[28:29]
	v_mul_f64_e64 v[18:19], v[38:39], -v[8:9]
	v_mul_f64_e32 v[20:21], v[6:7], v[38:39]
	;; [unrolled: 2-line block ×4, first 2 shown]
	s_and_b32 s2, vcc_lo, s2
	v_fmac_f64_e32 v[22:23], v[6:7], v[0:1]
	v_fmac_f64_e32 v[24:25], v[8:9], v[0:1]
	;; [unrolled: 1-line block ×8, first 2 shown]
	v_lshlrev_b32_e32 v0, 2, v26
	s_and_saveexec_b32 s3, s2
	s_delay_alu instid0(SALU_CYCLE_1)
	s_xor_b32 s2, exec_lo, s3
	s_cbranch_execz .LBB16_38
; %bb.37:
	s_wait_kmcnt 0x0
	s_clause 0x3
	global_store_b128 v0, v[22:25], s[0:1] scale_offset
	global_store_b128 v0, v[18:21], s[0:1] offset:16 scale_offset
	global_store_b128 v0, v[14:17], s[0:1] offset:32 scale_offset
	;; [unrolled: 1-line block ×3, first 2 shown]
                                        ; implicit-def: $vgpr4_vgpr5
                                        ; implicit-def: $vgpr22_vgpr23
                                        ; implicit-def: $vgpr0
                                        ; implicit-def: $vgpr18_vgpr19
                                        ; implicit-def: $vgpr14_vgpr15
                                        ; implicit-def: $vgpr10_vgpr11
.LBB16_38:
	s_wait_xcnt 0x0
	s_and_not1_saveexec_b32 s2, s2
	s_cbranch_execz .LBB16_8
; %bb.39:
	s_wait_kmcnt 0x0
	s_clause 0x3
	global_load_b128 v[6:9], v0, s[0:1] scale_offset
	global_load_b128 v[26:29], v0, s[0:1] offset:16 scale_offset
	global_load_b128 v[30:33], v0, s[0:1] offset:32 scale_offset
	;; [unrolled: 1-line block ×3, first 2 shown]
	s_wait_loadcnt 0x3
	v_fmac_f64_e32 v[22:23], v[2:3], v[6:7]
	v_fmac_f64_e32 v[24:25], v[4:5], v[6:7]
	s_wait_loadcnt 0x2
	v_fmac_f64_e32 v[18:19], v[2:3], v[26:27]
	v_fmac_f64_e32 v[20:21], v[4:5], v[26:27]
	;; [unrolled: 3-line block ×4, first 2 shown]
	v_fma_f64 v[22:23], -v[4:5], v[8:9], v[22:23]
	v_fmac_f64_e32 v[24:25], v[2:3], v[8:9]
	v_fma_f64 v[18:19], -v[4:5], v[28:29], v[18:19]
	v_fmac_f64_e32 v[20:21], v[2:3], v[28:29]
	;; [unrolled: 2-line block ×4, first 2 shown]
	s_clause 0x3
	global_store_b128 v0, v[22:25], s[0:1] scale_offset
	global_store_b128 v0, v[18:21], s[0:1] offset:16 scale_offset
	global_store_b128 v0, v[14:17], s[0:1] offset:32 scale_offset
	global_store_b128 v0, v[10:13], s[0:1] offset:48 scale_offset
	s_sendmsg sendmsg(MSG_DEALLOC_VGPRS)
	s_endpgm
	.section	.rodata,"a",@progbits
	.p2align	6, 0x0
	.amdhsa_kernel _ZN9rocsparseL18bsrxmvn_4x4_kernelILj128ELj8E21rocsparse_complex_numIdEiiS2_S2_S2_EEvT3_20rocsparse_direction_NS_24const_host_device_scalarIT1_EES3_PKS3_PKT2_SC_S9_PKT4_PKT5_S7_PT6_21rocsparse_index_base_b
		.amdhsa_group_segment_fixed_size 0
		.amdhsa_private_segment_fixed_size 0
		.amdhsa_kernarg_size 112
		.amdhsa_user_sgpr_count 2
		.amdhsa_user_sgpr_dispatch_ptr 0
		.amdhsa_user_sgpr_queue_ptr 0
		.amdhsa_user_sgpr_kernarg_segment_ptr 1
		.amdhsa_user_sgpr_dispatch_id 0
		.amdhsa_user_sgpr_kernarg_preload_length 0
		.amdhsa_user_sgpr_kernarg_preload_offset 0
		.amdhsa_user_sgpr_private_segment_size 0
		.amdhsa_wavefront_size32 1
		.amdhsa_uses_dynamic_stack 0
		.amdhsa_enable_private_segment 0
		.amdhsa_system_sgpr_workgroup_id_x 1
		.amdhsa_system_sgpr_workgroup_id_y 0
		.amdhsa_system_sgpr_workgroup_id_z 0
		.amdhsa_system_sgpr_workgroup_info 0
		.amdhsa_system_vgpr_workitem_id 0
		.amdhsa_next_free_vgpr 158
		.amdhsa_next_free_sgpr 14
		.amdhsa_named_barrier_count 0
		.amdhsa_reserve_vcc 1
		.amdhsa_float_round_mode_32 0
		.amdhsa_float_round_mode_16_64 0
		.amdhsa_float_denorm_mode_32 3
		.amdhsa_float_denorm_mode_16_64 3
		.amdhsa_fp16_overflow 0
		.amdhsa_memory_ordered 1
		.amdhsa_forward_progress 1
		.amdhsa_inst_pref_size 66
		.amdhsa_round_robin_scheduling 0
		.amdhsa_exception_fp_ieee_invalid_op 0
		.amdhsa_exception_fp_denorm_src 0
		.amdhsa_exception_fp_ieee_div_zero 0
		.amdhsa_exception_fp_ieee_overflow 0
		.amdhsa_exception_fp_ieee_underflow 0
		.amdhsa_exception_fp_ieee_inexact 0
		.amdhsa_exception_int_div_zero 0
	.end_amdhsa_kernel
	.section	.text._ZN9rocsparseL18bsrxmvn_4x4_kernelILj128ELj8E21rocsparse_complex_numIdEiiS2_S2_S2_EEvT3_20rocsparse_direction_NS_24const_host_device_scalarIT1_EES3_PKS3_PKT2_SC_S9_PKT4_PKT5_S7_PT6_21rocsparse_index_base_b,"axG",@progbits,_ZN9rocsparseL18bsrxmvn_4x4_kernelILj128ELj8E21rocsparse_complex_numIdEiiS2_S2_S2_EEvT3_20rocsparse_direction_NS_24const_host_device_scalarIT1_EES3_PKS3_PKT2_SC_S9_PKT4_PKT5_S7_PT6_21rocsparse_index_base_b,comdat
.Lfunc_end16:
	.size	_ZN9rocsparseL18bsrxmvn_4x4_kernelILj128ELj8E21rocsparse_complex_numIdEiiS2_S2_S2_EEvT3_20rocsparse_direction_NS_24const_host_device_scalarIT1_EES3_PKS3_PKT2_SC_S9_PKT4_PKT5_S7_PT6_21rocsparse_index_base_b, .Lfunc_end16-_ZN9rocsparseL18bsrxmvn_4x4_kernelILj128ELj8E21rocsparse_complex_numIdEiiS2_S2_S2_EEvT3_20rocsparse_direction_NS_24const_host_device_scalarIT1_EES3_PKS3_PKT2_SC_S9_PKT4_PKT5_S7_PT6_21rocsparse_index_base_b
                                        ; -- End function
	.set _ZN9rocsparseL18bsrxmvn_4x4_kernelILj128ELj8E21rocsparse_complex_numIdEiiS2_S2_S2_EEvT3_20rocsparse_direction_NS_24const_host_device_scalarIT1_EES3_PKS3_PKT2_SC_S9_PKT4_PKT5_S7_PT6_21rocsparse_index_base_b.num_vgpr, 158
	.set _ZN9rocsparseL18bsrxmvn_4x4_kernelILj128ELj8E21rocsparse_complex_numIdEiiS2_S2_S2_EEvT3_20rocsparse_direction_NS_24const_host_device_scalarIT1_EES3_PKS3_PKT2_SC_S9_PKT4_PKT5_S7_PT6_21rocsparse_index_base_b.num_agpr, 0
	.set _ZN9rocsparseL18bsrxmvn_4x4_kernelILj128ELj8E21rocsparse_complex_numIdEiiS2_S2_S2_EEvT3_20rocsparse_direction_NS_24const_host_device_scalarIT1_EES3_PKS3_PKT2_SC_S9_PKT4_PKT5_S7_PT6_21rocsparse_index_base_b.numbered_sgpr, 14
	.set _ZN9rocsparseL18bsrxmvn_4x4_kernelILj128ELj8E21rocsparse_complex_numIdEiiS2_S2_S2_EEvT3_20rocsparse_direction_NS_24const_host_device_scalarIT1_EES3_PKS3_PKT2_SC_S9_PKT4_PKT5_S7_PT6_21rocsparse_index_base_b.num_named_barrier, 0
	.set _ZN9rocsparseL18bsrxmvn_4x4_kernelILj128ELj8E21rocsparse_complex_numIdEiiS2_S2_S2_EEvT3_20rocsparse_direction_NS_24const_host_device_scalarIT1_EES3_PKS3_PKT2_SC_S9_PKT4_PKT5_S7_PT6_21rocsparse_index_base_b.private_seg_size, 0
	.set _ZN9rocsparseL18bsrxmvn_4x4_kernelILj128ELj8E21rocsparse_complex_numIdEiiS2_S2_S2_EEvT3_20rocsparse_direction_NS_24const_host_device_scalarIT1_EES3_PKS3_PKT2_SC_S9_PKT4_PKT5_S7_PT6_21rocsparse_index_base_b.uses_vcc, 1
	.set _ZN9rocsparseL18bsrxmvn_4x4_kernelILj128ELj8E21rocsparse_complex_numIdEiiS2_S2_S2_EEvT3_20rocsparse_direction_NS_24const_host_device_scalarIT1_EES3_PKS3_PKT2_SC_S9_PKT4_PKT5_S7_PT6_21rocsparse_index_base_b.uses_flat_scratch, 0
	.set _ZN9rocsparseL18bsrxmvn_4x4_kernelILj128ELj8E21rocsparse_complex_numIdEiiS2_S2_S2_EEvT3_20rocsparse_direction_NS_24const_host_device_scalarIT1_EES3_PKS3_PKT2_SC_S9_PKT4_PKT5_S7_PT6_21rocsparse_index_base_b.has_dyn_sized_stack, 0
	.set _ZN9rocsparseL18bsrxmvn_4x4_kernelILj128ELj8E21rocsparse_complex_numIdEiiS2_S2_S2_EEvT3_20rocsparse_direction_NS_24const_host_device_scalarIT1_EES3_PKS3_PKT2_SC_S9_PKT4_PKT5_S7_PT6_21rocsparse_index_base_b.has_recursion, 0
	.set _ZN9rocsparseL18bsrxmvn_4x4_kernelILj128ELj8E21rocsparse_complex_numIdEiiS2_S2_S2_EEvT3_20rocsparse_direction_NS_24const_host_device_scalarIT1_EES3_PKS3_PKT2_SC_S9_PKT4_PKT5_S7_PT6_21rocsparse_index_base_b.has_indirect_call, 0
	.section	.AMDGPU.csdata,"",@progbits
; Kernel info:
; codeLenInByte = 8440
; TotalNumSgprs: 16
; NumVgprs: 158
; ScratchSize: 0
; MemoryBound: 1
; FloatMode: 240
; IeeeMode: 1
; LDSByteSize: 0 bytes/workgroup (compile time only)
; SGPRBlocks: 0
; VGPRBlocks: 9
; NumSGPRsForWavesPerEU: 16
; NumVGPRsForWavesPerEU: 158
; NamedBarCnt: 0
; Occupancy: 6
; WaveLimiterHint : 1
; COMPUTE_PGM_RSRC2:SCRATCH_EN: 0
; COMPUTE_PGM_RSRC2:USER_SGPR: 2
; COMPUTE_PGM_RSRC2:TRAP_HANDLER: 0
; COMPUTE_PGM_RSRC2:TGID_X_EN: 1
; COMPUTE_PGM_RSRC2:TGID_Y_EN: 0
; COMPUTE_PGM_RSRC2:TGID_Z_EN: 0
; COMPUTE_PGM_RSRC2:TIDIG_COMP_CNT: 0
	.section	.text._ZN9rocsparseL18bsrxmvn_4x4_kernelILj128ELj16E21rocsparse_complex_numIdEiiS2_S2_S2_EEvT3_20rocsparse_direction_NS_24const_host_device_scalarIT1_EES3_PKS3_PKT2_SC_S9_PKT4_PKT5_S7_PT6_21rocsparse_index_base_b,"axG",@progbits,_ZN9rocsparseL18bsrxmvn_4x4_kernelILj128ELj16E21rocsparse_complex_numIdEiiS2_S2_S2_EEvT3_20rocsparse_direction_NS_24const_host_device_scalarIT1_EES3_PKS3_PKT2_SC_S9_PKT4_PKT5_S7_PT6_21rocsparse_index_base_b,comdat
	.globl	_ZN9rocsparseL18bsrxmvn_4x4_kernelILj128ELj16E21rocsparse_complex_numIdEiiS2_S2_S2_EEvT3_20rocsparse_direction_NS_24const_host_device_scalarIT1_EES3_PKS3_PKT2_SC_S9_PKT4_PKT5_S7_PT6_21rocsparse_index_base_b ; -- Begin function _ZN9rocsparseL18bsrxmvn_4x4_kernelILj128ELj16E21rocsparse_complex_numIdEiiS2_S2_S2_EEvT3_20rocsparse_direction_NS_24const_host_device_scalarIT1_EES3_PKS3_PKT2_SC_S9_PKT4_PKT5_S7_PT6_21rocsparse_index_base_b
	.p2align	8
	.type	_ZN9rocsparseL18bsrxmvn_4x4_kernelILj128ELj16E21rocsparse_complex_numIdEiiS2_S2_S2_EEvT3_20rocsparse_direction_NS_24const_host_device_scalarIT1_EES3_PKS3_PKT2_SC_S9_PKT4_PKT5_S7_PT6_21rocsparse_index_base_b,@function
_ZN9rocsparseL18bsrxmvn_4x4_kernelILj128ELj16E21rocsparse_complex_numIdEiiS2_S2_S2_EEvT3_20rocsparse_direction_NS_24const_host_device_scalarIT1_EES3_PKS3_PKT2_SC_S9_PKT4_PKT5_S7_PT6_21rocsparse_index_base_b: ; @_ZN9rocsparseL18bsrxmvn_4x4_kernelILj128ELj16E21rocsparse_complex_numIdEiiS2_S2_S2_EEvT3_20rocsparse_direction_NS_24const_host_device_scalarIT1_EES3_PKS3_PKT2_SC_S9_PKT4_PKT5_S7_PT6_21rocsparse_index_base_b
; %bb.0:
	s_clause 0x1
	s_load_b64 s[12:13], s[0:1], 0x68
	s_load_b64 s[2:3], s[0:1], 0x8
	v_mov_b32_e32 v1, 0
	s_add_nc_u64 s[4:5], s[0:1], 8
	s_load_b64 s[6:7], s[0:1], 0x50
	s_wait_kmcnt 0x0
	s_bitcmp1_b32 s13, 0
	s_cselect_b32 s3, s5, s3
	s_cselect_b32 s2, s4, s2
	flat_load_b128 v[6:9], v1, s[2:3]
	s_wait_xcnt 0x0
	s_add_nc_u64 s[2:3], s[0:1], 0x50
	s_delay_alu instid0(SALU_CYCLE_1)
	s_cselect_b32 s3, s3, s7
	s_cselect_b32 s2, s2, s6
	flat_load_b128 v[2:5], v1, s[2:3]
	s_wait_loadcnt_dscnt 0x101
	v_cmp_eq_f64_e32 vcc_lo, 0, v[6:7]
	s_wait_xcnt 0x0
	v_cmp_eq_f64_e64 s2, 0, v[8:9]
	s_and_b32 s4, vcc_lo, s2
	s_mov_b32 s2, -1
	s_and_saveexec_b32 s3, s4
	s_cbranch_execz .LBB17_2
; %bb.1:
	s_wait_loadcnt_dscnt 0x0
	v_cmp_neq_f64_e32 vcc_lo, 1.0, v[2:3]
	v_cmp_neq_f64_e64 s2, 0, v[4:5]
	s_or_b32 s2, vcc_lo, s2
	s_delay_alu instid0(SALU_CYCLE_1)
	s_or_not1_b32 s2, s2, exec_lo
.LBB17_2:
	s_or_b32 exec_lo, exec_lo, s3
	s_and_saveexec_b32 s3, s2
	s_cbranch_execz .LBB17_8
; %bb.3:
	s_clause 0x1
	s_load_b64 s[4:5], s[0:1], 0x20
	s_load_b64 s[2:3], s[0:1], 0x0
	s_bfe_u32 s6, ttmp6, 0x4000c
	s_and_b32 s7, ttmp6, 15
	s_add_co_i32 s6, s6, 1
	s_getreg_b32 s8, hwreg(HW_REG_IB_STS2, 6, 4)
	s_mul_i32 s6, ttmp9, s6
	v_lshrrev_b32_e32 v1, 4, v0
	s_add_co_i32 s7, s7, s6
	s_cmp_eq_u32 s8, 0
	s_cselect_b32 s6, ttmp9, s7
	s_delay_alu instid0(VALU_DEP_1) | instid1(SALU_CYCLE_1)
	v_lshl_or_b32 v26, s6, 3, v1
	s_mov_b32 s6, 0
	s_wait_kmcnt 0x0
	s_cmp_lg_u64 s[4:5], 0
	s_cbranch_scc0 .LBB17_9
; %bb.4:
	s_load_b32 s6, s[0:1], 0x18
	s_mov_b32 s7, 0
                                        ; implicit-def: $vgpr1
	s_wait_kmcnt 0x0
	v_cmp_gt_i32_e32 vcc_lo, s6, v26
	s_mov_b32 s6, 0
	s_and_saveexec_b32 s8, vcc_lo
	s_delay_alu instid0(SALU_CYCLE_1)
	s_xor_b32 s8, exec_lo, s8
	s_cbranch_execz .LBB17_6
; %bb.5:
	global_load_b32 v1, v26, s[4:5] scale_offset
	s_mov_b32 s6, exec_lo
	s_wait_loadcnt 0x0
	v_subrev_nc_u32_e32 v1, s12, v1
.LBB17_6:
	s_or_b32 exec_lo, exec_lo, s8
	s_delay_alu instid0(SALU_CYCLE_1)
	s_and_b32 vcc_lo, exec_lo, s7
	s_cbranch_vccz .LBB17_10
.LBB17_7:
	v_cmp_gt_i32_e32 vcc_lo, s2, v26
	s_and_not1_b32 s2, s6, exec_lo
	s_and_b32 s4, vcc_lo, exec_lo
	s_delay_alu instid0(SALU_CYCLE_1) | instskip(NEXT) | instid1(SALU_CYCLE_1)
	s_or_b32 s6, s2, s4
	s_and_b32 exec_lo, exec_lo, s6
	s_cbranch_execnz .LBB17_11
.LBB17_8:
	s_sendmsg sendmsg(MSG_DEALLOC_VGPRS)
	s_endpgm
.LBB17_9:
                                        ; implicit-def: $vgpr1
	s_cbranch_execnz .LBB17_7
.LBB17_10:
	s_delay_alu instid0(VALU_DEP_1)
	v_mov_b32_e32 v26, v1
	s_and_b32 exec_lo, exec_lo, s6
	s_cbranch_execz .LBB17_8
.LBB17_11:
	s_load_b256 s[4:11], s[0:1], 0x28
	s_wait_kmcnt 0x0
	global_load_b32 v32, v26, s[4:5] scale_offset
	s_cmp_eq_u64 s[6:7], 0
	s_cselect_b32 vcc_lo, -1, 0
	v_ashrrev_i32_e32 v27, 31, v26
	s_cmp_eq_u32 s3, 1
	s_delay_alu instid0(VALU_DEP_1) | instskip(SKIP_1) | instid1(VALU_DEP_2)
	v_lshlrev_b64_e32 v[10:11], 2, v[26:27]
	v_and_b32_e32 v27, 15, v0
	v_add_nc_u64_e32 v[12:13], s[4:5], v[10:11]
	v_add_nc_u64_e32 v[10:11], s[6:7], v[10:11]
	s_wait_xcnt 0x0
	s_load_b64 s[4:5], s[0:1], 0x48
	s_delay_alu instid0(VALU_DEP_2) | instskip(NEXT) | instid1(VALU_DEP_1)
	v_add_nc_u64_e32 v[12:13], 4, v[12:13]
	v_cndmask_b32_e32 v11, v11, v13, vcc_lo
	s_wait_loadcnt 0x0
	v_subrev_nc_u32_e32 v0, s12, v32
	s_delay_alu instid0(VALU_DEP_1) | instskip(SKIP_2) | instid1(VALU_DEP_1)
	v_dual_cndmask_b32 v10, v10, v12, vcc_lo :: v_dual_add_nc_u32 v16, v0, v27
	global_load_b32 v10, v[10:11], off
	v_ashrrev_i32_e32 v17, 31, v16
	v_lshlrev_b64_e32 v[0:1], 8, v[16:17]
	s_delay_alu instid0(VALU_DEP_1) | instskip(SKIP_2) | instid1(VALU_DEP_1)
	v_add_nc_u64_e32 v[18:19], s[10:11], v[0:1]
	s_wait_loadcnt 0x0
	v_subrev_nc_u32_e32 v17, s12, v10
	v_cmp_lt_i32_e64 s2, v16, v17
	s_cbranch_scc1 .LBB17_23
; %bb.12:
	v_mov_b64_e32 v[0:1], 0
	v_mov_b64_e32 v[28:29], 0
	;; [unrolled: 1-line block ×8, first 2 shown]
	s_and_saveexec_b32 s3, s2
	s_cbranch_execz .LBB17_22
; %bb.13:
	v_add_nc_u32_e32 v0, v32, v27
	v_not_b32_e32 v1, v32
	v_mov_b64_e32 v[12:13], 0
	v_mov_b64_e32 v[24:25], 0
	;; [unrolled: 1-line block ×3, first 2 shown]
	v_subrev_nc_u32_e32 v0, s12, v0
	v_mov_b64_e32 v[22:23], 0
	v_mov_b64_e32 v[10:11], 0
	;; [unrolled: 1-line block ×4, first 2 shown]
	v_add_max_i32_e64 v0, v0, 16, v17
	v_mov_b64_e32 v[30:31], v[18:19]
	s_delay_alu instid0(VALU_DEP_2) | instskip(NEXT) | instid1(VALU_DEP_1)
	v_add3_u32 v0, s12, v0, v1
	v_sub_nc_u32_e32 v34, v0, v27
	v_mov_b64_e32 v[0:1], 0
	s_delay_alu instid0(VALU_DEP_2) | instskip(NEXT) | instid1(VALU_DEP_1)
	v_and_b32_e32 v33, 48, v34
	v_cmp_ne_u32_e32 vcc_lo, 48, v33
	v_mov_b32_e32 v33, v16
	s_and_saveexec_b32 s6, vcc_lo
	s_cbranch_execz .LBB17_17
; %bb.14:
	v_dual_mov_b32 v33, v16 :: v_dual_lshrrev_b32 v10, 4, v34
	v_mov_b64_e32 v[0:1], 0
	v_mov_b64_e32 v[28:29], 0
	;; [unrolled: 1-line block ×3, first 2 shown]
	s_delay_alu instid0(VALU_DEP_4)
	v_add_nc_u32_e32 v12, 1, v10
	v_mov_b64_e32 v[10:11], 0
	v_mov_b64_e32 v[22:23], 0
	;; [unrolled: 1-line block ×4, first 2 shown]
	v_and_b32_e32 v30, 3, v12
	v_mov_b64_e32 v[12:13], 0
	s_mov_b32 s7, 0
	s_delay_alu instid0(VALU_DEP_2)
	v_sub_nc_u32_e32 v35, 0, v30
	v_mov_b64_e32 v[30:31], v[18:19]
.LBB17_15:                              ; =>This Inner Loop Header: Depth=1
	global_load_b32 v68, v33, s[8:9] scale_offset
	s_clause 0x7
	global_load_b128 v[36:39], v[30:31], off offset:16
	global_load_b128 v[40:43], v[30:31], off
	global_load_b128 v[44:47], v[30:31], off offset:80
	global_load_b128 v[48:51], v[30:31], off offset:64
	;; [unrolled: 1-line block ×6, first 2 shown]
	v_add_co_u32 v35, s10, v35, 1
	s_or_b32 s7, s10, s7
	s_wait_xcnt 0x8
	v_add_nc_u32_e32 v33, 16, v33
	s_wait_loadcnt 0x8
	v_subrev_nc_u32_e32 v68, s12, v68
	s_delay_alu instid0(VALU_DEP_1)
	v_lshlrev_b32_e32 v116, 2, v68
	s_wait_kmcnt 0x0
	s_clause 0x1
	global_load_b128 v[68:71], v116, s[4:5] scale_offset
	global_load_b128 v[72:75], v116, s[4:5] offset:16 scale_offset
	s_clause 0x7
	global_load_b128 v[76:79], v[30:31], off offset:48
	global_load_b128 v[80:83], v[30:31], off offset:32
	;; [unrolled: 1-line block ×8, first 2 shown]
	s_clause 0x1
	global_load_b128 v[108:111], v116, s[4:5] offset:32 scale_offset
	global_load_b128 v[112:115], v116, s[4:5] offset:48 scale_offset
	s_wait_xcnt 0x2
	v_add_nc_u64_e32 v[30:31], 0x1000, v[30:31]
	s_wait_loadcnt 0xb
	v_fmac_f64_e32 v[28:29], v[40:41], v[68:69]
	v_fmac_f64_e32 v[0:1], v[42:43], v[68:69]
	v_fmac_f64_e32 v[24:25], v[48:49], v[68:69]
	v_fmac_f64_e32 v[12:13], v[50:51], v[68:69]
	v_fmac_f64_e32 v[22:23], v[56:57], v[68:69]
	v_fmac_f64_e32 v[14:15], v[58:59], v[68:69]
	v_fmac_f64_e32 v[20:21], v[64:65], v[68:69]
	v_fmac_f64_e32 v[10:11], v[66:67], v[68:69]
	v_fma_f64 v[28:29], -v[42:43], v[70:71], v[28:29]
	v_fmac_f64_e32 v[0:1], v[40:41], v[70:71]
	v_fma_f64 v[24:25], -v[50:51], v[70:71], v[24:25]
	v_fmac_f64_e32 v[12:13], v[48:49], v[70:71]
	v_fma_f64 v[22:23], -v[58:59], v[70:71], v[22:23]
	v_fmac_f64_e32 v[14:15], v[56:57], v[70:71]
	v_fma_f64 v[20:21], -v[66:67], v[70:71], v[20:21]
	v_fmac_f64_e32 v[10:11], v[64:65], v[70:71]
	s_wait_loadcnt 0xa
	v_fmac_f64_e32 v[28:29], v[36:37], v[72:73]
	v_fmac_f64_e32 v[0:1], v[38:39], v[72:73]
	v_fmac_f64_e32 v[24:25], v[44:45], v[72:73]
	v_fmac_f64_e32 v[12:13], v[46:47], v[72:73]
	v_fmac_f64_e32 v[22:23], v[52:53], v[72:73]
	v_fmac_f64_e32 v[14:15], v[54:55], v[72:73]
	v_fmac_f64_e32 v[20:21], v[60:61], v[72:73]
	v_fmac_f64_e32 v[10:11], v[62:63], v[72:73]
	v_fma_f64 v[28:29], -v[38:39], v[74:75], v[28:29]
	v_fmac_f64_e32 v[0:1], v[36:37], v[74:75]
	v_fma_f64 v[24:25], -v[46:47], v[74:75], v[24:25]
	v_fmac_f64_e32 v[12:13], v[44:45], v[74:75]
	v_fma_f64 v[22:23], -v[54:55], v[74:75], v[22:23]
	v_fmac_f64_e32 v[14:15], v[52:53], v[74:75]
	v_fma_f64 v[20:21], -v[62:63], v[74:75], v[20:21]
	v_fmac_f64_e32 v[10:11], v[60:61], v[74:75]
	;; [unrolled: 17-line block ×4, first 2 shown]
	s_and_not1_b32 exec_lo, exec_lo, s7
	s_cbranch_execnz .LBB17_15
; %bb.16:
	s_or_b32 exec_lo, exec_lo, s7
.LBB17_17:
	s_delay_alu instid0(SALU_CYCLE_1) | instskip(NEXT) | instid1(SALU_CYCLE_1)
	s_or_b32 exec_lo, exec_lo, s6
	s_mov_b32 s6, exec_lo
	v_cmpx_lt_u32_e32 47, v34
	s_cbranch_execz .LBB17_21
; %bb.18:
	s_mov_b32 s7, 0
.LBB17_19:                              ; =>This Inner Loop Header: Depth=1
	global_load_b32 v142, v33, s[8:9] scale_offset
	s_clause 0x13
	global_load_b128 v[34:37], v[30:31], off offset:48
	global_load_b128 v[38:41], v[30:31], off offset:32
	;; [unrolled: 1-line block ×3, first 2 shown]
	global_load_b128 v[46:49], v[30:31], off
	global_load_b128 v[50:53], v[30:31], off offset:112
	global_load_b128 v[54:57], v[30:31], off offset:96
	;; [unrolled: 1-line block ×16, first 2 shown]
	s_clause 0x2
	global_load_b32 v154, v33, s[8:9] offset:64 scale_offset
	global_load_b32 v155, v33, s[8:9] offset:128 scale_offset
	;; [unrolled: 1-line block ×3, first 2 shown]
	s_clause 0x6
	global_load_b128 v[114:117], v[30:31], off offset:4208
	global_load_b128 v[118:121], v[30:31], off offset:4192
	;; [unrolled: 1-line block ×7, first 2 shown]
	s_wait_xcnt 0x7
	v_add_nc_u32_e32 v33, 64, v33
	s_delay_alu instid0(VALU_DEP_1) | instskip(SKIP_3) | instid1(VALU_DEP_1)
	v_cmp_ge_i32_e32 vcc_lo, v33, v17
	s_or_b32 s7, vcc_lo, s7
	s_wait_loadcnt 0x1e
	v_subrev_nc_u32_e32 v142, s12, v142
	v_lshlrev_b32_e32 v157, 2, v142
	s_wait_kmcnt 0x0
	s_clause 0x1
	global_load_b128 v[142:145], v157, s[4:5] scale_offset
	global_load_b128 v[146:149], v157, s[4:5] offset:16 scale_offset
	s_wait_loadcnt 0x1
	v_fmac_f64_e32 v[28:29], v[46:47], v[142:143]
	v_fmac_f64_e32 v[0:1], v[48:49], v[142:143]
	;; [unrolled: 1-line block ×8, first 2 shown]
	v_fma_f64 v[28:29], -v[48:49], v[144:145], v[28:29]
	v_fmac_f64_e32 v[0:1], v[46:47], v[144:145]
	v_fma_f64 v[150:151], -v[64:65], v[144:145], v[24:25]
	v_fmac_f64_e32 v[12:13], v[62:63], v[144:145]
	;; [unrolled: 2-line block ×4, first 2 shown]
	s_clause 0x4
	global_load_b128 v[46:49], v[30:31], off offset:4224
	global_load_b128 v[22:25], v[30:31], off offset:4320
	;; [unrolled: 1-line block ×5, first 2 shown]
	s_wait_loadcnt 0x5
	v_fmac_f64_e32 v[28:29], v[42:43], v[146:147]
	v_fmac_f64_e32 v[0:1], v[44:45], v[146:147]
	v_fmac_f64_e32 v[150:151], v[58:59], v[146:147]
	v_fmac_f64_e32 v[12:13], v[60:61], v[146:147]
	v_fmac_f64_e32 v[152:153], v[74:75], v[146:147]
	v_fmac_f64_e32 v[14:15], v[76:77], v[146:147]
	v_fmac_f64_e32 v[20:21], v[90:91], v[146:147]
	v_fmac_f64_e32 v[10:11], v[92:93], v[146:147]
	v_fma_f64 v[28:29], -v[44:45], v[148:149], v[28:29]
	v_fmac_f64_e32 v[0:1], v[42:43], v[148:149]
	global_load_b128 v[42:45], v[30:31], off offset:8240
	v_fma_f64 v[150:151], -v[60:61], v[148:149], v[150:151]
	v_fmac_f64_e32 v[12:13], v[58:59], v[148:149]
	global_load_b128 v[58:61], v[30:31], off offset:8224
	;; [unrolled: 3-line block ×3, first 2 shown]
	v_fma_f64 v[20:21], -v[92:93], v[148:149], v[20:21]
	v_fmac_f64_e32 v[10:11], v[90:91], v[148:149]
	s_clause 0x1
	global_load_b128 v[90:93], v157, s[4:5] offset:32 scale_offset
	global_load_b128 v[142:145], v157, s[4:5] offset:48 scale_offset
	s_wait_loadcnt 0x1
	v_fmac_f64_e32 v[28:29], v[38:39], v[90:91]
	v_fmac_f64_e32 v[0:1], v[40:41], v[90:91]
	;; [unrolled: 1-line block ×8, first 2 shown]
	v_fma_f64 v[28:29], -v[40:41], v[92:93], v[28:29]
	v_fmac_f64_e32 v[0:1], v[38:39], v[92:93]
	v_fma_f64 v[146:147], -v[56:57], v[92:93], v[150:151]
	v_fmac_f64_e32 v[12:13], v[54:55], v[92:93]
	;; [unrolled: 2-line block ×4, first 2 shown]
	v_subrev_nc_u32_e32 v150, s12, v154
	s_clause 0x4
	global_load_b128 v[38:41], v[30:31], off offset:8192
	global_load_b128 v[70:73], v[30:31], off offset:8288
	global_load_b128 v[54:57], v[30:31], off offset:8304
	global_load_b128 v[86:89], v[30:31], off offset:8272
	global_load_b128 v[90:93], v[30:31], off offset:8256
	v_lshlrev_b32_e32 v150, 2, v150
	s_wait_loadcnt 0x5
	v_fmac_f64_e32 v[28:29], v[34:35], v[142:143]
	v_fmac_f64_e32 v[0:1], v[36:37], v[142:143]
	;; [unrolled: 1-line block ×8, first 2 shown]
	v_fma_f64 v[28:29], -v[36:37], v[144:145], v[28:29]
	v_fmac_f64_e32 v[0:1], v[34:35], v[144:145]
	global_load_b128 v[34:37], v[30:31], off offset:8368
	v_fma_f64 v[146:147], -v[52:53], v[144:145], v[146:147]
	v_fmac_f64_e32 v[12:13], v[50:51], v[144:145]
	global_load_b128 v[50:53], v[30:31], off offset:8352
	;; [unrolled: 3-line block ×3, first 2 shown]
	v_fma_f64 v[20:21], -v[84:85], v[144:145], v[20:21]
	v_fmac_f64_e32 v[10:11], v[82:83], v[144:145]
	s_clause 0x1
	global_load_b128 v[82:85], v150, s[4:5] scale_offset
	global_load_b128 v[142:145], v150, s[4:5] offset:16 scale_offset
	s_wait_loadcnt 0x1
	v_fmac_f64_e32 v[28:29], v[110:111], v[82:83]
	v_fmac_f64_e32 v[0:1], v[112:113], v[82:83]
	;; [unrolled: 1-line block ×8, first 2 shown]
	v_fma_f64 v[28:29], -v[112:113], v[84:85], v[28:29]
	v_fmac_f64_e32 v[0:1], v[110:111], v[84:85]
	v_fma_f64 v[146:147], -v[128:129], v[84:85], v[146:147]
	v_fmac_f64_e32 v[12:13], v[126:127], v[84:85]
	v_fma_f64 v[148:149], -v[48:49], v[84:85], v[148:149]
	v_fmac_f64_e32 v[14:15], v[46:47], v[84:85]
	v_fma_f64 v[20:21], -v[96:97], v[84:85], v[20:21]
	v_fmac_f64_e32 v[10:11], v[94:95], v[84:85]
	s_clause 0x4
	global_load_b128 v[110:113], v[30:31], off offset:8320
	global_load_b128 v[46:49], v[30:31], off offset:8416
	;; [unrolled: 1-line block ×5, first 2 shown]
	s_wait_loadcnt 0x5
	v_fmac_f64_e32 v[28:29], v[106:107], v[142:143]
	v_fmac_f64_e32 v[0:1], v[108:109], v[142:143]
	;; [unrolled: 1-line block ×8, first 2 shown]
	v_fma_f64 v[28:29], -v[108:109], v[144:145], v[28:29]
	v_fmac_f64_e32 v[0:1], v[106:107], v[144:145]
	global_load_b128 v[106:109], v[30:31], off offset:12336
	v_fma_f64 v[146:147], -v[124:125], v[144:145], v[146:147]
	v_fmac_f64_e32 v[12:13], v[122:123], v[144:145]
	global_load_b128 v[122:125], v[30:31], off offset:12320
	;; [unrolled: 3-line block ×3, first 2 shown]
	v_fma_f64 v[20:21], -v[80:81], v[144:145], v[20:21]
	v_fmac_f64_e32 v[10:11], v[78:79], v[144:145]
	s_clause 0x1
	global_load_b128 v[78:81], v150, s[4:5] offset:32 scale_offset
	global_load_b128 v[142:145], v150, s[4:5] offset:48 scale_offset
	s_wait_xcnt 0x0
	v_subrev_nc_u32_e32 v150, s12, v155
	s_delay_alu instid0(VALU_DEP_1)
	v_lshlrev_b32_e32 v150, 2, v150
	s_wait_loadcnt 0x1
	v_fmac_f64_e32 v[28:29], v[102:103], v[78:79]
	v_fmac_f64_e32 v[0:1], v[104:105], v[78:79]
	;; [unrolled: 1-line block ×8, first 2 shown]
	v_fma_f64 v[28:29], -v[104:105], v[80:81], v[28:29]
	v_fmac_f64_e32 v[0:1], v[102:103], v[80:81]
	global_load_b128 v[102:105], v[30:31], off offset:12288
	v_fma_f64 v[146:147], -v[120:121], v[80:81], v[146:147]
	v_fmac_f64_e32 v[12:13], v[118:119], v[80:81]
	global_load_b128 v[118:121], v[30:31], off offset:12400
	;; [unrolled: 3-line block ×3, first 2 shown]
	v_fma_f64 v[24:25], -v[24:25], v[80:81], v[20:21]
	v_fmac_f64_e32 v[10:11], v[22:23], v[80:81]
	s_clause 0x1
	global_load_b128 v[20:23], v[30:31], off offset:12368
	global_load_b128 v[78:81], v[30:31], off offset:12352
	s_wait_loadcnt 0x5
	v_fmac_f64_e32 v[28:29], v[98:99], v[142:143]
	v_fmac_f64_e32 v[0:1], v[100:101], v[142:143]
	;; [unrolled: 1-line block ×8, first 2 shown]
	v_fma_f64 v[28:29], -v[100:101], v[144:145], v[28:29]
	v_fmac_f64_e32 v[0:1], v[98:99], v[144:145]
	global_load_b128 v[98:101], v150, s[4:5] scale_offset
	v_fma_f64 v[146:147], -v[116:117], v[144:145], v[146:147]
	v_fmac_f64_e32 v[12:13], v[114:115], v[144:145]
	global_load_b128 v[114:117], v150, s[4:5] offset:16 scale_offset
	v_fma_f64 v[148:149], -v[132:133], v[144:145], v[148:149]
	v_fmac_f64_e32 v[14:15], v[130:131], v[144:145]
	global_load_b128 v[130:133], v[30:31], off offset:12432
	v_fma_f64 v[24:25], -v[64:65], v[144:145], v[24:25]
	v_fmac_f64_e32 v[10:11], v[62:63], v[144:145]
	global_load_b128 v[62:65], v[30:31], off offset:12416
	global_load_b128 v[142:145], v150, s[4:5] offset:32 scale_offset
	s_wait_loadcnt 0x4
	v_fmac_f64_e32 v[28:29], v[38:39], v[98:99]
	v_fmac_f64_e32 v[0:1], v[40:41], v[98:99]
	;; [unrolled: 1-line block ×8, first 2 shown]
	v_fma_f64 v[28:29], -v[40:41], v[100:101], v[28:29]
	v_fmac_f64_e32 v[0:1], v[38:39], v[100:101]
	global_load_b128 v[38:41], v150, s[4:5] offset:48 scale_offset
	s_wait_xcnt 0x0
	v_subrev_nc_u32_e32 v150, s12, v156
	v_fma_f64 v[146:147], -v[92:93], v[100:101], v[146:147]
	v_fmac_f64_e32 v[12:13], v[90:91], v[100:101]
	global_load_b128 v[90:93], v[30:31], off offset:12480
	v_dual_fma_f64 v[148:149], -v[112:113], v[100:101], v[148:149] :: v_dual_lshlrev_b32 v154, 2, v150
	v_fmac_f64_e32 v[14:15], v[110:111], v[100:101]
	v_fma_f64 v[24:25], -v[96:97], v[100:101], v[24:25]
	v_fmac_f64_e32 v[10:11], v[94:95], v[100:101]
	global_load_b128 v[110:113], v154, s[4:5] scale_offset
	s_clause 0x1
	global_load_b128 v[94:97], v[30:31], off offset:12496
	global_load_b128 v[98:101], v[30:31], off offset:12448
	s_wait_loadcnt 0x8
	v_fmac_f64_e32 v[28:29], v[74:75], v[114:115]
	v_fmac_f64_e32 v[0:1], v[76:77], v[114:115]
	v_fmac_f64_e32 v[146:147], v[86:87], v[114:115]
	v_fmac_f64_e32 v[12:13], v[88:89], v[114:115]
	v_fmac_f64_e32 v[148:149], v[66:67], v[114:115]
	v_fmac_f64_e32 v[14:15], v[68:69], v[114:115]
	v_fmac_f64_e32 v[24:25], v[82:83], v[114:115]
	v_fmac_f64_e32 v[10:11], v[84:85], v[114:115]
	v_fma_f64 v[28:29], -v[76:77], v[116:117], v[28:29]
	v_fmac_f64_e32 v[0:1], v[74:75], v[116:117]
	global_load_b128 v[74:77], v154, s[4:5] offset:16 scale_offset
	v_fma_f64 v[150:151], -v[88:89], v[116:117], v[146:147]
	v_fmac_f64_e32 v[12:13], v[86:87], v[116:117]
	global_load_b128 v[86:89], v[30:31], off offset:12512
	v_fma_f64 v[152:153], -v[68:69], v[116:117], v[148:149]
	v_fmac_f64_e32 v[14:15], v[66:67], v[116:117]
	global_load_b128 v[66:69], v154, s[4:5] offset:32 scale_offset
	v_fma_f64 v[24:25], -v[84:85], v[116:117], v[24:25]
	v_fmac_f64_e32 v[10:11], v[82:83], v[116:117]
	s_clause 0x1
	global_load_b128 v[82:85], v[30:31], off offset:12464
	global_load_b128 v[114:117], v[30:31], off offset:12528
	global_load_b128 v[146:149], v154, s[4:5] offset:48 scale_offset
	s_wait_xcnt 0x1
	v_add_nc_u64_e32 v[30:31], 0x4000, v[30:31]
	s_wait_loadcnt 0xb
	v_fmac_f64_e32 v[28:29], v[58:59], v[142:143]
	v_fmac_f64_e32 v[0:1], v[60:61], v[142:143]
	v_fmac_f64_e32 v[150:151], v[70:71], v[142:143]
	v_fmac_f64_e32 v[12:13], v[72:73], v[142:143]
	v_fmac_f64_e32 v[152:153], v[50:51], v[142:143]
	v_fmac_f64_e32 v[14:15], v[52:53], v[142:143]
	v_fmac_f64_e32 v[24:25], v[46:47], v[142:143]
	v_fmac_f64_e32 v[10:11], v[48:49], v[142:143]
	v_fma_f64 v[28:29], -v[60:61], v[144:145], v[28:29]
	v_fmac_f64_e32 v[0:1], v[58:59], v[144:145]
	v_fma_f64 v[58:59], -v[72:73], v[144:145], v[150:151]
	v_fmac_f64_e32 v[12:13], v[70:71], v[144:145]
	v_fma_f64 v[52:53], -v[52:53], v[144:145], v[152:153]
	v_fmac_f64_e32 v[14:15], v[50:51], v[144:145]
	v_fma_f64 v[24:25], -v[48:49], v[144:145], v[24:25]
	v_fmac_f64_e32 v[10:11], v[46:47], v[144:145]
	s_wait_loadcnt 0xa
	v_fmac_f64_e32 v[28:29], v[42:43], v[38:39]
	v_fmac_f64_e32 v[0:1], v[44:45], v[38:39]
	v_fmac_f64_e32 v[58:59], v[54:55], v[38:39]
	v_fmac_f64_e32 v[12:13], v[56:57], v[38:39]
	v_fmac_f64_e32 v[52:53], v[34:35], v[38:39]
	v_fmac_f64_e32 v[14:15], v[36:37], v[38:39]
	v_fmac_f64_e32 v[24:25], v[126:127], v[38:39]
	v_fmac_f64_e32 v[10:11], v[128:129], v[38:39]
	v_fma_f64 v[28:29], -v[44:45], v[40:41], v[28:29]
	v_fmac_f64_e32 v[0:1], v[42:43], v[40:41]
	v_fma_f64 v[38:39], -v[56:57], v[40:41], v[58:59]
	v_fmac_f64_e32 v[12:13], v[54:55], v[40:41]
	v_fma_f64 v[36:37], -v[36:37], v[40:41], v[52:53]
	v_fmac_f64_e32 v[14:15], v[34:35], v[40:41]
	v_fma_f64 v[24:25], -v[128:129], v[40:41], v[24:25]
	v_fmac_f64_e32 v[10:11], v[126:127], v[40:41]
	;; [unrolled: 17-line block ×6, first 2 shown]
	s_and_not1_b32 exec_lo, exec_lo, s7
	s_cbranch_execnz .LBB17_19
; %bb.20:
	s_or_b32 exec_lo, exec_lo, s7
.LBB17_21:
	s_delay_alu instid0(SALU_CYCLE_1)
	s_or_b32 exec_lo, exec_lo, s6
.LBB17_22:
	s_delay_alu instid0(SALU_CYCLE_1)
	s_or_b32 exec_lo, exec_lo, s3
	s_cbranch_execz .LBB17_24
	s_branch .LBB17_35
.LBB17_23:
                                        ; implicit-def: $vgpr0_vgpr1
                                        ; implicit-def: $vgpr28_vgpr29
                                        ; implicit-def: $vgpr20_vgpr21
                                        ; implicit-def: $vgpr10_vgpr11
                                        ; implicit-def: $vgpr22_vgpr23
                                        ; implicit-def: $vgpr14_vgpr15
                                        ; implicit-def: $vgpr24_vgpr25
                                        ; implicit-def: $vgpr12_vgpr13
.LBB17_24:
	v_mov_b64_e32 v[0:1], 0
	v_mov_b64_e32 v[28:29], 0
	;; [unrolled: 1-line block ×8, first 2 shown]
	s_and_saveexec_b32 s3, s2
	s_cbranch_execz .LBB17_34
; %bb.25:
	v_add_nc_u32_e32 v0, v32, v27
	v_not_b32_e32 v1, v32
	v_mov_b64_e32 v[12:13], 0
	v_mov_b64_e32 v[24:25], 0
	;; [unrolled: 1-line block ×3, first 2 shown]
	v_subrev_nc_u32_e32 v0, s12, v0
	v_mov_b64_e32 v[22:23], 0
	v_mov_b64_e32 v[10:11], 0
	;; [unrolled: 1-line block ×4, first 2 shown]
	v_add_max_i32_e64 v0, v0, 16, v17
	s_mov_b32 s2, exec_lo
	s_delay_alu instid0(VALU_DEP_1) | instskip(NEXT) | instid1(VALU_DEP_1)
	v_add3_u32 v0, s12, v0, v1
	v_sub_nc_u32_e32 v30, v0, v27
	v_mov_b64_e32 v[0:1], 0
	s_delay_alu instid0(VALU_DEP_2) | instskip(NEXT) | instid1(VALU_DEP_1)
	v_and_b32_e32 v31, 48, v30
	v_cmpx_ne_u32_e32 48, v31
	s_cbranch_execz .LBB17_29
; %bb.26:
	v_lshrrev_b32_e32 v0, 4, v30
	v_mov_b64_e32 v[28:29], 0
	v_mov_b64_e32 v[20:21], 0
	;; [unrolled: 1-line block ×4, first 2 shown]
	v_add_nc_u32_e32 v12, 1, v0
	v_mov_b64_e32 v[0:1], 0
	v_mov_b64_e32 v[14:15], 0
	;; [unrolled: 1-line block ×3, first 2 shown]
	s_mov_b32 s6, 0
	v_and_b32_e32 v31, 3, v12
	v_mov_b64_e32 v[12:13], 0
	s_delay_alu instid0(VALU_DEP_2)
	v_sub_nc_u32_e32 v31, 0, v31
.LBB17_27:                              ; =>This Inner Loop Header: Depth=1
	global_load_b32 v48, v16, s[8:9] scale_offset
	s_clause 0x3
	global_load_b128 v[32:35], v[18:19], off offset:48
	global_load_b128 v[36:39], v[18:19], off offset:32
	;; [unrolled: 1-line block ×3, first 2 shown]
	global_load_b128 v[44:47], v[18:19], off
	v_add_co_u32 v31, s7, v31, 1
	s_or_b32 s6, s7, s6
	s_wait_xcnt 0x4
	v_add_nc_u32_e32 v16, 16, v16
	s_wait_loadcnt 0x4
	v_subrev_nc_u32_e32 v48, s12, v48
	s_delay_alu instid0(VALU_DEP_1)
	v_lshlrev_b32_e32 v108, 2, v48
	s_wait_kmcnt 0x0
	global_load_b128 v[48:51], v108, s[4:5] scale_offset
	s_clause 0x3
	global_load_b128 v[52:55], v[18:19], off offset:112
	global_load_b128 v[56:59], v[18:19], off offset:96
	global_load_b128 v[60:63], v[18:19], off offset:80
	global_load_b128 v[64:67], v[18:19], off offset:64
	global_load_b128 v[68:71], v108, s[4:5] offset:16 scale_offset
	s_clause 0x3
	global_load_b128 v[72:75], v[18:19], off offset:176
	global_load_b128 v[76:79], v[18:19], off offset:160
	;; [unrolled: 1-line block ×4, first 2 shown]
	s_clause 0x1
	global_load_b128 v[88:91], v108, s[4:5] offset:32 scale_offset
	global_load_b128 v[92:95], v108, s[4:5] offset:48 scale_offset
	s_clause 0x3
	global_load_b128 v[96:99], v[18:19], off offset:192
	global_load_b128 v[100:103], v[18:19], off offset:208
	;; [unrolled: 1-line block ×3, first 2 shown]
	; meta instruction
	global_load_b128 v[108:111], v[18:19], off offset:240
	s_wait_xcnt 0x0
	v_add_nc_u64_e32 v[18:19], 0x1000, v[18:19]
	s_wait_loadcnt 0xf
	v_fmac_f64_e32 v[28:29], v[44:45], v[48:49]
	v_fmac_f64_e32 v[0:1], v[46:47], v[48:49]
	v_fmac_f64_e32 v[24:25], v[40:41], v[48:49]
	v_fmac_f64_e32 v[12:13], v[42:43], v[48:49]
	v_fmac_f64_e32 v[22:23], v[36:37], v[48:49]
	v_fmac_f64_e32 v[14:15], v[38:39], v[48:49]
	v_fmac_f64_e32 v[20:21], v[32:33], v[48:49]
	v_fmac_f64_e32 v[10:11], v[34:35], v[48:49]
	v_fma_f64 v[28:29], -v[46:47], v[50:51], v[28:29]
	v_fmac_f64_e32 v[0:1], v[44:45], v[50:51]
	v_fma_f64 v[24:25], -v[42:43], v[50:51], v[24:25]
	v_fmac_f64_e32 v[12:13], v[40:41], v[50:51]
	v_fma_f64 v[22:23], -v[38:39], v[50:51], v[22:23]
	v_fmac_f64_e32 v[14:15], v[36:37], v[50:51]
	v_fma_f64 v[20:21], -v[34:35], v[50:51], v[20:21]
	v_fmac_f64_e32 v[10:11], v[32:33], v[50:51]
	s_wait_loadcnt 0xa
	v_fmac_f64_e32 v[28:29], v[64:65], v[68:69]
	v_fmac_f64_e32 v[0:1], v[66:67], v[68:69]
	v_fmac_f64_e32 v[24:25], v[60:61], v[68:69]
	v_fmac_f64_e32 v[12:13], v[62:63], v[68:69]
	v_fmac_f64_e32 v[22:23], v[56:57], v[68:69]
	v_fmac_f64_e32 v[14:15], v[58:59], v[68:69]
	v_fmac_f64_e32 v[20:21], v[52:53], v[68:69]
	v_fmac_f64_e32 v[10:11], v[54:55], v[68:69]
	v_fma_f64 v[28:29], -v[66:67], v[70:71], v[28:29]
	v_fmac_f64_e32 v[0:1], v[64:65], v[70:71]
	v_fma_f64 v[24:25], -v[62:63], v[70:71], v[24:25]
	v_fmac_f64_e32 v[12:13], v[60:61], v[70:71]
	v_fma_f64 v[22:23], -v[58:59], v[70:71], v[22:23]
	v_fmac_f64_e32 v[14:15], v[56:57], v[70:71]
	v_fma_f64 v[20:21], -v[54:55], v[70:71], v[20:21]
	v_fmac_f64_e32 v[10:11], v[52:53], v[70:71]
	;; [unrolled: 17-line block ×3, first 2 shown]
	s_wait_loadcnt 0x3
	v_fmac_f64_e32 v[28:29], v[96:97], v[92:93]
	v_fmac_f64_e32 v[0:1], v[98:99], v[92:93]
	s_wait_loadcnt 0x2
	v_fmac_f64_e32 v[24:25], v[100:101], v[92:93]
	v_fmac_f64_e32 v[12:13], v[102:103], v[92:93]
	;; [unrolled: 3-line block ×4, first 2 shown]
	v_fma_f64 v[28:29], -v[98:99], v[94:95], v[28:29]
	v_fmac_f64_e32 v[0:1], v[96:97], v[94:95]
	v_fma_f64 v[24:25], -v[102:103], v[94:95], v[24:25]
	v_fmac_f64_e32 v[12:13], v[100:101], v[94:95]
	;; [unrolled: 2-line block ×4, first 2 shown]
	s_and_not1_b32 exec_lo, exec_lo, s6
	s_cbranch_execnz .LBB17_27
; %bb.28:
	s_or_b32 exec_lo, exec_lo, s6
.LBB17_29:
	s_delay_alu instid0(SALU_CYCLE_1) | instskip(NEXT) | instid1(SALU_CYCLE_1)
	s_or_b32 exec_lo, exec_lo, s2
	s_mov_b32 s2, exec_lo
	v_cmpx_lt_u32_e32 47, v30
	s_cbranch_execz .LBB17_33
; %bb.30:
	s_mov_b32 s6, 0
.LBB17_31:                              ; =>This Inner Loop Header: Depth=1
	global_load_b32 v118, v16, s[8:9] scale_offset
	s_clause 0xd
	global_load_b128 v[30:33], v[18:19], off offset:48
	global_load_b128 v[34:37], v[18:19], off offset:32
	;; [unrolled: 1-line block ×3, first 2 shown]
	global_load_b128 v[42:45], v[18:19], off
	global_load_b128 v[46:49], v[18:19], off offset:112
	global_load_b128 v[50:53], v[18:19], off offset:96
	global_load_b128 v[54:57], v[18:19], off offset:80
	global_load_b128 v[58:61], v[18:19], off offset:64
	global_load_b128 v[62:65], v[18:19], off offset:176
	global_load_b128 v[66:69], v[18:19], off offset:160
	global_load_b128 v[70:73], v[18:19], off offset:144
	global_load_b128 v[74:77], v[18:19], off offset:128
	global_load_b128 v[78:81], v[18:19], off offset:240
	global_load_b128 v[82:85], v[18:19], off offset:224
	s_clause 0x2
	global_load_b32 v130, v16, s[8:9] offset:64 scale_offset
	global_load_b32 v132, v16, s[8:9] offset:128 scale_offset
	;; [unrolled: 1-line block ×3, first 2 shown]
	s_clause 0x7
	global_load_b128 v[86:89], v[18:19], off offset:208
	global_load_b128 v[90:93], v[18:19], off offset:192
	;; [unrolled: 1-line block ×8, first 2 shown]
	s_wait_xcnt 0x8
	v_add_nc_u32_e32 v16, 64, v16
	s_delay_alu instid0(VALU_DEP_1) | instskip(SKIP_3) | instid1(VALU_DEP_1)
	v_cmp_ge_i32_e32 vcc_lo, v16, v17
	s_or_b32 s6, vcc_lo, s6
	s_wait_loadcnt 0x19
	v_subrev_nc_u32_e32 v118, s12, v118
	v_lshlrev_b32_e32 v131, 2, v118
	s_wait_kmcnt 0x0
	s_clause 0x1
	global_load_b128 v[118:121], v131, s[4:5] scale_offset
	global_load_b128 v[122:125], v131, s[4:5] offset:16 scale_offset
	s_wait_loadcnt 0xc
	v_subrev_nc_u32_e32 v130, s12, v130
	s_delay_alu instid0(VALU_DEP_1)
	v_lshlrev_b32_e32 v134, 2, v130
	s_wait_loadcnt 0x1
	v_fmac_f64_e32 v[28:29], v[42:43], v[118:119]
	v_fmac_f64_e32 v[0:1], v[44:45], v[118:119]
	;; [unrolled: 1-line block ×8, first 2 shown]
	v_fma_f64 v[126:127], -v[44:45], v[120:121], v[28:29]
	v_fmac_f64_e32 v[0:1], v[42:43], v[120:121]
	v_fma_f64 v[128:129], -v[40:41], v[120:121], v[24:25]
	v_fmac_f64_e32 v[12:13], v[38:39], v[120:121]
	;; [unrolled: 2-line block ×4, first 2 shown]
	s_clause 0x4
	global_load_b128 v[42:45], v[18:19], off offset:4176
	global_load_b128 v[38:41], v[18:19], off offset:4160
	;; [unrolled: 1-line block ×5, first 2 shown]
	s_wait_loadcnt 0x5
	v_fmac_f64_e32 v[126:127], v[58:59], v[122:123]
	v_fmac_f64_e32 v[0:1], v[60:61], v[122:123]
	;; [unrolled: 1-line block ×8, first 2 shown]
	v_fma_f64 v[126:127], -v[60:61], v[124:125], v[126:127]
	v_fmac_f64_e32 v[0:1], v[58:59], v[124:125]
	global_load_b128 v[58:61], v[18:19], off offset:4224
	v_fma_f64 v[128:129], -v[56:57], v[124:125], v[128:129]
	v_fmac_f64_e32 v[12:13], v[54:55], v[124:125]
	global_load_b128 v[54:57], v[18:19], off offset:4336
	;; [unrolled: 3-line block ×4, first 2 shown]
	s_clause 0x1
	global_load_b128 v[118:121], v131, s[4:5] offset:32 scale_offset
	global_load_b128 v[122:125], v131, s[4:5] offset:48 scale_offset
	s_wait_loadcnt 0x1
	v_fmac_f64_e32 v[126:127], v[74:75], v[118:119]
	v_fmac_f64_e32 v[0:1], v[76:77], v[118:119]
	;; [unrolled: 1-line block ×8, first 2 shown]
	v_fma_f64 v[126:127], -v[76:77], v[120:121], v[126:127]
	v_fmac_f64_e32 v[0:1], v[74:75], v[120:121]
	v_fma_f64 v[128:129], -v[72:73], v[120:121], v[128:129]
	v_fmac_f64_e32 v[12:13], v[70:71], v[120:121]
	;; [unrolled: 2-line block ×4, first 2 shown]
	s_clause 0x4
	global_load_b128 v[74:77], v[18:19], off offset:4288
	global_load_b128 v[66:69], v[18:19], off offset:8224
	;; [unrolled: 1-line block ×5, first 2 shown]
	s_wait_loadcnt 0x5
	v_fmac_f64_e32 v[126:127], v[90:91], v[122:123]
	v_fmac_f64_e32 v[0:1], v[92:93], v[122:123]
	;; [unrolled: 1-line block ×8, first 2 shown]
	v_fma_f64 v[126:127], -v[92:93], v[124:125], v[126:127]
	v_fmac_f64_e32 v[0:1], v[90:91], v[124:125]
	global_load_b128 v[90:93], v[18:19], off offset:8304
	v_fma_f64 v[128:129], -v[88:89], v[124:125], v[128:129]
	v_fmac_f64_e32 v[12:13], v[86:87], v[124:125]
	global_load_b128 v[86:89], v[18:19], off offset:8288
	;; [unrolled: 3-line block ×3, first 2 shown]
	v_fma_f64 v[20:21], -v[80:81], v[124:125], v[20:21]
	v_fmac_f64_e32 v[10:11], v[78:79], v[124:125]
	s_clause 0x1
	global_load_b128 v[78:81], v134, s[4:5] scale_offset
	global_load_b128 v[122:125], v134, s[4:5] offset:16 scale_offset
	s_wait_loadcnt 0x1
	v_fmac_f64_e32 v[126:127], v[106:107], v[78:79]
	v_fmac_f64_e32 v[0:1], v[108:109], v[78:79]
	v_fmac_f64_e32 v[128:129], v[102:103], v[78:79]
	v_fmac_f64_e32 v[12:13], v[104:105], v[78:79]
	v_fmac_f64_e32 v[36:37], v[98:99], v[78:79]
	v_fmac_f64_e32 v[14:15], v[100:101], v[78:79]
	v_fmac_f64_e32 v[20:21], v[94:95], v[78:79]
	v_fmac_f64_e32 v[10:11], v[96:97], v[78:79]
	v_fma_f64 v[126:127], -v[108:109], v[80:81], v[126:127]
	v_fmac_f64_e32 v[0:1], v[106:107], v[80:81]
	v_fma_f64 v[128:129], -v[104:105], v[80:81], v[128:129]
	v_fmac_f64_e32 v[12:13], v[102:103], v[80:81]
	;; [unrolled: 2-line block ×4, first 2 shown]
	s_clause 0x4
	global_load_b128 v[106:109], v[18:19], off offset:8256
	global_load_b128 v[98:101], v[18:19], off offset:8352
	;; [unrolled: 1-line block ×5, first 2 shown]
	s_wait_loadcnt 0x5
	v_fmac_f64_e32 v[126:127], v[38:39], v[122:123]
	v_fmac_f64_e32 v[0:1], v[40:41], v[122:123]
	;; [unrolled: 1-line block ×8, first 2 shown]
	v_fma_f64 v[126:127], -v[40:41], v[124:125], v[126:127]
	v_fmac_f64_e32 v[0:1], v[38:39], v[124:125]
	global_load_b128 v[36:39], v[18:19], off offset:8432
	v_fma_f64 v[44:45], -v[44:45], v[124:125], v[128:129]
	v_fmac_f64_e32 v[12:13], v[42:43], v[124:125]
	global_load_b128 v[40:43], v[18:19], off offset:8416
	;; [unrolled: 3-line block ×3, first 2 shown]
	v_fma_f64 v[20:21], -v[112:113], v[124:125], v[20:21]
	v_fmac_f64_e32 v[10:11], v[110:111], v[124:125]
	s_clause 0x1
	global_load_b128 v[110:113], v134, s[4:5] offset:32 scale_offset
	global_load_b128 v[122:125], v134, s[4:5] offset:48 scale_offset
	s_wait_loadcnt 0x1
	v_fmac_f64_e32 v[128:129], v[28:29], v[110:111]
	v_fmac_f64_e32 v[126:127], v[58:59], v[110:111]
	;; [unrolled: 1-line block ×8, first 2 shown]
	v_fma_f64 v[128:129], -v[30:31], v[112:113], v[128:129]
	v_fma_f64 v[126:127], -v[60:61], v[112:113], v[126:127]
	v_fmac_f64_e32 v[0:1], v[58:59], v[112:113]
	v_fma_f64 v[44:45], -v[34:35], v[112:113], v[44:45]
	v_fmac_f64_e32 v[12:13], v[32:33], v[112:113]
	v_fmac_f64_e32 v[14:15], v[28:29], v[112:113]
	v_fma_f64 v[24:25], -v[24:25], v[112:113], v[20:21]
	v_fmac_f64_e32 v[10:11], v[22:23], v[112:113]
	s_clause 0x4
	global_load_b128 v[58:61], v[18:19], off offset:8384
	global_load_b128 v[28:31], v[18:19], off offset:12320
	;; [unrolled: 1-line block ×5, first 2 shown]
	s_wait_loadcnt 0x5
	v_fmac_f64_e32 v[128:129], v[50:51], v[122:123]
	v_fmac_f64_e32 v[126:127], v[74:75], v[122:123]
	;; [unrolled: 1-line block ×8, first 2 shown]
	v_fma_f64 v[128:129], -v[52:53], v[124:125], v[128:129]
	v_subrev_nc_u32_e32 v52, s12, v132
	v_fma_f64 v[126:127], -v[76:77], v[124:125], v[126:127]
	v_fmac_f64_e32 v[0:1], v[74:75], v[124:125]
	global_load_b128 v[74:77], v[18:19], off offset:12400
	v_fma_f64 v[130:131], -v[48:49], v[124:125], v[44:45]
	v_lshlrev_b32_e32 v132, 2, v52
	v_fmac_f64_e32 v[12:13], v[46:47], v[124:125]
	global_load_b128 v[44:47], v[18:19], off offset:12384
	v_fmac_f64_e32 v[14:15], v[50:51], v[124:125]
	global_load_b128 v[48:51], v[18:19], off offset:12368
	v_fma_f64 v[24:25], -v[56:57], v[124:125], v[24:25]
	v_fmac_f64_e32 v[10:11], v[54:55], v[124:125]
	s_clause 0x1
	global_load_b128 v[52:55], v132, s[4:5] scale_offset
	global_load_b128 v[122:125], v132, s[4:5] offset:16 scale_offset
	s_wait_loadcnt 0x1
	v_fmac_f64_e32 v[126:127], v[118:119], v[52:53]
	v_fmac_f64_e32 v[128:129], v[66:67], v[52:53]
	;; [unrolled: 1-line block ×8, first 2 shown]
	v_fma_f64 v[56:57], -v[120:121], v[54:55], v[126:127]
	v_fma_f64 v[128:129], -v[68:69], v[54:55], v[128:129]
	v_fmac_f64_e32 v[14:15], v[66:67], v[54:55]
	global_load_b128 v[66:69], v132, s[4:5] offset:32 scale_offset
	v_fmac_f64_e32 v[0:1], v[118:119], v[54:55]
	global_load_b128 v[118:121], v[18:19], off offset:12352
	v_fma_f64 v[126:127], -v[64:65], v[54:55], v[130:131]
	v_fmac_f64_e32 v[12:13], v[62:63], v[54:55]
	global_load_b128 v[62:65], v[18:19], off offset:12464
	v_fma_f64 v[24:25], -v[72:73], v[54:55], v[24:25]
	v_fmac_f64_e32 v[10:11], v[70:71], v[54:55]
	global_load_b128 v[52:55], v[18:19], off offset:12448
	global_load_b128 v[70:73], v132, s[4:5] offset:48 scale_offset
	v_subrev_nc_u32_e32 v130, s12, v133
	s_delay_alu instid0(VALU_DEP_1)
	v_lshlrev_b32_e32 v130, 2, v130
	s_wait_loadcnt 0x5
	v_fmac_f64_e32 v[56:57], v[106:107], v[122:123]
	v_fmac_f64_e32 v[128:129], v[86:87], v[122:123]
	;; [unrolled: 1-line block ×8, first 2 shown]
	v_fma_f64 v[56:57], -v[108:109], v[124:125], v[56:57]
	v_fma_f64 v[128:129], -v[88:89], v[124:125], v[128:129]
	v_fmac_f64_e32 v[14:15], v[86:87], v[124:125]
	global_load_b128 v[86:89], v[18:19], off offset:12416
	v_fmac_f64_e32 v[0:1], v[106:107], v[124:125]
	global_load_b128 v[106:109], v[18:19], off offset:12432
	v_fma_f64 v[126:127], -v[84:85], v[124:125], v[126:127]
	v_fmac_f64_e32 v[12:13], v[82:83], v[124:125]
	global_load_b128 v[82:85], v130, s[4:5] scale_offset
	v_fma_f64 v[24:25], -v[92:93], v[124:125], v[24:25]
	v_fmac_f64_e32 v[10:11], v[90:91], v[124:125]
	global_load_b128 v[90:93], v[18:19], off offset:12496
	global_load_b128 v[122:125], v130, s[4:5] offset:16 scale_offset
	s_wait_loadcnt 0x9
	v_fmac_f64_e32 v[56:57], v[94:95], v[66:67]
	v_fmac_f64_e32 v[0:1], v[96:97], v[66:67]
	;; [unrolled: 1-line block ×8, first 2 shown]
	v_fma_f64 v[56:57], -v[96:97], v[68:69], v[56:57]
	v_fmac_f64_e32 v[0:1], v[94:95], v[68:69]
	global_load_b128 v[94:97], v130, s[4:5] offset:48 scale_offset
	v_fma_f64 v[126:127], -v[80:81], v[68:69], v[126:127]
	v_fmac_f64_e32 v[12:13], v[78:79], v[68:69]
	global_load_b128 v[78:81], v130, s[4:5] offset:32 scale_offset
	v_fma_f64 v[128:129], -v[100:101], v[68:69], v[128:129]
	v_fmac_f64_e32 v[14:15], v[98:99], v[68:69]
	global_load_b128 v[98:101], v[18:19], off offset:12480
	v_fma_f64 v[24:25], -v[104:105], v[68:69], v[24:25]
	v_fmac_f64_e32 v[10:11], v[102:103], v[68:69]
	s_clause 0x1
	global_load_b128 v[66:69], v[18:19], off offset:12512
	global_load_b128 v[102:105], v[18:19], off offset:12528
	s_wait_xcnt 0x0
	v_add_nc_u64_e32 v[18:19], 0x4000, v[18:19]
	s_wait_loadcnt 0xa
	v_fmac_f64_e32 v[56:57], v[58:59], v[70:71]
	v_fmac_f64_e32 v[0:1], v[60:61], v[70:71]
	v_fmac_f64_e32 v[126:127], v[114:115], v[70:71]
	v_fmac_f64_e32 v[12:13], v[116:117], v[70:71]
	v_fmac_f64_e32 v[128:129], v[40:41], v[70:71]
	v_fmac_f64_e32 v[14:15], v[42:43], v[70:71]
	v_fmac_f64_e32 v[24:25], v[36:37], v[70:71]
	v_fmac_f64_e32 v[10:11], v[38:39], v[70:71]
	v_fma_f64 v[56:57], -v[60:61], v[72:73], v[56:57]
	v_fmac_f64_e32 v[0:1], v[58:59], v[72:73]
	v_fma_f64 v[58:59], -v[116:117], v[72:73], v[126:127]
	v_fmac_f64_e32 v[12:13], v[114:115], v[72:73]
	v_fma_f64 v[42:43], -v[42:43], v[72:73], v[128:129]
	v_fmac_f64_e32 v[14:15], v[40:41], v[72:73]
	v_fma_f64 v[24:25], -v[38:39], v[72:73], v[24:25]
	v_fmac_f64_e32 v[10:11], v[36:37], v[72:73]
	s_wait_loadcnt 0x7
	v_fmac_f64_e32 v[56:57], v[110:111], v[82:83]
	v_fmac_f64_e32 v[0:1], v[112:113], v[82:83]
	v_fmac_f64_e32 v[58:59], v[20:21], v[82:83]
	v_fmac_f64_e32 v[12:13], v[22:23], v[82:83]
	v_fmac_f64_e32 v[42:43], v[28:29], v[82:83]
	v_fmac_f64_e32 v[14:15], v[30:31], v[82:83]
	v_fmac_f64_e32 v[24:25], v[32:33], v[82:83]
	v_fmac_f64_e32 v[10:11], v[34:35], v[82:83]
	v_fma_f64 v[36:37], -v[112:113], v[84:85], v[56:57]
	v_fmac_f64_e32 v[0:1], v[110:111], v[84:85]
	v_fma_f64 v[22:23], -v[22:23], v[84:85], v[58:59]
	v_fmac_f64_e32 v[12:13], v[20:21], v[84:85]
	v_fma_f64 v[20:21], -v[30:31], v[84:85], v[42:43]
	v_fmac_f64_e32 v[14:15], v[28:29], v[84:85]
	v_fma_f64 v[24:25], -v[34:35], v[84:85], v[24:25]
	v_fmac_f64_e32 v[10:11], v[32:33], v[84:85]
	s_wait_loadcnt 0x5
	v_fmac_f64_e32 v[36:37], v[118:119], v[122:123]
	v_fmac_f64_e32 v[0:1], v[120:121], v[122:123]
	v_fmac_f64_e32 v[22:23], v[48:49], v[122:123]
	v_fmac_f64_e32 v[12:13], v[50:51], v[122:123]
	v_fmac_f64_e32 v[20:21], v[44:45], v[122:123]
	v_fmac_f64_e32 v[14:15], v[46:47], v[122:123]
	v_fmac_f64_e32 v[24:25], v[74:75], v[122:123]
	v_fmac_f64_e32 v[10:11], v[76:77], v[122:123]
	v_fma_f64 v[28:29], -v[120:121], v[124:125], v[36:37]
	v_fmac_f64_e32 v[0:1], v[118:119], v[124:125]
	v_fma_f64 v[22:23], -v[50:51], v[124:125], v[22:23]
	v_fmac_f64_e32 v[12:13], v[48:49], v[124:125]
	v_fma_f64 v[20:21], -v[46:47], v[124:125], v[20:21]
	v_fmac_f64_e32 v[14:15], v[44:45], v[124:125]
	v_fma_f64 v[24:25], -v[76:77], v[124:125], v[24:25]
	v_fmac_f64_e32 v[10:11], v[74:75], v[124:125]
	s_wait_loadcnt 0x3
	v_fmac_f64_e32 v[28:29], v[86:87], v[78:79]
	v_fmac_f64_e32 v[0:1], v[88:89], v[78:79]
	v_fmac_f64_e32 v[22:23], v[106:107], v[78:79]
	v_fmac_f64_e32 v[12:13], v[108:109], v[78:79]
	v_fmac_f64_e32 v[20:21], v[52:53], v[78:79]
	v_fmac_f64_e32 v[14:15], v[54:55], v[78:79]
	v_fmac_f64_e32 v[24:25], v[62:63], v[78:79]
	v_fmac_f64_e32 v[10:11], v[64:65], v[78:79]
	v_fma_f64 v[28:29], -v[88:89], v[80:81], v[28:29]
	v_fmac_f64_e32 v[0:1], v[86:87], v[80:81]
	v_fma_f64 v[22:23], -v[108:109], v[80:81], v[22:23]
	v_fmac_f64_e32 v[12:13], v[106:107], v[80:81]
	v_fma_f64 v[20:21], -v[54:55], v[80:81], v[20:21]
	v_fmac_f64_e32 v[14:15], v[52:53], v[80:81]
	v_fma_f64 v[30:31], -v[64:65], v[80:81], v[24:25]
	v_fmac_f64_e32 v[10:11], v[62:63], v[80:81]
	s_wait_loadcnt 0x2
	v_fmac_f64_e32 v[28:29], v[98:99], v[94:95]
	v_fmac_f64_e32 v[0:1], v[100:101], v[94:95]
	;; [unrolled: 1-line block ×4, first 2 shown]
	s_wait_loadcnt 0x1
	v_fmac_f64_e32 v[20:21], v[66:67], v[94:95]
	v_fmac_f64_e32 v[14:15], v[68:69], v[94:95]
	s_wait_loadcnt 0x0
	v_fmac_f64_e32 v[30:31], v[102:103], v[94:95]
	v_fmac_f64_e32 v[10:11], v[104:105], v[94:95]
	v_fma_f64 v[28:29], -v[100:101], v[96:97], v[28:29]
	v_fmac_f64_e32 v[0:1], v[98:99], v[96:97]
	v_fma_f64 v[24:25], -v[92:93], v[96:97], v[22:23]
	;; [unrolled: 2-line block ×4, first 2 shown]
	v_fmac_f64_e32 v[10:11], v[102:103], v[96:97]
	s_and_not1_b32 exec_lo, exec_lo, s6
	s_cbranch_execnz .LBB17_31
; %bb.32:
	s_or_b32 exec_lo, exec_lo, s6
.LBB17_33:
	s_delay_alu instid0(SALU_CYCLE_1)
	s_or_b32 exec_lo, exec_lo, s2
.LBB17_34:
	s_delay_alu instid0(SALU_CYCLE_1)
	s_or_b32 exec_lo, exec_lo, s3
.LBB17_35:
	v_mbcnt_lo_u32_b32 v44, -1, 0
	s_delay_alu instid0(VALU_DEP_1) | instskip(NEXT) | instid1(VALU_DEP_1)
	v_xor_b32_e32 v16, 8, v44
	v_cmp_gt_i32_e32 vcc_lo, 32, v16
	v_cndmask_b32_e32 v16, v44, v16, vcc_lo
	s_delay_alu instid0(VALU_DEP_1)
	v_lshlrev_b32_e32 v41, 2, v16
	ds_bpermute_b32 v18, v41, v0
	ds_bpermute_b32 v19, v41, v1
	;; [unrolled: 1-line block ×4, first 2 shown]
	s_wait_dscnt 0x2
	v_add_f64_e32 v[0:1], v[0:1], v[18:19]
	s_wait_dscnt 0x0
	v_add_f64_e32 v[18:19], v[24:25], v[30:31]
	ds_bpermute_b32 v34, v41, v22
	ds_bpermute_b32 v35, v41, v23
	;; [unrolled: 1-line block ×12, first 2 shown]
	v_xor_b32_e32 v24, 4, v44
	s_delay_alu instid0(VALU_DEP_1)
	v_cmp_gt_i32_e32 vcc_lo, 32, v24
	s_wait_dscnt 0xa
	v_dual_add_f64 v[22:23], v[22:23], v[34:35] :: v_dual_cndmask_b32 v24, v44, v24, vcc_lo
	s_wait_dscnt 0x8
	v_add_f64_e32 v[20:21], v[20:21], v[38:39]
	s_wait_dscnt 0x6
	v_add_f64_e32 v[16:17], v[28:29], v[16:17]
	;; [unrolled: 2-line block ×5, first 2 shown]
	v_lshlrev_b32_e32 v41, 2, v24
	ds_bpermute_b32 v30, v41, v18
	ds_bpermute_b32 v31, v41, v19
	;; [unrolled: 1-line block ×4, first 2 shown]
	s_wait_dscnt 0x2
	v_add_f64_e32 v[18:19], v[18:19], v[30:31]
	s_wait_dscnt 0x0
	v_add_f64_e32 v[30:31], v[22:23], v[34:35]
	ds_bpermute_b32 v24, v41, v16
	ds_bpermute_b32 v25, v41, v17
	;; [unrolled: 1-line block ×12, first 2 shown]
	s_wait_dscnt 0xa
	v_add_f64_e32 v[16:17], v[16:17], v[24:25]
	s_wait_dscnt 0x8
	v_add_f64_e32 v[24:25], v[0:1], v[28:29]
	v_xor_b32_e32 v0, 2, v44
	s_wait_dscnt 0x6
	v_add_f64_e32 v[14:15], v[14:15], v[36:37]
	s_wait_dscnt 0x4
	v_add_f64_e32 v[20:21], v[20:21], v[38:39]
	;; [unrolled: 2-line block ×3, first 2 shown]
	v_cmp_gt_i32_e32 vcc_lo, 32, v0
	s_wait_dscnt 0x0
	v_add_f64_e32 v[32:33], v[10:11], v[40:41]
	v_cndmask_b32_e32 v0, v44, v0, vcc_lo
	s_delay_alu instid0(VALU_DEP_1)
	v_lshlrev_b32_e32 v28, 2, v0
	ds_bpermute_b32 v22, v28, v18
	ds_bpermute_b32 v23, v28, v19
	ds_bpermute_b32 v36, v28, v30
	ds_bpermute_b32 v37, v28, v31
	ds_bpermute_b32 v0, v28, v16
	ds_bpermute_b32 v1, v28, v17
	ds_bpermute_b32 v10, v28, v24
	ds_bpermute_b32 v11, v28, v25
	ds_bpermute_b32 v38, v28, v14
	ds_bpermute_b32 v39, v28, v15
	ds_bpermute_b32 v40, v28, v20
	ds_bpermute_b32 v41, v28, v21
	ds_bpermute_b32 v34, v28, v12
	ds_bpermute_b32 v35, v28, v13
	ds_bpermute_b32 v42, v28, v32
	ds_bpermute_b32 v43, v28, v33
	s_wait_dscnt 0xa
	v_add_f64_e32 v[0:1], v[16:17], v[0:1]
	s_wait_dscnt 0x8
	v_add_f64_e32 v[28:29], v[24:25], v[10:11]
	v_add_f64_e32 v[10:11], v[18:19], v[22:23]
	s_wait_dscnt 0x6
	v_add_f64_e32 v[18:19], v[14:15], v[38:39]
	s_wait_dscnt 0x4
	;; [unrolled: 2-line block ×3, first 2 shown]
	v_dual_add_f64 v[22:23], v[12:13], v[34:35] :: v_dual_bitop2_b32 v20, 1, v44 bitop3:0x14
	v_add_f64_e32 v[12:13], v[30:31], v[36:37]
	s_delay_alu instid0(VALU_DEP_2) | instskip(SKIP_4) | instid1(VALU_DEP_3)
	v_cmp_gt_i32_e32 vcc_lo, 32, v20
	v_cndmask_b32_e32 v20, v44, v20, vcc_lo
	s_wait_dscnt 0x0
	v_add_f64_e32 v[16:17], v[32:33], v[42:43]
	v_cmp_eq_u32_e32 vcc_lo, 15, v27
	v_lshlrev_b32_e32 v35, 2, v20
	ds_bpermute_b32 v20, v35, v0
	ds_bpermute_b32 v21, v35, v1
	;; [unrolled: 1-line block ×16, first 2 shown]
	s_and_b32 exec_lo, exec_lo, vcc_lo
	s_cbranch_execz .LBB17_8
; %bb.36:
	s_wait_dscnt 0xc
	v_add_f64_e32 v[28:29], v[28:29], v[40:41]
	s_wait_dscnt 0x6
	v_add_f64_e32 v[38:39], v[22:23], v[38:39]
	v_add_f64_e32 v[36:37], v[18:19], v[36:37]
	s_wait_dscnt 0x0
	v_add_f64_e32 v[34:35], v[16:17], v[34:35]
	v_add_f64_e32 v[0:1], v[0:1], v[20:21]
	;; [unrolled: 1-line block ×5, first 2 shown]
	v_cmp_eq_f64_e32 vcc_lo, 0, v[2:3]
	v_cmp_eq_f64_e64 s2, 0, v[4:5]
	s_load_b64 s[0:1], s[0:1], 0x60
	v_mul_f64_e64 v[22:23], v[28:29], -v[8:9]
	v_mul_f64_e32 v[24:25], v[6:7], v[28:29]
	v_mul_f64_e64 v[18:19], v[38:39], -v[8:9]
	v_mul_f64_e32 v[20:21], v[6:7], v[38:39]
	;; [unrolled: 2-line block ×4, first 2 shown]
	s_and_b32 s2, vcc_lo, s2
	v_fmac_f64_e32 v[22:23], v[6:7], v[0:1]
	v_fmac_f64_e32 v[24:25], v[8:9], v[0:1]
	v_fmac_f64_e32 v[18:19], v[6:7], v[40:41]
	v_fmac_f64_e32 v[20:21], v[8:9], v[40:41]
	v_fmac_f64_e32 v[14:15], v[6:7], v[30:31]
	v_fmac_f64_e32 v[16:17], v[8:9], v[30:31]
	v_fmac_f64_e32 v[10:11], v[6:7], v[32:33]
	v_fmac_f64_e32 v[12:13], v[8:9], v[32:33]
	v_lshlrev_b32_e32 v0, 2, v26
	s_and_saveexec_b32 s3, s2
	s_delay_alu instid0(SALU_CYCLE_1)
	s_xor_b32 s2, exec_lo, s3
	s_cbranch_execz .LBB17_38
; %bb.37:
	s_wait_kmcnt 0x0
	s_clause 0x3
	global_store_b128 v0, v[22:25], s[0:1] scale_offset
	global_store_b128 v0, v[18:21], s[0:1] offset:16 scale_offset
	global_store_b128 v0, v[14:17], s[0:1] offset:32 scale_offset
	;; [unrolled: 1-line block ×3, first 2 shown]
                                        ; implicit-def: $vgpr4_vgpr5
                                        ; implicit-def: $vgpr22_vgpr23
                                        ; implicit-def: $vgpr0
                                        ; implicit-def: $vgpr18_vgpr19
                                        ; implicit-def: $vgpr14_vgpr15
                                        ; implicit-def: $vgpr10_vgpr11
.LBB17_38:
	s_wait_xcnt 0x0
	s_and_not1_saveexec_b32 s2, s2
	s_cbranch_execz .LBB17_8
; %bb.39:
	s_wait_kmcnt 0x0
	s_clause 0x3
	global_load_b128 v[6:9], v0, s[0:1] scale_offset
	global_load_b128 v[26:29], v0, s[0:1] offset:16 scale_offset
	global_load_b128 v[30:33], v0, s[0:1] offset:32 scale_offset
	global_load_b128 v[34:37], v0, s[0:1] offset:48 scale_offset
	s_wait_loadcnt 0x3
	v_fmac_f64_e32 v[22:23], v[2:3], v[6:7]
	v_fmac_f64_e32 v[24:25], v[4:5], v[6:7]
	s_wait_loadcnt 0x2
	v_fmac_f64_e32 v[18:19], v[2:3], v[26:27]
	v_fmac_f64_e32 v[20:21], v[4:5], v[26:27]
	;; [unrolled: 3-line block ×4, first 2 shown]
	v_fma_f64 v[22:23], -v[4:5], v[8:9], v[22:23]
	v_fmac_f64_e32 v[24:25], v[2:3], v[8:9]
	v_fma_f64 v[18:19], -v[4:5], v[28:29], v[18:19]
	v_fmac_f64_e32 v[20:21], v[2:3], v[28:29]
	;; [unrolled: 2-line block ×4, first 2 shown]
	s_clause 0x3
	global_store_b128 v0, v[22:25], s[0:1] scale_offset
	global_store_b128 v0, v[18:21], s[0:1] offset:16 scale_offset
	global_store_b128 v0, v[14:17], s[0:1] offset:32 scale_offset
	;; [unrolled: 1-line block ×3, first 2 shown]
	s_sendmsg sendmsg(MSG_DEALLOC_VGPRS)
	s_endpgm
	.section	.rodata,"a",@progbits
	.p2align	6, 0x0
	.amdhsa_kernel _ZN9rocsparseL18bsrxmvn_4x4_kernelILj128ELj16E21rocsparse_complex_numIdEiiS2_S2_S2_EEvT3_20rocsparse_direction_NS_24const_host_device_scalarIT1_EES3_PKS3_PKT2_SC_S9_PKT4_PKT5_S7_PT6_21rocsparse_index_base_b
		.amdhsa_group_segment_fixed_size 0
		.amdhsa_private_segment_fixed_size 0
		.amdhsa_kernarg_size 112
		.amdhsa_user_sgpr_count 2
		.amdhsa_user_sgpr_dispatch_ptr 0
		.amdhsa_user_sgpr_queue_ptr 0
		.amdhsa_user_sgpr_kernarg_segment_ptr 1
		.amdhsa_user_sgpr_dispatch_id 0
		.amdhsa_user_sgpr_kernarg_preload_length 0
		.amdhsa_user_sgpr_kernarg_preload_offset 0
		.amdhsa_user_sgpr_private_segment_size 0
		.amdhsa_wavefront_size32 1
		.amdhsa_uses_dynamic_stack 0
		.amdhsa_enable_private_segment 0
		.amdhsa_system_sgpr_workgroup_id_x 1
		.amdhsa_system_sgpr_workgroup_id_y 0
		.amdhsa_system_sgpr_workgroup_id_z 0
		.amdhsa_system_sgpr_workgroup_info 0
		.amdhsa_system_vgpr_workitem_id 0
		.amdhsa_next_free_vgpr 158
		.amdhsa_next_free_sgpr 14
		.amdhsa_named_barrier_count 0
		.amdhsa_reserve_vcc 1
		.amdhsa_float_round_mode_32 0
		.amdhsa_float_round_mode_16_64 0
		.amdhsa_float_denorm_mode_32 3
		.amdhsa_float_denorm_mode_16_64 3
		.amdhsa_fp16_overflow 0
		.amdhsa_memory_ordered 1
		.amdhsa_forward_progress 1
		.amdhsa_inst_pref_size 68
		.amdhsa_round_robin_scheduling 0
		.amdhsa_exception_fp_ieee_invalid_op 0
		.amdhsa_exception_fp_denorm_src 0
		.amdhsa_exception_fp_ieee_div_zero 0
		.amdhsa_exception_fp_ieee_overflow 0
		.amdhsa_exception_fp_ieee_underflow 0
		.amdhsa_exception_fp_ieee_inexact 0
		.amdhsa_exception_int_div_zero 0
	.end_amdhsa_kernel
	.section	.text._ZN9rocsparseL18bsrxmvn_4x4_kernelILj128ELj16E21rocsparse_complex_numIdEiiS2_S2_S2_EEvT3_20rocsparse_direction_NS_24const_host_device_scalarIT1_EES3_PKS3_PKT2_SC_S9_PKT4_PKT5_S7_PT6_21rocsparse_index_base_b,"axG",@progbits,_ZN9rocsparseL18bsrxmvn_4x4_kernelILj128ELj16E21rocsparse_complex_numIdEiiS2_S2_S2_EEvT3_20rocsparse_direction_NS_24const_host_device_scalarIT1_EES3_PKS3_PKT2_SC_S9_PKT4_PKT5_S7_PT6_21rocsparse_index_base_b,comdat
.Lfunc_end17:
	.size	_ZN9rocsparseL18bsrxmvn_4x4_kernelILj128ELj16E21rocsparse_complex_numIdEiiS2_S2_S2_EEvT3_20rocsparse_direction_NS_24const_host_device_scalarIT1_EES3_PKS3_PKT2_SC_S9_PKT4_PKT5_S7_PT6_21rocsparse_index_base_b, .Lfunc_end17-_ZN9rocsparseL18bsrxmvn_4x4_kernelILj128ELj16E21rocsparse_complex_numIdEiiS2_S2_S2_EEvT3_20rocsparse_direction_NS_24const_host_device_scalarIT1_EES3_PKS3_PKT2_SC_S9_PKT4_PKT5_S7_PT6_21rocsparse_index_base_b
                                        ; -- End function
	.set _ZN9rocsparseL18bsrxmvn_4x4_kernelILj128ELj16E21rocsparse_complex_numIdEiiS2_S2_S2_EEvT3_20rocsparse_direction_NS_24const_host_device_scalarIT1_EES3_PKS3_PKT2_SC_S9_PKT4_PKT5_S7_PT6_21rocsparse_index_base_b.num_vgpr, 158
	.set _ZN9rocsparseL18bsrxmvn_4x4_kernelILj128ELj16E21rocsparse_complex_numIdEiiS2_S2_S2_EEvT3_20rocsparse_direction_NS_24const_host_device_scalarIT1_EES3_PKS3_PKT2_SC_S9_PKT4_PKT5_S7_PT6_21rocsparse_index_base_b.num_agpr, 0
	.set _ZN9rocsparseL18bsrxmvn_4x4_kernelILj128ELj16E21rocsparse_complex_numIdEiiS2_S2_S2_EEvT3_20rocsparse_direction_NS_24const_host_device_scalarIT1_EES3_PKS3_PKT2_SC_S9_PKT4_PKT5_S7_PT6_21rocsparse_index_base_b.numbered_sgpr, 14
	.set _ZN9rocsparseL18bsrxmvn_4x4_kernelILj128ELj16E21rocsparse_complex_numIdEiiS2_S2_S2_EEvT3_20rocsparse_direction_NS_24const_host_device_scalarIT1_EES3_PKS3_PKT2_SC_S9_PKT4_PKT5_S7_PT6_21rocsparse_index_base_b.num_named_barrier, 0
	.set _ZN9rocsparseL18bsrxmvn_4x4_kernelILj128ELj16E21rocsparse_complex_numIdEiiS2_S2_S2_EEvT3_20rocsparse_direction_NS_24const_host_device_scalarIT1_EES3_PKS3_PKT2_SC_S9_PKT4_PKT5_S7_PT6_21rocsparse_index_base_b.private_seg_size, 0
	.set _ZN9rocsparseL18bsrxmvn_4x4_kernelILj128ELj16E21rocsparse_complex_numIdEiiS2_S2_S2_EEvT3_20rocsparse_direction_NS_24const_host_device_scalarIT1_EES3_PKS3_PKT2_SC_S9_PKT4_PKT5_S7_PT6_21rocsparse_index_base_b.uses_vcc, 1
	.set _ZN9rocsparseL18bsrxmvn_4x4_kernelILj128ELj16E21rocsparse_complex_numIdEiiS2_S2_S2_EEvT3_20rocsparse_direction_NS_24const_host_device_scalarIT1_EES3_PKS3_PKT2_SC_S9_PKT4_PKT5_S7_PT6_21rocsparse_index_base_b.uses_flat_scratch, 0
	.set _ZN9rocsparseL18bsrxmvn_4x4_kernelILj128ELj16E21rocsparse_complex_numIdEiiS2_S2_S2_EEvT3_20rocsparse_direction_NS_24const_host_device_scalarIT1_EES3_PKS3_PKT2_SC_S9_PKT4_PKT5_S7_PT6_21rocsparse_index_base_b.has_dyn_sized_stack, 0
	.set _ZN9rocsparseL18bsrxmvn_4x4_kernelILj128ELj16E21rocsparse_complex_numIdEiiS2_S2_S2_EEvT3_20rocsparse_direction_NS_24const_host_device_scalarIT1_EES3_PKS3_PKT2_SC_S9_PKT4_PKT5_S7_PT6_21rocsparse_index_base_b.has_recursion, 0
	.set _ZN9rocsparseL18bsrxmvn_4x4_kernelILj128ELj16E21rocsparse_complex_numIdEiiS2_S2_S2_EEvT3_20rocsparse_direction_NS_24const_host_device_scalarIT1_EES3_PKS3_PKT2_SC_S9_PKT4_PKT5_S7_PT6_21rocsparse_index_base_b.has_indirect_call, 0
	.section	.AMDGPU.csdata,"",@progbits
; Kernel info:
; codeLenInByte = 8648
; TotalNumSgprs: 16
; NumVgprs: 158
; ScratchSize: 0
; MemoryBound: 1
; FloatMode: 240
; IeeeMode: 1
; LDSByteSize: 0 bytes/workgroup (compile time only)
; SGPRBlocks: 0
; VGPRBlocks: 9
; NumSGPRsForWavesPerEU: 16
; NumVGPRsForWavesPerEU: 158
; NamedBarCnt: 0
; Occupancy: 6
; WaveLimiterHint : 1
; COMPUTE_PGM_RSRC2:SCRATCH_EN: 0
; COMPUTE_PGM_RSRC2:USER_SGPR: 2
; COMPUTE_PGM_RSRC2:TRAP_HANDLER: 0
; COMPUTE_PGM_RSRC2:TGID_X_EN: 1
; COMPUTE_PGM_RSRC2:TGID_Y_EN: 0
; COMPUTE_PGM_RSRC2:TGID_Z_EN: 0
; COMPUTE_PGM_RSRC2:TIDIG_COMP_CNT: 0
	.section	.text._ZN9rocsparseL18bsrxmvn_4x4_kernelILj128ELj32E21rocsparse_complex_numIdEiiS2_S2_S2_EEvT3_20rocsparse_direction_NS_24const_host_device_scalarIT1_EES3_PKS3_PKT2_SC_S9_PKT4_PKT5_S7_PT6_21rocsparse_index_base_b,"axG",@progbits,_ZN9rocsparseL18bsrxmvn_4x4_kernelILj128ELj32E21rocsparse_complex_numIdEiiS2_S2_S2_EEvT3_20rocsparse_direction_NS_24const_host_device_scalarIT1_EES3_PKS3_PKT2_SC_S9_PKT4_PKT5_S7_PT6_21rocsparse_index_base_b,comdat
	.globl	_ZN9rocsparseL18bsrxmvn_4x4_kernelILj128ELj32E21rocsparse_complex_numIdEiiS2_S2_S2_EEvT3_20rocsparse_direction_NS_24const_host_device_scalarIT1_EES3_PKS3_PKT2_SC_S9_PKT4_PKT5_S7_PT6_21rocsparse_index_base_b ; -- Begin function _ZN9rocsparseL18bsrxmvn_4x4_kernelILj128ELj32E21rocsparse_complex_numIdEiiS2_S2_S2_EEvT3_20rocsparse_direction_NS_24const_host_device_scalarIT1_EES3_PKS3_PKT2_SC_S9_PKT4_PKT5_S7_PT6_21rocsparse_index_base_b
	.p2align	8
	.type	_ZN9rocsparseL18bsrxmvn_4x4_kernelILj128ELj32E21rocsparse_complex_numIdEiiS2_S2_S2_EEvT3_20rocsparse_direction_NS_24const_host_device_scalarIT1_EES3_PKS3_PKT2_SC_S9_PKT4_PKT5_S7_PT6_21rocsparse_index_base_b,@function
_ZN9rocsparseL18bsrxmvn_4x4_kernelILj128ELj32E21rocsparse_complex_numIdEiiS2_S2_S2_EEvT3_20rocsparse_direction_NS_24const_host_device_scalarIT1_EES3_PKS3_PKT2_SC_S9_PKT4_PKT5_S7_PT6_21rocsparse_index_base_b: ; @_ZN9rocsparseL18bsrxmvn_4x4_kernelILj128ELj32E21rocsparse_complex_numIdEiiS2_S2_S2_EEvT3_20rocsparse_direction_NS_24const_host_device_scalarIT1_EES3_PKS3_PKT2_SC_S9_PKT4_PKT5_S7_PT6_21rocsparse_index_base_b
; %bb.0:
	s_clause 0x1
	s_load_b64 s[12:13], s[0:1], 0x68
	s_load_b64 s[2:3], s[0:1], 0x8
	v_mov_b32_e32 v1, 0
	s_add_nc_u64 s[4:5], s[0:1], 8
	s_load_b64 s[6:7], s[0:1], 0x50
	s_wait_kmcnt 0x0
	s_bitcmp1_b32 s13, 0
	s_cselect_b32 s3, s5, s3
	s_cselect_b32 s2, s4, s2
	flat_load_b128 v[6:9], v1, s[2:3]
	s_wait_xcnt 0x0
	s_add_nc_u64 s[2:3], s[0:1], 0x50
	s_delay_alu instid0(SALU_CYCLE_1)
	s_cselect_b32 s3, s3, s7
	s_cselect_b32 s2, s2, s6
	flat_load_b128 v[2:5], v1, s[2:3]
	s_wait_loadcnt_dscnt 0x101
	v_cmp_eq_f64_e32 vcc_lo, 0, v[6:7]
	s_wait_xcnt 0x0
	v_cmp_eq_f64_e64 s2, 0, v[8:9]
	s_and_b32 s4, vcc_lo, s2
	s_mov_b32 s2, -1
	s_and_saveexec_b32 s3, s4
	s_cbranch_execz .LBB18_2
; %bb.1:
	s_wait_loadcnt_dscnt 0x0
	v_cmp_neq_f64_e32 vcc_lo, 1.0, v[2:3]
	v_cmp_neq_f64_e64 s2, 0, v[4:5]
	s_or_b32 s2, vcc_lo, s2
	s_delay_alu instid0(SALU_CYCLE_1)
	s_or_not1_b32 s2, s2, exec_lo
.LBB18_2:
	s_or_b32 exec_lo, exec_lo, s3
	s_and_saveexec_b32 s3, s2
	s_cbranch_execz .LBB18_8
; %bb.3:
	s_clause 0x1
	s_load_b64 s[4:5], s[0:1], 0x20
	s_load_b64 s[2:3], s[0:1], 0x0
	s_bfe_u32 s6, ttmp6, 0x4000c
	s_and_b32 s7, ttmp6, 15
	s_add_co_i32 s6, s6, 1
	s_getreg_b32 s8, hwreg(HW_REG_IB_STS2, 6, 4)
	s_mul_i32 s6, ttmp9, s6
	v_lshrrev_b32_e32 v1, 5, v0
	s_add_co_i32 s7, s7, s6
	s_cmp_eq_u32 s8, 0
	s_cselect_b32 s6, ttmp9, s7
	s_delay_alu instid0(VALU_DEP_1) | instid1(SALU_CYCLE_1)
	v_lshl_or_b32 v26, s6, 2, v1
	s_mov_b32 s6, 0
	s_wait_kmcnt 0x0
	s_cmp_lg_u64 s[4:5], 0
	s_cbranch_scc0 .LBB18_9
; %bb.4:
	s_load_b32 s6, s[0:1], 0x18
	s_mov_b32 s7, 0
                                        ; implicit-def: $vgpr1
	s_wait_kmcnt 0x0
	v_cmp_gt_i32_e32 vcc_lo, s6, v26
	s_mov_b32 s6, 0
	s_and_saveexec_b32 s8, vcc_lo
	s_delay_alu instid0(SALU_CYCLE_1)
	s_xor_b32 s8, exec_lo, s8
	s_cbranch_execz .LBB18_6
; %bb.5:
	global_load_b32 v1, v26, s[4:5] scale_offset
	s_mov_b32 s6, exec_lo
	s_wait_loadcnt 0x0
	v_subrev_nc_u32_e32 v1, s12, v1
.LBB18_6:
	s_or_b32 exec_lo, exec_lo, s8
	s_delay_alu instid0(SALU_CYCLE_1)
	s_and_b32 vcc_lo, exec_lo, s7
	s_cbranch_vccz .LBB18_10
.LBB18_7:
	v_cmp_gt_i32_e32 vcc_lo, s2, v26
	s_and_not1_b32 s2, s6, exec_lo
	s_and_b32 s4, vcc_lo, exec_lo
	s_delay_alu instid0(SALU_CYCLE_1) | instskip(NEXT) | instid1(SALU_CYCLE_1)
	s_or_b32 s6, s2, s4
	s_and_b32 exec_lo, exec_lo, s6
	s_cbranch_execnz .LBB18_11
.LBB18_8:
	s_sendmsg sendmsg(MSG_DEALLOC_VGPRS)
	s_endpgm
.LBB18_9:
                                        ; implicit-def: $vgpr1
	s_cbranch_execnz .LBB18_7
.LBB18_10:
	s_delay_alu instid0(VALU_DEP_1)
	v_mov_b32_e32 v26, v1
	s_and_b32 exec_lo, exec_lo, s6
	s_cbranch_execz .LBB18_8
.LBB18_11:
	s_load_b256 s[4:11], s[0:1], 0x28
	s_wait_kmcnt 0x0
	global_load_b32 v32, v26, s[4:5] scale_offset
	s_cmp_eq_u64 s[6:7], 0
	s_cselect_b32 vcc_lo, -1, 0
	v_ashrrev_i32_e32 v27, 31, v26
	s_cmp_eq_u32 s3, 1
	s_delay_alu instid0(VALU_DEP_1) | instskip(SKIP_1) | instid1(VALU_DEP_2)
	v_lshlrev_b64_e32 v[10:11], 2, v[26:27]
	v_and_b32_e32 v27, 31, v0
	v_add_nc_u64_e32 v[12:13], s[4:5], v[10:11]
	v_add_nc_u64_e32 v[10:11], s[6:7], v[10:11]
	s_wait_xcnt 0x0
	s_load_b64 s[4:5], s[0:1], 0x48
	s_delay_alu instid0(VALU_DEP_2) | instskip(NEXT) | instid1(VALU_DEP_1)
	v_add_nc_u64_e32 v[12:13], 4, v[12:13]
	v_cndmask_b32_e32 v11, v11, v13, vcc_lo
	s_wait_loadcnt 0x0
	v_subrev_nc_u32_e32 v0, s12, v32
	s_delay_alu instid0(VALU_DEP_1) | instskip(SKIP_2) | instid1(VALU_DEP_1)
	v_dual_cndmask_b32 v10, v10, v12, vcc_lo :: v_dual_add_nc_u32 v16, v0, v27
	global_load_b32 v10, v[10:11], off
	v_ashrrev_i32_e32 v17, 31, v16
	v_lshlrev_b64_e32 v[0:1], 8, v[16:17]
	s_delay_alu instid0(VALU_DEP_1) | instskip(SKIP_2) | instid1(VALU_DEP_1)
	v_add_nc_u64_e32 v[18:19], s[10:11], v[0:1]
	s_wait_loadcnt 0x0
	v_subrev_nc_u32_e32 v17, s12, v10
	v_cmp_lt_i32_e64 s2, v16, v17
	s_cbranch_scc1 .LBB18_23
; %bb.12:
	v_mov_b64_e32 v[0:1], 0
	v_mov_b64_e32 v[28:29], 0
	;; [unrolled: 1-line block ×8, first 2 shown]
	s_and_saveexec_b32 s3, s2
	s_cbranch_execz .LBB18_22
; %bb.13:
	v_add_nc_u32_e32 v0, v32, v27
	v_not_b32_e32 v1, v32
	v_mov_b64_e32 v[12:13], 0
	v_mov_b64_e32 v[24:25], 0
	;; [unrolled: 1-line block ×3, first 2 shown]
	v_subrev_nc_u32_e32 v0, s12, v0
	v_mov_b64_e32 v[22:23], 0
	v_mov_b64_e32 v[10:11], 0
	;; [unrolled: 1-line block ×4, first 2 shown]
	v_add_max_i32_e64 v0, v0, 32, v17
	v_mov_b64_e32 v[30:31], v[18:19]
	s_delay_alu instid0(VALU_DEP_2) | instskip(NEXT) | instid1(VALU_DEP_1)
	v_add3_u32 v0, s12, v0, v1
	v_sub_nc_u32_e32 v34, v0, v27
	v_mov_b64_e32 v[0:1], 0
	s_delay_alu instid0(VALU_DEP_2) | instskip(NEXT) | instid1(VALU_DEP_1)
	v_and_b32_e32 v33, 0x60, v34
	v_cmp_ne_u32_e32 vcc_lo, 0x60, v33
	v_mov_b32_e32 v33, v16
	s_and_saveexec_b32 s6, vcc_lo
	s_cbranch_execz .LBB18_17
; %bb.14:
	v_dual_mov_b32 v33, v16 :: v_dual_lshrrev_b32 v10, 5, v34
	v_mov_b64_e32 v[0:1], 0
	v_mov_b64_e32 v[28:29], 0
	;; [unrolled: 1-line block ×3, first 2 shown]
	s_delay_alu instid0(VALU_DEP_4)
	v_add_nc_u32_e32 v12, 1, v10
	v_mov_b64_e32 v[10:11], 0
	v_mov_b64_e32 v[22:23], 0
	;; [unrolled: 1-line block ×4, first 2 shown]
	v_and_b32_e32 v30, 3, v12
	v_mov_b64_e32 v[12:13], 0
	s_mov_b32 s7, 0
	s_delay_alu instid0(VALU_DEP_2)
	v_sub_nc_u32_e32 v35, 0, v30
	v_mov_b64_e32 v[30:31], v[18:19]
.LBB18_15:                              ; =>This Inner Loop Header: Depth=1
	global_load_b32 v68, v33, s[8:9] scale_offset
	s_clause 0x7
	global_load_b128 v[36:39], v[30:31], off offset:16
	global_load_b128 v[40:43], v[30:31], off
	global_load_b128 v[44:47], v[30:31], off offset:80
	global_load_b128 v[48:51], v[30:31], off offset:64
	global_load_b128 v[52:55], v[30:31], off offset:144
	global_load_b128 v[56:59], v[30:31], off offset:128
	global_load_b128 v[60:63], v[30:31], off offset:208
	global_load_b128 v[64:67], v[30:31], off offset:192
	v_add_co_u32 v35, s10, v35, 1
	s_or_b32 s7, s10, s7
	s_wait_xcnt 0x8
	v_add_nc_u32_e32 v33, 32, v33
	s_wait_loadcnt 0x8
	v_subrev_nc_u32_e32 v68, s12, v68
	s_delay_alu instid0(VALU_DEP_1)
	v_lshlrev_b32_e32 v116, 2, v68
	s_wait_kmcnt 0x0
	s_clause 0x1
	global_load_b128 v[68:71], v116, s[4:5] scale_offset
	global_load_b128 v[72:75], v116, s[4:5] offset:16 scale_offset
	s_clause 0x7
	global_load_b128 v[76:79], v[30:31], off offset:48
	global_load_b128 v[80:83], v[30:31], off offset:32
	;; [unrolled: 1-line block ×8, first 2 shown]
	s_clause 0x1
	global_load_b128 v[108:111], v116, s[4:5] offset:32 scale_offset
	global_load_b128 v[112:115], v116, s[4:5] offset:48 scale_offset
	s_wait_xcnt 0x2
	v_add_nc_u64_e32 v[30:31], 0x2000, v[30:31]
	s_wait_loadcnt 0xb
	v_fmac_f64_e32 v[28:29], v[40:41], v[68:69]
	v_fmac_f64_e32 v[0:1], v[42:43], v[68:69]
	v_fmac_f64_e32 v[24:25], v[48:49], v[68:69]
	v_fmac_f64_e32 v[12:13], v[50:51], v[68:69]
	v_fmac_f64_e32 v[22:23], v[56:57], v[68:69]
	v_fmac_f64_e32 v[14:15], v[58:59], v[68:69]
	v_fmac_f64_e32 v[20:21], v[64:65], v[68:69]
	v_fmac_f64_e32 v[10:11], v[66:67], v[68:69]
	v_fma_f64 v[28:29], -v[42:43], v[70:71], v[28:29]
	v_fmac_f64_e32 v[0:1], v[40:41], v[70:71]
	v_fma_f64 v[24:25], -v[50:51], v[70:71], v[24:25]
	v_fmac_f64_e32 v[12:13], v[48:49], v[70:71]
	v_fma_f64 v[22:23], -v[58:59], v[70:71], v[22:23]
	v_fmac_f64_e32 v[14:15], v[56:57], v[70:71]
	v_fma_f64 v[20:21], -v[66:67], v[70:71], v[20:21]
	v_fmac_f64_e32 v[10:11], v[64:65], v[70:71]
	s_wait_loadcnt 0xa
	v_fmac_f64_e32 v[28:29], v[36:37], v[72:73]
	v_fmac_f64_e32 v[0:1], v[38:39], v[72:73]
	v_fmac_f64_e32 v[24:25], v[44:45], v[72:73]
	v_fmac_f64_e32 v[12:13], v[46:47], v[72:73]
	v_fmac_f64_e32 v[22:23], v[52:53], v[72:73]
	v_fmac_f64_e32 v[14:15], v[54:55], v[72:73]
	v_fmac_f64_e32 v[20:21], v[60:61], v[72:73]
	v_fmac_f64_e32 v[10:11], v[62:63], v[72:73]
	v_fma_f64 v[28:29], -v[38:39], v[74:75], v[28:29]
	v_fmac_f64_e32 v[0:1], v[36:37], v[74:75]
	v_fma_f64 v[24:25], -v[46:47], v[74:75], v[24:25]
	v_fmac_f64_e32 v[12:13], v[44:45], v[74:75]
	v_fma_f64 v[22:23], -v[54:55], v[74:75], v[22:23]
	v_fmac_f64_e32 v[14:15], v[52:53], v[74:75]
	v_fma_f64 v[20:21], -v[62:63], v[74:75], v[20:21]
	v_fmac_f64_e32 v[10:11], v[60:61], v[74:75]
	;; [unrolled: 17-line block ×4, first 2 shown]
	s_and_not1_b32 exec_lo, exec_lo, s7
	s_cbranch_execnz .LBB18_15
; %bb.16:
	s_or_b32 exec_lo, exec_lo, s7
.LBB18_17:
	s_delay_alu instid0(SALU_CYCLE_1) | instskip(NEXT) | instid1(SALU_CYCLE_1)
	s_or_b32 exec_lo, exec_lo, s6
	s_mov_b32 s6, exec_lo
	v_cmpx_lt_u32_e32 0x5f, v34
	s_cbranch_execz .LBB18_21
; %bb.18:
	s_mov_b32 s7, 0
.LBB18_19:                              ; =>This Inner Loop Header: Depth=1
	global_load_b32 v142, v33, s[8:9] scale_offset
	s_clause 0x13
	global_load_b128 v[34:37], v[30:31], off offset:48
	global_load_b128 v[38:41], v[30:31], off offset:32
	global_load_b128 v[42:45], v[30:31], off offset:16
	global_load_b128 v[46:49], v[30:31], off
	global_load_b128 v[50:53], v[30:31], off offset:112
	global_load_b128 v[54:57], v[30:31], off offset:96
	;; [unrolled: 1-line block ×16, first 2 shown]
	s_clause 0x2
	global_load_b32 v154, v33, s[8:9] offset:128 scale_offset
	global_load_b32 v155, v33, s[8:9] offset:256 scale_offset
	;; [unrolled: 1-line block ×3, first 2 shown]
	s_clause 0x6
	global_load_b128 v[114:117], v[30:31], off offset:8304
	global_load_b128 v[118:121], v[30:31], off offset:8288
	;; [unrolled: 1-line block ×7, first 2 shown]
	s_wait_xcnt 0x7
	v_add_nc_u32_e32 v33, 0x80, v33
	s_delay_alu instid0(VALU_DEP_1) | instskip(SKIP_3) | instid1(VALU_DEP_1)
	v_cmp_ge_i32_e32 vcc_lo, v33, v17
	s_or_b32 s7, vcc_lo, s7
	s_wait_loadcnt 0x1e
	v_subrev_nc_u32_e32 v142, s12, v142
	v_lshlrev_b32_e32 v157, 2, v142
	s_wait_kmcnt 0x0
	s_clause 0x1
	global_load_b128 v[142:145], v157, s[4:5] scale_offset
	global_load_b128 v[146:149], v157, s[4:5] offset:16 scale_offset
	s_wait_loadcnt 0x1
	v_fmac_f64_e32 v[28:29], v[46:47], v[142:143]
	v_fmac_f64_e32 v[0:1], v[48:49], v[142:143]
	;; [unrolled: 1-line block ×8, first 2 shown]
	v_fma_f64 v[28:29], -v[48:49], v[144:145], v[28:29]
	v_fmac_f64_e32 v[0:1], v[46:47], v[144:145]
	v_fma_f64 v[150:151], -v[64:65], v[144:145], v[24:25]
	v_fmac_f64_e32 v[12:13], v[62:63], v[144:145]
	;; [unrolled: 2-line block ×4, first 2 shown]
	s_clause 0x4
	global_load_b128 v[46:49], v[30:31], off offset:8320
	global_load_b128 v[22:25], v[30:31], off offset:8416
	;; [unrolled: 1-line block ×5, first 2 shown]
	s_wait_loadcnt 0x5
	v_fmac_f64_e32 v[28:29], v[42:43], v[146:147]
	v_fmac_f64_e32 v[0:1], v[44:45], v[146:147]
	v_fmac_f64_e32 v[150:151], v[58:59], v[146:147]
	v_fmac_f64_e32 v[12:13], v[60:61], v[146:147]
	v_fmac_f64_e32 v[152:153], v[74:75], v[146:147]
	v_fmac_f64_e32 v[14:15], v[76:77], v[146:147]
	v_fmac_f64_e32 v[20:21], v[90:91], v[146:147]
	v_fmac_f64_e32 v[10:11], v[92:93], v[146:147]
	v_fma_f64 v[28:29], -v[44:45], v[148:149], v[28:29]
	v_fmac_f64_e32 v[0:1], v[42:43], v[148:149]
	global_load_b128 v[42:45], v[30:31], off offset:16432
	v_fma_f64 v[150:151], -v[60:61], v[148:149], v[150:151]
	v_fmac_f64_e32 v[12:13], v[58:59], v[148:149]
	global_load_b128 v[58:61], v[30:31], off offset:16416
	;; [unrolled: 3-line block ×3, first 2 shown]
	v_fma_f64 v[20:21], -v[92:93], v[148:149], v[20:21]
	v_fmac_f64_e32 v[10:11], v[90:91], v[148:149]
	s_clause 0x1
	global_load_b128 v[90:93], v157, s[4:5] offset:32 scale_offset
	global_load_b128 v[142:145], v157, s[4:5] offset:48 scale_offset
	s_wait_loadcnt 0x1
	v_fmac_f64_e32 v[28:29], v[38:39], v[90:91]
	v_fmac_f64_e32 v[0:1], v[40:41], v[90:91]
	;; [unrolled: 1-line block ×8, first 2 shown]
	v_fma_f64 v[28:29], -v[40:41], v[92:93], v[28:29]
	v_fmac_f64_e32 v[0:1], v[38:39], v[92:93]
	v_fma_f64 v[146:147], -v[56:57], v[92:93], v[150:151]
	v_fmac_f64_e32 v[12:13], v[54:55], v[92:93]
	;; [unrolled: 2-line block ×4, first 2 shown]
	v_subrev_nc_u32_e32 v150, s12, v154
	s_clause 0x4
	global_load_b128 v[38:41], v[30:31], off offset:16384
	global_load_b128 v[70:73], v[30:31], off offset:16480
	global_load_b128 v[54:57], v[30:31], off offset:16496
	global_load_b128 v[86:89], v[30:31], off offset:16464
	global_load_b128 v[90:93], v[30:31], off offset:16448
	v_lshlrev_b32_e32 v150, 2, v150
	s_wait_loadcnt 0x5
	v_fmac_f64_e32 v[28:29], v[34:35], v[142:143]
	v_fmac_f64_e32 v[0:1], v[36:37], v[142:143]
	;; [unrolled: 1-line block ×8, first 2 shown]
	v_fma_f64 v[28:29], -v[36:37], v[144:145], v[28:29]
	v_fmac_f64_e32 v[0:1], v[34:35], v[144:145]
	global_load_b128 v[34:37], v[30:31], off offset:16560
	v_fma_f64 v[146:147], -v[52:53], v[144:145], v[146:147]
	v_fmac_f64_e32 v[12:13], v[50:51], v[144:145]
	global_load_b128 v[50:53], v[30:31], off offset:16544
	;; [unrolled: 3-line block ×3, first 2 shown]
	v_fma_f64 v[20:21], -v[84:85], v[144:145], v[20:21]
	v_fmac_f64_e32 v[10:11], v[82:83], v[144:145]
	s_clause 0x1
	global_load_b128 v[82:85], v150, s[4:5] scale_offset
	global_load_b128 v[142:145], v150, s[4:5] offset:16 scale_offset
	s_wait_loadcnt 0x1
	v_fmac_f64_e32 v[28:29], v[110:111], v[82:83]
	v_fmac_f64_e32 v[0:1], v[112:113], v[82:83]
	;; [unrolled: 1-line block ×8, first 2 shown]
	v_fma_f64 v[28:29], -v[112:113], v[84:85], v[28:29]
	v_fmac_f64_e32 v[0:1], v[110:111], v[84:85]
	v_fma_f64 v[146:147], -v[128:129], v[84:85], v[146:147]
	v_fmac_f64_e32 v[12:13], v[126:127], v[84:85]
	;; [unrolled: 2-line block ×4, first 2 shown]
	s_clause 0x4
	global_load_b128 v[110:113], v[30:31], off offset:16512
	global_load_b128 v[46:49], v[30:31], off offset:16608
	;; [unrolled: 1-line block ×5, first 2 shown]
	s_wait_loadcnt 0x5
	v_fmac_f64_e32 v[28:29], v[106:107], v[142:143]
	v_fmac_f64_e32 v[0:1], v[108:109], v[142:143]
	;; [unrolled: 1-line block ×8, first 2 shown]
	v_fma_f64 v[28:29], -v[108:109], v[144:145], v[28:29]
	v_fmac_f64_e32 v[0:1], v[106:107], v[144:145]
	global_load_b128 v[106:109], v[30:31], off offset:24624
	v_fma_f64 v[146:147], -v[124:125], v[144:145], v[146:147]
	v_fmac_f64_e32 v[12:13], v[122:123], v[144:145]
	global_load_b128 v[122:125], v[30:31], off offset:24608
	;; [unrolled: 3-line block ×3, first 2 shown]
	v_fma_f64 v[20:21], -v[80:81], v[144:145], v[20:21]
	v_fmac_f64_e32 v[10:11], v[78:79], v[144:145]
	s_clause 0x1
	global_load_b128 v[78:81], v150, s[4:5] offset:32 scale_offset
	global_load_b128 v[142:145], v150, s[4:5] offset:48 scale_offset
	s_wait_xcnt 0x0
	v_subrev_nc_u32_e32 v150, s12, v155
	s_delay_alu instid0(VALU_DEP_1)
	v_lshlrev_b32_e32 v150, 2, v150
	s_wait_loadcnt 0x1
	v_fmac_f64_e32 v[28:29], v[102:103], v[78:79]
	v_fmac_f64_e32 v[0:1], v[104:105], v[78:79]
	;; [unrolled: 1-line block ×8, first 2 shown]
	v_fma_f64 v[28:29], -v[104:105], v[80:81], v[28:29]
	v_fmac_f64_e32 v[0:1], v[102:103], v[80:81]
	global_load_b128 v[102:105], v[30:31], off offset:24576
	v_fma_f64 v[146:147], -v[120:121], v[80:81], v[146:147]
	v_fmac_f64_e32 v[12:13], v[118:119], v[80:81]
	global_load_b128 v[118:121], v[30:31], off offset:24688
	;; [unrolled: 3-line block ×3, first 2 shown]
	v_fma_f64 v[24:25], -v[24:25], v[80:81], v[20:21]
	v_fmac_f64_e32 v[10:11], v[22:23], v[80:81]
	s_clause 0x1
	global_load_b128 v[20:23], v[30:31], off offset:24656
	global_load_b128 v[78:81], v[30:31], off offset:24640
	s_wait_loadcnt 0x5
	v_fmac_f64_e32 v[28:29], v[98:99], v[142:143]
	v_fmac_f64_e32 v[0:1], v[100:101], v[142:143]
	;; [unrolled: 1-line block ×8, first 2 shown]
	v_fma_f64 v[28:29], -v[100:101], v[144:145], v[28:29]
	v_fmac_f64_e32 v[0:1], v[98:99], v[144:145]
	global_load_b128 v[98:101], v150, s[4:5] scale_offset
	v_fma_f64 v[146:147], -v[116:117], v[144:145], v[146:147]
	v_fmac_f64_e32 v[12:13], v[114:115], v[144:145]
	global_load_b128 v[114:117], v150, s[4:5] offset:16 scale_offset
	v_fma_f64 v[148:149], -v[132:133], v[144:145], v[148:149]
	v_fmac_f64_e32 v[14:15], v[130:131], v[144:145]
	global_load_b128 v[130:133], v[30:31], off offset:24720
	v_fma_f64 v[24:25], -v[64:65], v[144:145], v[24:25]
	v_fmac_f64_e32 v[10:11], v[62:63], v[144:145]
	global_load_b128 v[62:65], v[30:31], off offset:24704
	global_load_b128 v[142:145], v150, s[4:5] offset:32 scale_offset
	s_wait_loadcnt 0x4
	v_fmac_f64_e32 v[28:29], v[38:39], v[98:99]
	v_fmac_f64_e32 v[0:1], v[40:41], v[98:99]
	;; [unrolled: 1-line block ×8, first 2 shown]
	v_fma_f64 v[28:29], -v[40:41], v[100:101], v[28:29]
	v_fmac_f64_e32 v[0:1], v[38:39], v[100:101]
	global_load_b128 v[38:41], v150, s[4:5] offset:48 scale_offset
	s_wait_xcnt 0x0
	v_subrev_nc_u32_e32 v150, s12, v156
	v_fma_f64 v[146:147], -v[92:93], v[100:101], v[146:147]
	v_fmac_f64_e32 v[12:13], v[90:91], v[100:101]
	global_load_b128 v[90:93], v[30:31], off offset:24768
	v_dual_fma_f64 v[148:149], -v[112:113], v[100:101], v[148:149] :: v_dual_lshlrev_b32 v154, 2, v150
	v_fmac_f64_e32 v[14:15], v[110:111], v[100:101]
	v_fma_f64 v[24:25], -v[96:97], v[100:101], v[24:25]
	v_fmac_f64_e32 v[10:11], v[94:95], v[100:101]
	global_load_b128 v[110:113], v154, s[4:5] scale_offset
	s_clause 0x1
	global_load_b128 v[94:97], v[30:31], off offset:24784
	global_load_b128 v[98:101], v[30:31], off offset:24736
	s_wait_loadcnt 0x8
	v_fmac_f64_e32 v[28:29], v[74:75], v[114:115]
	v_fmac_f64_e32 v[0:1], v[76:77], v[114:115]
	;; [unrolled: 1-line block ×8, first 2 shown]
	v_fma_f64 v[28:29], -v[76:77], v[116:117], v[28:29]
	v_fmac_f64_e32 v[0:1], v[74:75], v[116:117]
	global_load_b128 v[74:77], v154, s[4:5] offset:16 scale_offset
	v_fma_f64 v[150:151], -v[88:89], v[116:117], v[146:147]
	v_fmac_f64_e32 v[12:13], v[86:87], v[116:117]
	global_load_b128 v[86:89], v[30:31], off offset:24800
	v_fma_f64 v[152:153], -v[68:69], v[116:117], v[148:149]
	v_fmac_f64_e32 v[14:15], v[66:67], v[116:117]
	global_load_b128 v[66:69], v154, s[4:5] offset:32 scale_offset
	v_fma_f64 v[24:25], -v[84:85], v[116:117], v[24:25]
	v_fmac_f64_e32 v[10:11], v[82:83], v[116:117]
	s_clause 0x1
	global_load_b128 v[82:85], v[30:31], off offset:24752
	global_load_b128 v[114:117], v[30:31], off offset:24816
	global_load_b128 v[146:149], v154, s[4:5] offset:48 scale_offset
	s_wait_xcnt 0x1
	v_add_nc_u64_e32 v[30:31], 0x8000, v[30:31]
	s_wait_loadcnt 0xb
	v_fmac_f64_e32 v[28:29], v[58:59], v[142:143]
	v_fmac_f64_e32 v[0:1], v[60:61], v[142:143]
	v_fmac_f64_e32 v[150:151], v[70:71], v[142:143]
	v_fmac_f64_e32 v[12:13], v[72:73], v[142:143]
	v_fmac_f64_e32 v[152:153], v[50:51], v[142:143]
	v_fmac_f64_e32 v[14:15], v[52:53], v[142:143]
	v_fmac_f64_e32 v[24:25], v[46:47], v[142:143]
	v_fmac_f64_e32 v[10:11], v[48:49], v[142:143]
	v_fma_f64 v[28:29], -v[60:61], v[144:145], v[28:29]
	v_fmac_f64_e32 v[0:1], v[58:59], v[144:145]
	v_fma_f64 v[58:59], -v[72:73], v[144:145], v[150:151]
	v_fmac_f64_e32 v[12:13], v[70:71], v[144:145]
	v_fma_f64 v[52:53], -v[52:53], v[144:145], v[152:153]
	v_fmac_f64_e32 v[14:15], v[50:51], v[144:145]
	v_fma_f64 v[24:25], -v[48:49], v[144:145], v[24:25]
	v_fmac_f64_e32 v[10:11], v[46:47], v[144:145]
	s_wait_loadcnt 0xa
	v_fmac_f64_e32 v[28:29], v[42:43], v[38:39]
	v_fmac_f64_e32 v[0:1], v[44:45], v[38:39]
	v_fmac_f64_e32 v[58:59], v[54:55], v[38:39]
	v_fmac_f64_e32 v[12:13], v[56:57], v[38:39]
	v_fmac_f64_e32 v[52:53], v[34:35], v[38:39]
	v_fmac_f64_e32 v[14:15], v[36:37], v[38:39]
	v_fmac_f64_e32 v[24:25], v[126:127], v[38:39]
	v_fmac_f64_e32 v[10:11], v[128:129], v[38:39]
	v_fma_f64 v[28:29], -v[44:45], v[40:41], v[28:29]
	v_fmac_f64_e32 v[0:1], v[42:43], v[40:41]
	v_fma_f64 v[38:39], -v[56:57], v[40:41], v[58:59]
	v_fmac_f64_e32 v[12:13], v[54:55], v[40:41]
	v_fma_f64 v[36:37], -v[36:37], v[40:41], v[52:53]
	v_fmac_f64_e32 v[14:15], v[34:35], v[40:41]
	v_fma_f64 v[24:25], -v[128:129], v[40:41], v[24:25]
	v_fmac_f64_e32 v[10:11], v[126:127], v[40:41]
	;; [unrolled: 17-line block ×6, first 2 shown]
	s_and_not1_b32 exec_lo, exec_lo, s7
	s_cbranch_execnz .LBB18_19
; %bb.20:
	s_or_b32 exec_lo, exec_lo, s7
.LBB18_21:
	s_delay_alu instid0(SALU_CYCLE_1)
	s_or_b32 exec_lo, exec_lo, s6
.LBB18_22:
	s_delay_alu instid0(SALU_CYCLE_1)
	s_or_b32 exec_lo, exec_lo, s3
	s_cbranch_execz .LBB18_24
	s_branch .LBB18_35
.LBB18_23:
                                        ; implicit-def: $vgpr0_vgpr1
                                        ; implicit-def: $vgpr28_vgpr29
                                        ; implicit-def: $vgpr20_vgpr21
                                        ; implicit-def: $vgpr10_vgpr11
                                        ; implicit-def: $vgpr22_vgpr23
                                        ; implicit-def: $vgpr14_vgpr15
                                        ; implicit-def: $vgpr24_vgpr25
                                        ; implicit-def: $vgpr12_vgpr13
.LBB18_24:
	v_mov_b64_e32 v[0:1], 0
	v_mov_b64_e32 v[28:29], 0
	;; [unrolled: 1-line block ×8, first 2 shown]
	s_and_saveexec_b32 s3, s2
	s_cbranch_execz .LBB18_34
; %bb.25:
	v_add_nc_u32_e32 v0, v32, v27
	v_not_b32_e32 v1, v32
	v_mov_b64_e32 v[12:13], 0
	v_mov_b64_e32 v[24:25], 0
	;; [unrolled: 1-line block ×3, first 2 shown]
	v_subrev_nc_u32_e32 v0, s12, v0
	v_mov_b64_e32 v[22:23], 0
	v_mov_b64_e32 v[10:11], 0
	;; [unrolled: 1-line block ×4, first 2 shown]
	v_add_max_i32_e64 v0, v0, 32, v17
	s_mov_b32 s2, exec_lo
	s_delay_alu instid0(VALU_DEP_1) | instskip(NEXT) | instid1(VALU_DEP_1)
	v_add3_u32 v0, s12, v0, v1
	v_sub_nc_u32_e32 v30, v0, v27
	v_mov_b64_e32 v[0:1], 0
	s_delay_alu instid0(VALU_DEP_2) | instskip(NEXT) | instid1(VALU_DEP_1)
	v_and_b32_e32 v31, 0x60, v30
	v_cmpx_ne_u32_e32 0x60, v31
	s_cbranch_execz .LBB18_29
; %bb.26:
	v_lshrrev_b32_e32 v0, 5, v30
	v_mov_b64_e32 v[28:29], 0
	v_mov_b64_e32 v[20:21], 0
	;; [unrolled: 1-line block ×4, first 2 shown]
	v_add_nc_u32_e32 v12, 1, v0
	v_mov_b64_e32 v[0:1], 0
	v_mov_b64_e32 v[14:15], 0
	v_mov_b64_e32 v[24:25], 0
	s_mov_b32 s6, 0
	v_and_b32_e32 v31, 3, v12
	v_mov_b64_e32 v[12:13], 0
	s_delay_alu instid0(VALU_DEP_2)
	v_sub_nc_u32_e32 v31, 0, v31
.LBB18_27:                              ; =>This Inner Loop Header: Depth=1
	global_load_b32 v48, v16, s[8:9] scale_offset
	s_clause 0x3
	global_load_b128 v[32:35], v[18:19], off offset:48
	global_load_b128 v[36:39], v[18:19], off offset:32
	;; [unrolled: 1-line block ×3, first 2 shown]
	global_load_b128 v[44:47], v[18:19], off
	v_add_co_u32 v31, s7, v31, 1
	s_or_b32 s6, s7, s6
	s_wait_xcnt 0x4
	v_add_nc_u32_e32 v16, 32, v16
	s_wait_loadcnt 0x4
	v_subrev_nc_u32_e32 v48, s12, v48
	s_delay_alu instid0(VALU_DEP_1)
	v_lshlrev_b32_e32 v108, 2, v48
	s_wait_kmcnt 0x0
	global_load_b128 v[48:51], v108, s[4:5] scale_offset
	s_clause 0x3
	global_load_b128 v[52:55], v[18:19], off offset:112
	global_load_b128 v[56:59], v[18:19], off offset:96
	;; [unrolled: 1-line block ×4, first 2 shown]
	global_load_b128 v[68:71], v108, s[4:5] offset:16 scale_offset
	s_clause 0x3
	global_load_b128 v[72:75], v[18:19], off offset:176
	global_load_b128 v[76:79], v[18:19], off offset:160
	;; [unrolled: 1-line block ×4, first 2 shown]
	s_clause 0x1
	global_load_b128 v[88:91], v108, s[4:5] offset:32 scale_offset
	global_load_b128 v[92:95], v108, s[4:5] offset:48 scale_offset
	s_clause 0x3
	global_load_b128 v[96:99], v[18:19], off offset:192
	global_load_b128 v[100:103], v[18:19], off offset:208
	;; [unrolled: 1-line block ×3, first 2 shown]
	; meta instruction
	global_load_b128 v[108:111], v[18:19], off offset:240
	s_wait_xcnt 0x0
	v_add_nc_u64_e32 v[18:19], 0x2000, v[18:19]
	s_wait_loadcnt 0xf
	v_fmac_f64_e32 v[28:29], v[44:45], v[48:49]
	v_fmac_f64_e32 v[0:1], v[46:47], v[48:49]
	v_fmac_f64_e32 v[24:25], v[40:41], v[48:49]
	v_fmac_f64_e32 v[12:13], v[42:43], v[48:49]
	v_fmac_f64_e32 v[22:23], v[36:37], v[48:49]
	v_fmac_f64_e32 v[14:15], v[38:39], v[48:49]
	v_fmac_f64_e32 v[20:21], v[32:33], v[48:49]
	v_fmac_f64_e32 v[10:11], v[34:35], v[48:49]
	v_fma_f64 v[28:29], -v[46:47], v[50:51], v[28:29]
	v_fmac_f64_e32 v[0:1], v[44:45], v[50:51]
	v_fma_f64 v[24:25], -v[42:43], v[50:51], v[24:25]
	v_fmac_f64_e32 v[12:13], v[40:41], v[50:51]
	v_fma_f64 v[22:23], -v[38:39], v[50:51], v[22:23]
	v_fmac_f64_e32 v[14:15], v[36:37], v[50:51]
	v_fma_f64 v[20:21], -v[34:35], v[50:51], v[20:21]
	v_fmac_f64_e32 v[10:11], v[32:33], v[50:51]
	s_wait_loadcnt 0xa
	v_fmac_f64_e32 v[28:29], v[64:65], v[68:69]
	v_fmac_f64_e32 v[0:1], v[66:67], v[68:69]
	v_fmac_f64_e32 v[24:25], v[60:61], v[68:69]
	v_fmac_f64_e32 v[12:13], v[62:63], v[68:69]
	v_fmac_f64_e32 v[22:23], v[56:57], v[68:69]
	v_fmac_f64_e32 v[14:15], v[58:59], v[68:69]
	v_fmac_f64_e32 v[20:21], v[52:53], v[68:69]
	v_fmac_f64_e32 v[10:11], v[54:55], v[68:69]
	v_fma_f64 v[28:29], -v[66:67], v[70:71], v[28:29]
	v_fmac_f64_e32 v[0:1], v[64:65], v[70:71]
	v_fma_f64 v[24:25], -v[62:63], v[70:71], v[24:25]
	v_fmac_f64_e32 v[12:13], v[60:61], v[70:71]
	v_fma_f64 v[22:23], -v[58:59], v[70:71], v[22:23]
	v_fmac_f64_e32 v[14:15], v[56:57], v[70:71]
	v_fma_f64 v[20:21], -v[54:55], v[70:71], v[20:21]
	v_fmac_f64_e32 v[10:11], v[52:53], v[70:71]
	;; [unrolled: 17-line block ×3, first 2 shown]
	s_wait_loadcnt 0x3
	v_fmac_f64_e32 v[28:29], v[96:97], v[92:93]
	v_fmac_f64_e32 v[0:1], v[98:99], v[92:93]
	s_wait_loadcnt 0x2
	v_fmac_f64_e32 v[24:25], v[100:101], v[92:93]
	v_fmac_f64_e32 v[12:13], v[102:103], v[92:93]
	;; [unrolled: 3-line block ×4, first 2 shown]
	v_fma_f64 v[28:29], -v[98:99], v[94:95], v[28:29]
	v_fmac_f64_e32 v[0:1], v[96:97], v[94:95]
	v_fma_f64 v[24:25], -v[102:103], v[94:95], v[24:25]
	v_fmac_f64_e32 v[12:13], v[100:101], v[94:95]
	;; [unrolled: 2-line block ×4, first 2 shown]
	s_and_not1_b32 exec_lo, exec_lo, s6
	s_cbranch_execnz .LBB18_27
; %bb.28:
	s_or_b32 exec_lo, exec_lo, s6
.LBB18_29:
	s_delay_alu instid0(SALU_CYCLE_1) | instskip(NEXT) | instid1(SALU_CYCLE_1)
	s_or_b32 exec_lo, exec_lo, s2
	s_mov_b32 s2, exec_lo
	v_cmpx_lt_u32_e32 0x5f, v30
	s_cbranch_execz .LBB18_33
; %bb.30:
	s_mov_b32 s6, 0
.LBB18_31:                              ; =>This Inner Loop Header: Depth=1
	global_load_b32 v118, v16, s[8:9] scale_offset
	s_clause 0xd
	global_load_b128 v[30:33], v[18:19], off offset:48
	global_load_b128 v[34:37], v[18:19], off offset:32
	;; [unrolled: 1-line block ×3, first 2 shown]
	global_load_b128 v[42:45], v[18:19], off
	global_load_b128 v[46:49], v[18:19], off offset:112
	global_load_b128 v[50:53], v[18:19], off offset:96
	;; [unrolled: 1-line block ×10, first 2 shown]
	s_clause 0x2
	global_load_b32 v130, v16, s[8:9] offset:128 scale_offset
	global_load_b32 v132, v16, s[8:9] offset:256 scale_offset
	;; [unrolled: 1-line block ×3, first 2 shown]
	s_clause 0x7
	global_load_b128 v[86:89], v[18:19], off offset:208
	global_load_b128 v[90:93], v[18:19], off offset:192
	;; [unrolled: 1-line block ×8, first 2 shown]
	s_wait_xcnt 0x8
	v_add_nc_u32_e32 v16, 0x80, v16
	s_delay_alu instid0(VALU_DEP_1) | instskip(SKIP_3) | instid1(VALU_DEP_1)
	v_cmp_ge_i32_e32 vcc_lo, v16, v17
	s_or_b32 s6, vcc_lo, s6
	s_wait_loadcnt 0x19
	v_subrev_nc_u32_e32 v118, s12, v118
	v_lshlrev_b32_e32 v131, 2, v118
	s_wait_kmcnt 0x0
	s_clause 0x1
	global_load_b128 v[118:121], v131, s[4:5] scale_offset
	global_load_b128 v[122:125], v131, s[4:5] offset:16 scale_offset
	s_wait_loadcnt 0xc
	v_subrev_nc_u32_e32 v130, s12, v130
	s_delay_alu instid0(VALU_DEP_1)
	v_lshlrev_b32_e32 v134, 2, v130
	s_wait_loadcnt 0x1
	v_fmac_f64_e32 v[28:29], v[42:43], v[118:119]
	v_fmac_f64_e32 v[0:1], v[44:45], v[118:119]
	;; [unrolled: 1-line block ×8, first 2 shown]
	v_fma_f64 v[126:127], -v[44:45], v[120:121], v[28:29]
	v_fmac_f64_e32 v[0:1], v[42:43], v[120:121]
	v_fma_f64 v[128:129], -v[40:41], v[120:121], v[24:25]
	v_fmac_f64_e32 v[12:13], v[38:39], v[120:121]
	;; [unrolled: 2-line block ×4, first 2 shown]
	s_clause 0x4
	global_load_b128 v[42:45], v[18:19], off offset:8272
	global_load_b128 v[38:41], v[18:19], off offset:8256
	;; [unrolled: 1-line block ×5, first 2 shown]
	s_wait_loadcnt 0x5
	v_fmac_f64_e32 v[126:127], v[58:59], v[122:123]
	v_fmac_f64_e32 v[0:1], v[60:61], v[122:123]
	;; [unrolled: 1-line block ×8, first 2 shown]
	v_fma_f64 v[126:127], -v[60:61], v[124:125], v[126:127]
	v_fmac_f64_e32 v[0:1], v[58:59], v[124:125]
	global_load_b128 v[58:61], v[18:19], off offset:8320
	v_fma_f64 v[128:129], -v[56:57], v[124:125], v[128:129]
	v_fmac_f64_e32 v[12:13], v[54:55], v[124:125]
	global_load_b128 v[54:57], v[18:19], off offset:8432
	;; [unrolled: 3-line block ×4, first 2 shown]
	s_clause 0x1
	global_load_b128 v[118:121], v131, s[4:5] offset:32 scale_offset
	global_load_b128 v[122:125], v131, s[4:5] offset:48 scale_offset
	s_wait_loadcnt 0x1
	v_fmac_f64_e32 v[126:127], v[74:75], v[118:119]
	v_fmac_f64_e32 v[0:1], v[76:77], v[118:119]
	v_fmac_f64_e32 v[128:129], v[70:71], v[118:119]
	v_fmac_f64_e32 v[12:13], v[72:73], v[118:119]
	v_fmac_f64_e32 v[36:37], v[66:67], v[118:119]
	v_fmac_f64_e32 v[14:15], v[68:69], v[118:119]
	v_fmac_f64_e32 v[20:21], v[62:63], v[118:119]
	v_fmac_f64_e32 v[10:11], v[64:65], v[118:119]
	v_fma_f64 v[126:127], -v[76:77], v[120:121], v[126:127]
	v_fmac_f64_e32 v[0:1], v[74:75], v[120:121]
	v_fma_f64 v[128:129], -v[72:73], v[120:121], v[128:129]
	v_fmac_f64_e32 v[12:13], v[70:71], v[120:121]
	;; [unrolled: 2-line block ×4, first 2 shown]
	s_clause 0x4
	global_load_b128 v[74:77], v[18:19], off offset:8384
	global_load_b128 v[66:69], v[18:19], off offset:16416
	;; [unrolled: 1-line block ×5, first 2 shown]
	s_wait_loadcnt 0x5
	v_fmac_f64_e32 v[126:127], v[90:91], v[122:123]
	v_fmac_f64_e32 v[0:1], v[92:93], v[122:123]
	;; [unrolled: 1-line block ×8, first 2 shown]
	v_fma_f64 v[126:127], -v[92:93], v[124:125], v[126:127]
	v_fmac_f64_e32 v[0:1], v[90:91], v[124:125]
	global_load_b128 v[90:93], v[18:19], off offset:16496
	v_fma_f64 v[128:129], -v[88:89], v[124:125], v[128:129]
	v_fmac_f64_e32 v[12:13], v[86:87], v[124:125]
	global_load_b128 v[86:89], v[18:19], off offset:16480
	;; [unrolled: 3-line block ×3, first 2 shown]
	v_fma_f64 v[20:21], -v[80:81], v[124:125], v[20:21]
	v_fmac_f64_e32 v[10:11], v[78:79], v[124:125]
	s_clause 0x1
	global_load_b128 v[78:81], v134, s[4:5] scale_offset
	global_load_b128 v[122:125], v134, s[4:5] offset:16 scale_offset
	s_wait_loadcnt 0x1
	v_fmac_f64_e32 v[126:127], v[106:107], v[78:79]
	v_fmac_f64_e32 v[0:1], v[108:109], v[78:79]
	;; [unrolled: 1-line block ×8, first 2 shown]
	v_fma_f64 v[126:127], -v[108:109], v[80:81], v[126:127]
	v_fmac_f64_e32 v[0:1], v[106:107], v[80:81]
	v_fma_f64 v[128:129], -v[104:105], v[80:81], v[128:129]
	v_fmac_f64_e32 v[12:13], v[102:103], v[80:81]
	;; [unrolled: 2-line block ×4, first 2 shown]
	s_clause 0x4
	global_load_b128 v[106:109], v[18:19], off offset:16448
	global_load_b128 v[98:101], v[18:19], off offset:16544
	;; [unrolled: 1-line block ×5, first 2 shown]
	s_wait_loadcnt 0x5
	v_fmac_f64_e32 v[126:127], v[38:39], v[122:123]
	v_fmac_f64_e32 v[0:1], v[40:41], v[122:123]
	v_fmac_f64_e32 v[128:129], v[42:43], v[122:123]
	v_fmac_f64_e32 v[12:13], v[44:45], v[122:123]
	v_fmac_f64_e32 v[130:131], v[114:115], v[122:123]
	v_fmac_f64_e32 v[14:15], v[116:117], v[122:123]
	v_fmac_f64_e32 v[20:21], v[110:111], v[122:123]
	v_fmac_f64_e32 v[10:11], v[112:113], v[122:123]
	v_fma_f64 v[126:127], -v[40:41], v[124:125], v[126:127]
	v_fmac_f64_e32 v[0:1], v[38:39], v[124:125]
	global_load_b128 v[36:39], v[18:19], off offset:16624
	v_fma_f64 v[44:45], -v[44:45], v[124:125], v[128:129]
	v_fmac_f64_e32 v[12:13], v[42:43], v[124:125]
	global_load_b128 v[40:43], v[18:19], off offset:16608
	;; [unrolled: 3-line block ×3, first 2 shown]
	v_fma_f64 v[20:21], -v[112:113], v[124:125], v[20:21]
	v_fmac_f64_e32 v[10:11], v[110:111], v[124:125]
	s_clause 0x1
	global_load_b128 v[110:113], v134, s[4:5] offset:32 scale_offset
	global_load_b128 v[122:125], v134, s[4:5] offset:48 scale_offset
	s_wait_loadcnt 0x1
	v_fmac_f64_e32 v[128:129], v[28:29], v[110:111]
	v_fmac_f64_e32 v[126:127], v[58:59], v[110:111]
	;; [unrolled: 1-line block ×8, first 2 shown]
	v_fma_f64 v[128:129], -v[30:31], v[112:113], v[128:129]
	v_fma_f64 v[126:127], -v[60:61], v[112:113], v[126:127]
	v_fmac_f64_e32 v[0:1], v[58:59], v[112:113]
	v_fma_f64 v[44:45], -v[34:35], v[112:113], v[44:45]
	v_fmac_f64_e32 v[12:13], v[32:33], v[112:113]
	v_fmac_f64_e32 v[14:15], v[28:29], v[112:113]
	v_fma_f64 v[24:25], -v[24:25], v[112:113], v[20:21]
	v_fmac_f64_e32 v[10:11], v[22:23], v[112:113]
	s_clause 0x4
	global_load_b128 v[58:61], v[18:19], off offset:16576
	global_load_b128 v[28:31], v[18:19], off offset:24608
	;; [unrolled: 1-line block ×5, first 2 shown]
	s_wait_loadcnt 0x5
	v_fmac_f64_e32 v[128:129], v[50:51], v[122:123]
	v_fmac_f64_e32 v[126:127], v[74:75], v[122:123]
	;; [unrolled: 1-line block ×8, first 2 shown]
	v_fma_f64 v[128:129], -v[52:53], v[124:125], v[128:129]
	v_subrev_nc_u32_e32 v52, s12, v132
	v_fma_f64 v[126:127], -v[76:77], v[124:125], v[126:127]
	v_fmac_f64_e32 v[0:1], v[74:75], v[124:125]
	global_load_b128 v[74:77], v[18:19], off offset:24688
	v_fma_f64 v[130:131], -v[48:49], v[124:125], v[44:45]
	v_lshlrev_b32_e32 v132, 2, v52
	v_fmac_f64_e32 v[12:13], v[46:47], v[124:125]
	global_load_b128 v[44:47], v[18:19], off offset:24672
	v_fmac_f64_e32 v[14:15], v[50:51], v[124:125]
	global_load_b128 v[48:51], v[18:19], off offset:24656
	v_fma_f64 v[24:25], -v[56:57], v[124:125], v[24:25]
	v_fmac_f64_e32 v[10:11], v[54:55], v[124:125]
	s_clause 0x1
	global_load_b128 v[52:55], v132, s[4:5] scale_offset
	global_load_b128 v[122:125], v132, s[4:5] offset:16 scale_offset
	s_wait_loadcnt 0x1
	v_fmac_f64_e32 v[126:127], v[118:119], v[52:53]
	v_fmac_f64_e32 v[128:129], v[66:67], v[52:53]
	;; [unrolled: 1-line block ×8, first 2 shown]
	v_fma_f64 v[56:57], -v[120:121], v[54:55], v[126:127]
	v_fma_f64 v[128:129], -v[68:69], v[54:55], v[128:129]
	v_fmac_f64_e32 v[14:15], v[66:67], v[54:55]
	global_load_b128 v[66:69], v132, s[4:5] offset:32 scale_offset
	v_fmac_f64_e32 v[0:1], v[118:119], v[54:55]
	global_load_b128 v[118:121], v[18:19], off offset:24640
	v_fma_f64 v[126:127], -v[64:65], v[54:55], v[130:131]
	v_fmac_f64_e32 v[12:13], v[62:63], v[54:55]
	global_load_b128 v[62:65], v[18:19], off offset:24752
	v_fma_f64 v[24:25], -v[72:73], v[54:55], v[24:25]
	v_fmac_f64_e32 v[10:11], v[70:71], v[54:55]
	global_load_b128 v[52:55], v[18:19], off offset:24736
	global_load_b128 v[70:73], v132, s[4:5] offset:48 scale_offset
	v_subrev_nc_u32_e32 v130, s12, v133
	s_delay_alu instid0(VALU_DEP_1)
	v_lshlrev_b32_e32 v130, 2, v130
	s_wait_loadcnt 0x5
	v_fmac_f64_e32 v[56:57], v[106:107], v[122:123]
	v_fmac_f64_e32 v[128:129], v[86:87], v[122:123]
	;; [unrolled: 1-line block ×8, first 2 shown]
	v_fma_f64 v[56:57], -v[108:109], v[124:125], v[56:57]
	v_fma_f64 v[128:129], -v[88:89], v[124:125], v[128:129]
	v_fmac_f64_e32 v[14:15], v[86:87], v[124:125]
	global_load_b128 v[86:89], v[18:19], off offset:24704
	v_fmac_f64_e32 v[0:1], v[106:107], v[124:125]
	global_load_b128 v[106:109], v[18:19], off offset:24720
	v_fma_f64 v[126:127], -v[84:85], v[124:125], v[126:127]
	v_fmac_f64_e32 v[12:13], v[82:83], v[124:125]
	global_load_b128 v[82:85], v130, s[4:5] scale_offset
	v_fma_f64 v[24:25], -v[92:93], v[124:125], v[24:25]
	v_fmac_f64_e32 v[10:11], v[90:91], v[124:125]
	global_load_b128 v[90:93], v[18:19], off offset:24784
	global_load_b128 v[122:125], v130, s[4:5] offset:16 scale_offset
	s_wait_loadcnt 0x9
	v_fmac_f64_e32 v[56:57], v[94:95], v[66:67]
	v_fmac_f64_e32 v[0:1], v[96:97], v[66:67]
	;; [unrolled: 1-line block ×8, first 2 shown]
	v_fma_f64 v[56:57], -v[96:97], v[68:69], v[56:57]
	v_fmac_f64_e32 v[0:1], v[94:95], v[68:69]
	global_load_b128 v[94:97], v130, s[4:5] offset:48 scale_offset
	v_fma_f64 v[126:127], -v[80:81], v[68:69], v[126:127]
	v_fmac_f64_e32 v[12:13], v[78:79], v[68:69]
	global_load_b128 v[78:81], v130, s[4:5] offset:32 scale_offset
	v_fma_f64 v[128:129], -v[100:101], v[68:69], v[128:129]
	v_fmac_f64_e32 v[14:15], v[98:99], v[68:69]
	global_load_b128 v[98:101], v[18:19], off offset:24768
	v_fma_f64 v[24:25], -v[104:105], v[68:69], v[24:25]
	v_fmac_f64_e32 v[10:11], v[102:103], v[68:69]
	s_clause 0x1
	global_load_b128 v[66:69], v[18:19], off offset:24800
	global_load_b128 v[102:105], v[18:19], off offset:24816
	s_wait_xcnt 0x0
	v_add_nc_u64_e32 v[18:19], 0x8000, v[18:19]
	s_wait_loadcnt 0xa
	v_fmac_f64_e32 v[56:57], v[58:59], v[70:71]
	v_fmac_f64_e32 v[0:1], v[60:61], v[70:71]
	v_fmac_f64_e32 v[126:127], v[114:115], v[70:71]
	v_fmac_f64_e32 v[12:13], v[116:117], v[70:71]
	v_fmac_f64_e32 v[128:129], v[40:41], v[70:71]
	v_fmac_f64_e32 v[14:15], v[42:43], v[70:71]
	v_fmac_f64_e32 v[24:25], v[36:37], v[70:71]
	v_fmac_f64_e32 v[10:11], v[38:39], v[70:71]
	v_fma_f64 v[56:57], -v[60:61], v[72:73], v[56:57]
	v_fmac_f64_e32 v[0:1], v[58:59], v[72:73]
	v_fma_f64 v[58:59], -v[116:117], v[72:73], v[126:127]
	v_fmac_f64_e32 v[12:13], v[114:115], v[72:73]
	v_fma_f64 v[42:43], -v[42:43], v[72:73], v[128:129]
	v_fmac_f64_e32 v[14:15], v[40:41], v[72:73]
	v_fma_f64 v[24:25], -v[38:39], v[72:73], v[24:25]
	v_fmac_f64_e32 v[10:11], v[36:37], v[72:73]
	s_wait_loadcnt 0x7
	v_fmac_f64_e32 v[56:57], v[110:111], v[82:83]
	v_fmac_f64_e32 v[0:1], v[112:113], v[82:83]
	v_fmac_f64_e32 v[58:59], v[20:21], v[82:83]
	v_fmac_f64_e32 v[12:13], v[22:23], v[82:83]
	v_fmac_f64_e32 v[42:43], v[28:29], v[82:83]
	v_fmac_f64_e32 v[14:15], v[30:31], v[82:83]
	v_fmac_f64_e32 v[24:25], v[32:33], v[82:83]
	v_fmac_f64_e32 v[10:11], v[34:35], v[82:83]
	v_fma_f64 v[36:37], -v[112:113], v[84:85], v[56:57]
	v_fmac_f64_e32 v[0:1], v[110:111], v[84:85]
	v_fma_f64 v[22:23], -v[22:23], v[84:85], v[58:59]
	v_fmac_f64_e32 v[12:13], v[20:21], v[84:85]
	v_fma_f64 v[20:21], -v[30:31], v[84:85], v[42:43]
	v_fmac_f64_e32 v[14:15], v[28:29], v[84:85]
	v_fma_f64 v[24:25], -v[34:35], v[84:85], v[24:25]
	v_fmac_f64_e32 v[10:11], v[32:33], v[84:85]
	s_wait_loadcnt 0x5
	v_fmac_f64_e32 v[36:37], v[118:119], v[122:123]
	v_fmac_f64_e32 v[0:1], v[120:121], v[122:123]
	v_fmac_f64_e32 v[22:23], v[48:49], v[122:123]
	v_fmac_f64_e32 v[12:13], v[50:51], v[122:123]
	v_fmac_f64_e32 v[20:21], v[44:45], v[122:123]
	v_fmac_f64_e32 v[14:15], v[46:47], v[122:123]
	v_fmac_f64_e32 v[24:25], v[74:75], v[122:123]
	v_fmac_f64_e32 v[10:11], v[76:77], v[122:123]
	v_fma_f64 v[28:29], -v[120:121], v[124:125], v[36:37]
	v_fmac_f64_e32 v[0:1], v[118:119], v[124:125]
	v_fma_f64 v[22:23], -v[50:51], v[124:125], v[22:23]
	v_fmac_f64_e32 v[12:13], v[48:49], v[124:125]
	v_fma_f64 v[20:21], -v[46:47], v[124:125], v[20:21]
	v_fmac_f64_e32 v[14:15], v[44:45], v[124:125]
	v_fma_f64 v[24:25], -v[76:77], v[124:125], v[24:25]
	v_fmac_f64_e32 v[10:11], v[74:75], v[124:125]
	s_wait_loadcnt 0x3
	v_fmac_f64_e32 v[28:29], v[86:87], v[78:79]
	v_fmac_f64_e32 v[0:1], v[88:89], v[78:79]
	v_fmac_f64_e32 v[22:23], v[106:107], v[78:79]
	v_fmac_f64_e32 v[12:13], v[108:109], v[78:79]
	v_fmac_f64_e32 v[20:21], v[52:53], v[78:79]
	v_fmac_f64_e32 v[14:15], v[54:55], v[78:79]
	v_fmac_f64_e32 v[24:25], v[62:63], v[78:79]
	v_fmac_f64_e32 v[10:11], v[64:65], v[78:79]
	v_fma_f64 v[28:29], -v[88:89], v[80:81], v[28:29]
	v_fmac_f64_e32 v[0:1], v[86:87], v[80:81]
	v_fma_f64 v[22:23], -v[108:109], v[80:81], v[22:23]
	v_fmac_f64_e32 v[12:13], v[106:107], v[80:81]
	v_fma_f64 v[20:21], -v[54:55], v[80:81], v[20:21]
	v_fmac_f64_e32 v[14:15], v[52:53], v[80:81]
	v_fma_f64 v[30:31], -v[64:65], v[80:81], v[24:25]
	v_fmac_f64_e32 v[10:11], v[62:63], v[80:81]
	s_wait_loadcnt 0x2
	v_fmac_f64_e32 v[28:29], v[98:99], v[94:95]
	v_fmac_f64_e32 v[0:1], v[100:101], v[94:95]
	;; [unrolled: 1-line block ×4, first 2 shown]
	s_wait_loadcnt 0x1
	v_fmac_f64_e32 v[20:21], v[66:67], v[94:95]
	v_fmac_f64_e32 v[14:15], v[68:69], v[94:95]
	s_wait_loadcnt 0x0
	v_fmac_f64_e32 v[30:31], v[102:103], v[94:95]
	v_fmac_f64_e32 v[10:11], v[104:105], v[94:95]
	v_fma_f64 v[28:29], -v[100:101], v[96:97], v[28:29]
	v_fmac_f64_e32 v[0:1], v[98:99], v[96:97]
	v_fma_f64 v[24:25], -v[92:93], v[96:97], v[22:23]
	;; [unrolled: 2-line block ×4, first 2 shown]
	v_fmac_f64_e32 v[10:11], v[102:103], v[96:97]
	s_and_not1_b32 exec_lo, exec_lo, s6
	s_cbranch_execnz .LBB18_31
; %bb.32:
	s_or_b32 exec_lo, exec_lo, s6
.LBB18_33:
	s_delay_alu instid0(SALU_CYCLE_1)
	s_or_b32 exec_lo, exec_lo, s2
.LBB18_34:
	s_delay_alu instid0(SALU_CYCLE_1)
	s_or_b32 exec_lo, exec_lo, s3
.LBB18_35:
	v_mbcnt_lo_u32_b32 v44, -1, 0
	s_delay_alu instid0(VALU_DEP_1) | instskip(NEXT) | instid1(VALU_DEP_1)
	v_xor_b32_e32 v16, 16, v44
	v_cmp_gt_i32_e32 vcc_lo, 32, v16
	v_cndmask_b32_e32 v16, v44, v16, vcc_lo
	s_delay_alu instid0(VALU_DEP_1)
	v_lshlrev_b32_e32 v41, 2, v16
	ds_bpermute_b32 v18, v41, v0
	ds_bpermute_b32 v19, v41, v1
	;; [unrolled: 1-line block ×4, first 2 shown]
	s_wait_dscnt 0x2
	v_add_f64_e32 v[0:1], v[0:1], v[18:19]
	s_wait_dscnt 0x0
	v_add_f64_e32 v[18:19], v[24:25], v[30:31]
	ds_bpermute_b32 v34, v41, v22
	ds_bpermute_b32 v35, v41, v23
	;; [unrolled: 1-line block ×12, first 2 shown]
	v_xor_b32_e32 v24, 8, v44
	s_delay_alu instid0(VALU_DEP_1)
	v_cmp_gt_i32_e32 vcc_lo, 32, v24
	s_wait_dscnt 0xa
	v_dual_add_f64 v[22:23], v[22:23], v[34:35] :: v_dual_cndmask_b32 v24, v44, v24, vcc_lo
	s_wait_dscnt 0x8
	v_add_f64_e32 v[20:21], v[20:21], v[38:39]
	s_wait_dscnt 0x6
	v_add_f64_e32 v[16:17], v[28:29], v[16:17]
	s_wait_dscnt 0x4
	v_add_f64_e32 v[12:13], v[12:13], v[32:33]
	s_wait_dscnt 0x2
	v_add_f64_e32 v[14:15], v[14:15], v[36:37]
	s_wait_dscnt 0x0
	v_add_f64_e32 v[10:11], v[10:11], v[40:41]
	v_lshlrev_b32_e32 v41, 2, v24
	ds_bpermute_b32 v34, v41, v22
	ds_bpermute_b32 v35, v41, v23
	s_wait_dscnt 0x0
	v_add_f64_e32 v[22:23], v[22:23], v[34:35]
	ds_bpermute_b32 v30, v41, v18
	ds_bpermute_b32 v31, v41, v19
	;; [unrolled: 1-line block ×14, first 2 shown]
	s_wait_dscnt 0xc
	v_add_f64_e32 v[18:19], v[18:19], v[30:31]
	s_wait_dscnt 0xa
	v_add_f64_e32 v[16:17], v[16:17], v[24:25]
	s_wait_dscnt 0x8
	v_dual_add_f64 v[20:21], v[20:21], v[38:39] :: v_dual_bitop2_b32 v24, 4, v44 bitop3:0x14
	s_wait_dscnt 0x6
	v_add_f64_e32 v[0:1], v[0:1], v[28:29]
	s_delay_alu instid0(VALU_DEP_2)
	v_cmp_gt_i32_e32 vcc_lo, 32, v24
	s_wait_dscnt 0x4
	v_add_f64_e32 v[14:15], v[14:15], v[36:37]
	s_wait_dscnt 0x2
	v_add_f64_e32 v[12:13], v[12:13], v[32:33]
	;; [unrolled: 2-line block ×3, first 2 shown]
	v_cndmask_b32_e32 v24, v44, v24, vcc_lo
	s_delay_alu instid0(VALU_DEP_1)
	v_lshlrev_b32_e32 v41, 2, v24
	ds_bpermute_b32 v34, v41, v22
	ds_bpermute_b32 v35, v41, v23
	;; [unrolled: 1-line block ×4, first 2 shown]
	s_wait_dscnt 0x0
	v_add_f64_e32 v[18:19], v[18:19], v[30:31]
	v_add_f64_e32 v[30:31], v[22:23], v[34:35]
	ds_bpermute_b32 v24, v41, v16
	ds_bpermute_b32 v25, v41, v17
	;; [unrolled: 1-line block ×12, first 2 shown]
	s_wait_dscnt 0xa
	v_add_f64_e32 v[16:17], v[16:17], v[24:25]
	s_wait_dscnt 0x8
	v_add_f64_e32 v[24:25], v[0:1], v[28:29]
	v_xor_b32_e32 v0, 2, v44
	s_wait_dscnt 0x6
	v_add_f64_e32 v[14:15], v[14:15], v[36:37]
	s_wait_dscnt 0x4
	v_add_f64_e32 v[20:21], v[20:21], v[38:39]
	s_wait_dscnt 0x2
	v_add_f64_e32 v[12:13], v[12:13], v[32:33]
	v_cmp_gt_i32_e32 vcc_lo, 32, v0
	s_wait_dscnt 0x0
	v_add_f64_e32 v[32:33], v[10:11], v[40:41]
	v_cndmask_b32_e32 v0, v44, v0, vcc_lo
	s_delay_alu instid0(VALU_DEP_1)
	v_lshlrev_b32_e32 v28, 2, v0
	ds_bpermute_b32 v22, v28, v18
	ds_bpermute_b32 v23, v28, v19
	;; [unrolled: 1-line block ×16, first 2 shown]
	s_wait_dscnt 0xa
	v_add_f64_e32 v[0:1], v[16:17], v[0:1]
	s_wait_dscnt 0x8
	v_add_f64_e32 v[28:29], v[24:25], v[10:11]
	v_add_f64_e32 v[10:11], v[18:19], v[22:23]
	s_wait_dscnt 0x6
	v_add_f64_e32 v[18:19], v[14:15], v[38:39]
	s_wait_dscnt 0x4
	;; [unrolled: 2-line block ×3, first 2 shown]
	v_dual_add_f64 v[22:23], v[12:13], v[34:35] :: v_dual_bitop2_b32 v20, 1, v44 bitop3:0x14
	v_add_f64_e32 v[12:13], v[30:31], v[36:37]
	s_delay_alu instid0(VALU_DEP_2) | instskip(SKIP_4) | instid1(VALU_DEP_3)
	v_cmp_gt_i32_e32 vcc_lo, 32, v20
	v_cndmask_b32_e32 v20, v44, v20, vcc_lo
	s_wait_dscnt 0x0
	v_add_f64_e32 v[16:17], v[32:33], v[42:43]
	v_cmp_eq_u32_e32 vcc_lo, 31, v27
	v_lshlrev_b32_e32 v35, 2, v20
	ds_bpermute_b32 v20, v35, v0
	ds_bpermute_b32 v21, v35, v1
	;; [unrolled: 1-line block ×16, first 2 shown]
	s_and_b32 exec_lo, exec_lo, vcc_lo
	s_cbranch_execz .LBB18_8
; %bb.36:
	s_wait_dscnt 0xc
	v_add_f64_e32 v[28:29], v[28:29], v[40:41]
	s_wait_dscnt 0x6
	v_add_f64_e32 v[38:39], v[22:23], v[38:39]
	v_add_f64_e32 v[36:37], v[18:19], v[36:37]
	s_wait_dscnt 0x0
	v_add_f64_e32 v[34:35], v[16:17], v[34:35]
	v_add_f64_e32 v[0:1], v[0:1], v[20:21]
	;; [unrolled: 1-line block ×5, first 2 shown]
	v_cmp_eq_f64_e32 vcc_lo, 0, v[2:3]
	v_cmp_eq_f64_e64 s2, 0, v[4:5]
	s_load_b64 s[0:1], s[0:1], 0x60
	v_mul_f64_e64 v[22:23], v[28:29], -v[8:9]
	v_mul_f64_e32 v[24:25], v[6:7], v[28:29]
	v_mul_f64_e64 v[18:19], v[38:39], -v[8:9]
	v_mul_f64_e32 v[20:21], v[6:7], v[38:39]
	v_mul_f64_e64 v[14:15], v[36:37], -v[8:9]
	v_mul_f64_e32 v[16:17], v[6:7], v[36:37]
	v_mul_f64_e64 v[10:11], v[34:35], -v[8:9]
	v_mul_f64_e32 v[12:13], v[6:7], v[34:35]
	s_and_b32 s2, vcc_lo, s2
	v_fmac_f64_e32 v[22:23], v[6:7], v[0:1]
	v_fmac_f64_e32 v[24:25], v[8:9], v[0:1]
	;; [unrolled: 1-line block ×8, first 2 shown]
	v_lshlrev_b32_e32 v0, 2, v26
	s_and_saveexec_b32 s3, s2
	s_delay_alu instid0(SALU_CYCLE_1)
	s_xor_b32 s2, exec_lo, s3
	s_cbranch_execz .LBB18_38
; %bb.37:
	s_wait_kmcnt 0x0
	s_clause 0x3
	global_store_b128 v0, v[22:25], s[0:1] scale_offset
	global_store_b128 v0, v[18:21], s[0:1] offset:16 scale_offset
	global_store_b128 v0, v[14:17], s[0:1] offset:32 scale_offset
	;; [unrolled: 1-line block ×3, first 2 shown]
                                        ; implicit-def: $vgpr4_vgpr5
                                        ; implicit-def: $vgpr22_vgpr23
                                        ; implicit-def: $vgpr0
                                        ; implicit-def: $vgpr18_vgpr19
                                        ; implicit-def: $vgpr14_vgpr15
                                        ; implicit-def: $vgpr10_vgpr11
.LBB18_38:
	s_wait_xcnt 0x0
	s_and_not1_saveexec_b32 s2, s2
	s_cbranch_execz .LBB18_8
; %bb.39:
	s_wait_kmcnt 0x0
	s_clause 0x3
	global_load_b128 v[6:9], v0, s[0:1] scale_offset
	global_load_b128 v[26:29], v0, s[0:1] offset:16 scale_offset
	global_load_b128 v[30:33], v0, s[0:1] offset:32 scale_offset
	;; [unrolled: 1-line block ×3, first 2 shown]
	s_wait_loadcnt 0x3
	v_fmac_f64_e32 v[22:23], v[2:3], v[6:7]
	v_fmac_f64_e32 v[24:25], v[4:5], v[6:7]
	s_wait_loadcnt 0x2
	v_fmac_f64_e32 v[18:19], v[2:3], v[26:27]
	v_fmac_f64_e32 v[20:21], v[4:5], v[26:27]
	;; [unrolled: 3-line block ×4, first 2 shown]
	v_fma_f64 v[22:23], -v[4:5], v[8:9], v[22:23]
	v_fmac_f64_e32 v[24:25], v[2:3], v[8:9]
	v_fma_f64 v[18:19], -v[4:5], v[28:29], v[18:19]
	v_fmac_f64_e32 v[20:21], v[2:3], v[28:29]
	;; [unrolled: 2-line block ×4, first 2 shown]
	s_clause 0x3
	global_store_b128 v0, v[22:25], s[0:1] scale_offset
	global_store_b128 v0, v[18:21], s[0:1] offset:16 scale_offset
	global_store_b128 v0, v[14:17], s[0:1] offset:32 scale_offset
	;; [unrolled: 1-line block ×3, first 2 shown]
	s_sendmsg sendmsg(MSG_DEALLOC_VGPRS)
	s_endpgm
	.section	.rodata,"a",@progbits
	.p2align	6, 0x0
	.amdhsa_kernel _ZN9rocsparseL18bsrxmvn_4x4_kernelILj128ELj32E21rocsparse_complex_numIdEiiS2_S2_S2_EEvT3_20rocsparse_direction_NS_24const_host_device_scalarIT1_EES3_PKS3_PKT2_SC_S9_PKT4_PKT5_S7_PT6_21rocsparse_index_base_b
		.amdhsa_group_segment_fixed_size 0
		.amdhsa_private_segment_fixed_size 0
		.amdhsa_kernarg_size 112
		.amdhsa_user_sgpr_count 2
		.amdhsa_user_sgpr_dispatch_ptr 0
		.amdhsa_user_sgpr_queue_ptr 0
		.amdhsa_user_sgpr_kernarg_segment_ptr 1
		.amdhsa_user_sgpr_dispatch_id 0
		.amdhsa_user_sgpr_kernarg_preload_length 0
		.amdhsa_user_sgpr_kernarg_preload_offset 0
		.amdhsa_user_sgpr_private_segment_size 0
		.amdhsa_wavefront_size32 1
		.amdhsa_uses_dynamic_stack 0
		.amdhsa_enable_private_segment 0
		.amdhsa_system_sgpr_workgroup_id_x 1
		.amdhsa_system_sgpr_workgroup_id_y 0
		.amdhsa_system_sgpr_workgroup_id_z 0
		.amdhsa_system_sgpr_workgroup_info 0
		.amdhsa_system_vgpr_workitem_id 0
		.amdhsa_next_free_vgpr 158
		.amdhsa_next_free_sgpr 14
		.amdhsa_named_barrier_count 0
		.amdhsa_reserve_vcc 1
		.amdhsa_float_round_mode_32 0
		.amdhsa_float_round_mode_16_64 0
		.amdhsa_float_denorm_mode_32 3
		.amdhsa_float_denorm_mode_16_64 3
		.amdhsa_fp16_overflow 0
		.amdhsa_memory_ordered 1
		.amdhsa_forward_progress 1
		.amdhsa_inst_pref_size 70
		.amdhsa_round_robin_scheduling 0
		.amdhsa_exception_fp_ieee_invalid_op 0
		.amdhsa_exception_fp_denorm_src 0
		.amdhsa_exception_fp_ieee_div_zero 0
		.amdhsa_exception_fp_ieee_overflow 0
		.amdhsa_exception_fp_ieee_underflow 0
		.amdhsa_exception_fp_ieee_inexact 0
		.amdhsa_exception_int_div_zero 0
	.end_amdhsa_kernel
	.section	.text._ZN9rocsparseL18bsrxmvn_4x4_kernelILj128ELj32E21rocsparse_complex_numIdEiiS2_S2_S2_EEvT3_20rocsparse_direction_NS_24const_host_device_scalarIT1_EES3_PKS3_PKT2_SC_S9_PKT4_PKT5_S7_PT6_21rocsparse_index_base_b,"axG",@progbits,_ZN9rocsparseL18bsrxmvn_4x4_kernelILj128ELj32E21rocsparse_complex_numIdEiiS2_S2_S2_EEvT3_20rocsparse_direction_NS_24const_host_device_scalarIT1_EES3_PKS3_PKT2_SC_S9_PKT4_PKT5_S7_PT6_21rocsparse_index_base_b,comdat
.Lfunc_end18:
	.size	_ZN9rocsparseL18bsrxmvn_4x4_kernelILj128ELj32E21rocsparse_complex_numIdEiiS2_S2_S2_EEvT3_20rocsparse_direction_NS_24const_host_device_scalarIT1_EES3_PKS3_PKT2_SC_S9_PKT4_PKT5_S7_PT6_21rocsparse_index_base_b, .Lfunc_end18-_ZN9rocsparseL18bsrxmvn_4x4_kernelILj128ELj32E21rocsparse_complex_numIdEiiS2_S2_S2_EEvT3_20rocsparse_direction_NS_24const_host_device_scalarIT1_EES3_PKS3_PKT2_SC_S9_PKT4_PKT5_S7_PT6_21rocsparse_index_base_b
                                        ; -- End function
	.set _ZN9rocsparseL18bsrxmvn_4x4_kernelILj128ELj32E21rocsparse_complex_numIdEiiS2_S2_S2_EEvT3_20rocsparse_direction_NS_24const_host_device_scalarIT1_EES3_PKS3_PKT2_SC_S9_PKT4_PKT5_S7_PT6_21rocsparse_index_base_b.num_vgpr, 158
	.set _ZN9rocsparseL18bsrxmvn_4x4_kernelILj128ELj32E21rocsparse_complex_numIdEiiS2_S2_S2_EEvT3_20rocsparse_direction_NS_24const_host_device_scalarIT1_EES3_PKS3_PKT2_SC_S9_PKT4_PKT5_S7_PT6_21rocsparse_index_base_b.num_agpr, 0
	.set _ZN9rocsparseL18bsrxmvn_4x4_kernelILj128ELj32E21rocsparse_complex_numIdEiiS2_S2_S2_EEvT3_20rocsparse_direction_NS_24const_host_device_scalarIT1_EES3_PKS3_PKT2_SC_S9_PKT4_PKT5_S7_PT6_21rocsparse_index_base_b.numbered_sgpr, 14
	.set _ZN9rocsparseL18bsrxmvn_4x4_kernelILj128ELj32E21rocsparse_complex_numIdEiiS2_S2_S2_EEvT3_20rocsparse_direction_NS_24const_host_device_scalarIT1_EES3_PKS3_PKT2_SC_S9_PKT4_PKT5_S7_PT6_21rocsparse_index_base_b.num_named_barrier, 0
	.set _ZN9rocsparseL18bsrxmvn_4x4_kernelILj128ELj32E21rocsparse_complex_numIdEiiS2_S2_S2_EEvT3_20rocsparse_direction_NS_24const_host_device_scalarIT1_EES3_PKS3_PKT2_SC_S9_PKT4_PKT5_S7_PT6_21rocsparse_index_base_b.private_seg_size, 0
	.set _ZN9rocsparseL18bsrxmvn_4x4_kernelILj128ELj32E21rocsparse_complex_numIdEiiS2_S2_S2_EEvT3_20rocsparse_direction_NS_24const_host_device_scalarIT1_EES3_PKS3_PKT2_SC_S9_PKT4_PKT5_S7_PT6_21rocsparse_index_base_b.uses_vcc, 1
	.set _ZN9rocsparseL18bsrxmvn_4x4_kernelILj128ELj32E21rocsparse_complex_numIdEiiS2_S2_S2_EEvT3_20rocsparse_direction_NS_24const_host_device_scalarIT1_EES3_PKS3_PKT2_SC_S9_PKT4_PKT5_S7_PT6_21rocsparse_index_base_b.uses_flat_scratch, 0
	.set _ZN9rocsparseL18bsrxmvn_4x4_kernelILj128ELj32E21rocsparse_complex_numIdEiiS2_S2_S2_EEvT3_20rocsparse_direction_NS_24const_host_device_scalarIT1_EES3_PKS3_PKT2_SC_S9_PKT4_PKT5_S7_PT6_21rocsparse_index_base_b.has_dyn_sized_stack, 0
	.set _ZN9rocsparseL18bsrxmvn_4x4_kernelILj128ELj32E21rocsparse_complex_numIdEiiS2_S2_S2_EEvT3_20rocsparse_direction_NS_24const_host_device_scalarIT1_EES3_PKS3_PKT2_SC_S9_PKT4_PKT5_S7_PT6_21rocsparse_index_base_b.has_recursion, 0
	.set _ZN9rocsparseL18bsrxmvn_4x4_kernelILj128ELj32E21rocsparse_complex_numIdEiiS2_S2_S2_EEvT3_20rocsparse_direction_NS_24const_host_device_scalarIT1_EES3_PKS3_PKT2_SC_S9_PKT4_PKT5_S7_PT6_21rocsparse_index_base_b.has_indirect_call, 0
	.section	.AMDGPU.csdata,"",@progbits
; Kernel info:
; codeLenInByte = 8896
; TotalNumSgprs: 16
; NumVgprs: 158
; ScratchSize: 0
; MemoryBound: 1
; FloatMode: 240
; IeeeMode: 1
; LDSByteSize: 0 bytes/workgroup (compile time only)
; SGPRBlocks: 0
; VGPRBlocks: 9
; NumSGPRsForWavesPerEU: 16
; NumVGPRsForWavesPerEU: 158
; NamedBarCnt: 0
; Occupancy: 6
; WaveLimiterHint : 1
; COMPUTE_PGM_RSRC2:SCRATCH_EN: 0
; COMPUTE_PGM_RSRC2:USER_SGPR: 2
; COMPUTE_PGM_RSRC2:TRAP_HANDLER: 0
; COMPUTE_PGM_RSRC2:TGID_X_EN: 1
; COMPUTE_PGM_RSRC2:TGID_Y_EN: 0
; COMPUTE_PGM_RSRC2:TGID_Z_EN: 0
; COMPUTE_PGM_RSRC2:TIDIG_COMP_CNT: 0
	.section	.text._ZN9rocsparseL18bsrxmvn_4x4_kernelILj128ELj64E21rocsparse_complex_numIdEiiS2_S2_S2_EEvT3_20rocsparse_direction_NS_24const_host_device_scalarIT1_EES3_PKS3_PKT2_SC_S9_PKT4_PKT5_S7_PT6_21rocsparse_index_base_b,"axG",@progbits,_ZN9rocsparseL18bsrxmvn_4x4_kernelILj128ELj64E21rocsparse_complex_numIdEiiS2_S2_S2_EEvT3_20rocsparse_direction_NS_24const_host_device_scalarIT1_EES3_PKS3_PKT2_SC_S9_PKT4_PKT5_S7_PT6_21rocsparse_index_base_b,comdat
	.globl	_ZN9rocsparseL18bsrxmvn_4x4_kernelILj128ELj64E21rocsparse_complex_numIdEiiS2_S2_S2_EEvT3_20rocsparse_direction_NS_24const_host_device_scalarIT1_EES3_PKS3_PKT2_SC_S9_PKT4_PKT5_S7_PT6_21rocsparse_index_base_b ; -- Begin function _ZN9rocsparseL18bsrxmvn_4x4_kernelILj128ELj64E21rocsparse_complex_numIdEiiS2_S2_S2_EEvT3_20rocsparse_direction_NS_24const_host_device_scalarIT1_EES3_PKS3_PKT2_SC_S9_PKT4_PKT5_S7_PT6_21rocsparse_index_base_b
	.p2align	8
	.type	_ZN9rocsparseL18bsrxmvn_4x4_kernelILj128ELj64E21rocsparse_complex_numIdEiiS2_S2_S2_EEvT3_20rocsparse_direction_NS_24const_host_device_scalarIT1_EES3_PKS3_PKT2_SC_S9_PKT4_PKT5_S7_PT6_21rocsparse_index_base_b,@function
_ZN9rocsparseL18bsrxmvn_4x4_kernelILj128ELj64E21rocsparse_complex_numIdEiiS2_S2_S2_EEvT3_20rocsparse_direction_NS_24const_host_device_scalarIT1_EES3_PKS3_PKT2_SC_S9_PKT4_PKT5_S7_PT6_21rocsparse_index_base_b: ; @_ZN9rocsparseL18bsrxmvn_4x4_kernelILj128ELj64E21rocsparse_complex_numIdEiiS2_S2_S2_EEvT3_20rocsparse_direction_NS_24const_host_device_scalarIT1_EES3_PKS3_PKT2_SC_S9_PKT4_PKT5_S7_PT6_21rocsparse_index_base_b
; %bb.0:
	s_clause 0x1
	s_load_b64 s[12:13], s[0:1], 0x68
	s_load_b64 s[2:3], s[0:1], 0x8
	v_mov_b32_e32 v1, 0
	s_add_nc_u64 s[4:5], s[0:1], 8
	s_load_b64 s[6:7], s[0:1], 0x50
	s_wait_kmcnt 0x0
	s_bitcmp1_b32 s13, 0
	s_cselect_b32 s3, s5, s3
	s_cselect_b32 s2, s4, s2
	flat_load_b128 v[6:9], v1, s[2:3]
	s_wait_xcnt 0x0
	s_add_nc_u64 s[2:3], s[0:1], 0x50
	s_delay_alu instid0(SALU_CYCLE_1)
	s_cselect_b32 s3, s3, s7
	s_cselect_b32 s2, s2, s6
	flat_load_b128 v[2:5], v1, s[2:3]
	s_wait_loadcnt_dscnt 0x101
	v_cmp_eq_f64_e32 vcc_lo, 0, v[6:7]
	s_wait_xcnt 0x0
	v_cmp_eq_f64_e64 s2, 0, v[8:9]
	s_and_b32 s4, vcc_lo, s2
	s_mov_b32 s2, -1
	s_and_saveexec_b32 s3, s4
	s_cbranch_execz .LBB19_2
; %bb.1:
	s_wait_loadcnt_dscnt 0x0
	v_cmp_neq_f64_e32 vcc_lo, 1.0, v[2:3]
	v_cmp_neq_f64_e64 s2, 0, v[4:5]
	s_or_b32 s2, vcc_lo, s2
	s_delay_alu instid0(SALU_CYCLE_1)
	s_or_not1_b32 s2, s2, exec_lo
.LBB19_2:
	s_or_b32 exec_lo, exec_lo, s3
	s_and_saveexec_b32 s3, s2
	s_cbranch_execz .LBB19_8
; %bb.3:
	s_clause 0x1
	s_load_b64 s[4:5], s[0:1], 0x20
	s_load_b64 s[2:3], s[0:1], 0x0
	s_bfe_u32 s6, ttmp6, 0x4000c
	s_and_b32 s7, ttmp6, 15
	s_add_co_i32 s6, s6, 1
	s_getreg_b32 s8, hwreg(HW_REG_IB_STS2, 6, 4)
	s_mul_i32 s6, ttmp9, s6
	v_lshrrev_b32_e32 v1, 6, v0
	s_add_co_i32 s7, s7, s6
	s_cmp_eq_u32 s8, 0
	s_cselect_b32 s6, ttmp9, s7
	s_delay_alu instid0(VALU_DEP_1) | instid1(SALU_CYCLE_1)
	v_lshl_or_b32 v26, s6, 1, v1
	s_mov_b32 s6, 0
	s_wait_kmcnt 0x0
	s_cmp_lg_u64 s[4:5], 0
	s_cbranch_scc0 .LBB19_9
; %bb.4:
	s_load_b32 s6, s[0:1], 0x18
	s_mov_b32 s7, 0
                                        ; implicit-def: $vgpr1
	s_wait_kmcnt 0x0
	v_cmp_gt_i32_e32 vcc_lo, s6, v26
	s_mov_b32 s6, 0
	s_and_saveexec_b32 s8, vcc_lo
	s_delay_alu instid0(SALU_CYCLE_1)
	s_xor_b32 s8, exec_lo, s8
	s_cbranch_execz .LBB19_6
; %bb.5:
	global_load_b32 v1, v26, s[4:5] scale_offset
	s_mov_b32 s6, exec_lo
	s_wait_loadcnt 0x0
	v_subrev_nc_u32_e32 v1, s12, v1
.LBB19_6:
	s_or_b32 exec_lo, exec_lo, s8
	s_delay_alu instid0(SALU_CYCLE_1)
	s_and_b32 vcc_lo, exec_lo, s7
	s_cbranch_vccz .LBB19_10
.LBB19_7:
	v_cmp_gt_i32_e32 vcc_lo, s2, v26
	s_and_not1_b32 s2, s6, exec_lo
	s_and_b32 s4, vcc_lo, exec_lo
	s_delay_alu instid0(SALU_CYCLE_1) | instskip(NEXT) | instid1(SALU_CYCLE_1)
	s_or_b32 s6, s2, s4
	s_and_b32 exec_lo, exec_lo, s6
	s_cbranch_execnz .LBB19_11
.LBB19_8:
	s_sendmsg sendmsg(MSG_DEALLOC_VGPRS)
	s_endpgm
.LBB19_9:
                                        ; implicit-def: $vgpr1
	s_cbranch_execnz .LBB19_7
.LBB19_10:
	s_delay_alu instid0(VALU_DEP_1)
	v_mov_b32_e32 v26, v1
	s_and_b32 exec_lo, exec_lo, s6
	s_cbranch_execz .LBB19_8
.LBB19_11:
	s_load_b256 s[4:11], s[0:1], 0x28
	s_wait_kmcnt 0x0
	global_load_b32 v32, v26, s[4:5] scale_offset
	s_cmp_eq_u64 s[6:7], 0
	s_cselect_b32 vcc_lo, -1, 0
	v_ashrrev_i32_e32 v27, 31, v26
	s_cmp_eq_u32 s3, 1
	s_delay_alu instid0(VALU_DEP_1) | instskip(SKIP_1) | instid1(VALU_DEP_2)
	v_lshlrev_b64_e32 v[10:11], 2, v[26:27]
	v_and_b32_e32 v27, 63, v0
	v_add_nc_u64_e32 v[12:13], s[4:5], v[10:11]
	v_add_nc_u64_e32 v[10:11], s[6:7], v[10:11]
	s_wait_xcnt 0x0
	s_load_b64 s[4:5], s[0:1], 0x48
	s_delay_alu instid0(VALU_DEP_2) | instskip(NEXT) | instid1(VALU_DEP_1)
	v_add_nc_u64_e32 v[12:13], 4, v[12:13]
	v_cndmask_b32_e32 v11, v11, v13, vcc_lo
	s_wait_loadcnt 0x0
	v_subrev_nc_u32_e32 v0, s12, v32
	s_delay_alu instid0(VALU_DEP_1) | instskip(SKIP_2) | instid1(VALU_DEP_1)
	v_dual_cndmask_b32 v10, v10, v12, vcc_lo :: v_dual_add_nc_u32 v16, v0, v27
	global_load_b32 v10, v[10:11], off
	v_ashrrev_i32_e32 v17, 31, v16
	v_lshlrev_b64_e32 v[0:1], 8, v[16:17]
	s_delay_alu instid0(VALU_DEP_1) | instskip(SKIP_2) | instid1(VALU_DEP_1)
	v_add_nc_u64_e32 v[18:19], s[10:11], v[0:1]
	s_wait_loadcnt 0x0
	v_subrev_nc_u32_e32 v17, s12, v10
	v_cmp_lt_i32_e64 s2, v16, v17
	s_cbranch_scc1 .LBB19_23
; %bb.12:
	v_mov_b64_e32 v[0:1], 0
	v_mov_b64_e32 v[28:29], 0
	;; [unrolled: 1-line block ×8, first 2 shown]
	s_and_saveexec_b32 s3, s2
	s_cbranch_execz .LBB19_22
; %bb.13:
	v_add_nc_u32_e32 v0, v32, v27
	v_not_b32_e32 v1, v32
	v_mov_b64_e32 v[12:13], 0
	v_mov_b64_e32 v[24:25], 0
	;; [unrolled: 1-line block ×3, first 2 shown]
	v_subrev_nc_u32_e32 v0, s12, v0
	v_mov_b64_e32 v[22:23], 0
	v_mov_b64_e32 v[10:11], 0
	;; [unrolled: 1-line block ×4, first 2 shown]
	v_add_max_i32_e64 v0, v0, 64, v17
	v_mov_b64_e32 v[30:31], v[18:19]
	s_delay_alu instid0(VALU_DEP_2) | instskip(NEXT) | instid1(VALU_DEP_1)
	v_add3_u32 v0, s12, v0, v1
	v_sub_nc_u32_e32 v34, v0, v27
	v_mov_b64_e32 v[0:1], 0
	s_delay_alu instid0(VALU_DEP_2) | instskip(NEXT) | instid1(VALU_DEP_1)
	v_and_b32_e32 v33, 0xc0, v34
	v_cmp_ne_u32_e32 vcc_lo, 0xc0, v33
	v_mov_b32_e32 v33, v16
	s_and_saveexec_b32 s6, vcc_lo
	s_cbranch_execz .LBB19_17
; %bb.14:
	v_dual_mov_b32 v33, v16 :: v_dual_lshrrev_b32 v10, 6, v34
	v_mov_b64_e32 v[0:1], 0
	v_mov_b64_e32 v[28:29], 0
	;; [unrolled: 1-line block ×3, first 2 shown]
	s_delay_alu instid0(VALU_DEP_4)
	v_add_nc_u32_e32 v12, 1, v10
	v_mov_b64_e32 v[10:11], 0
	v_mov_b64_e32 v[22:23], 0
	;; [unrolled: 1-line block ×4, first 2 shown]
	v_and_b32_e32 v30, 3, v12
	v_mov_b64_e32 v[12:13], 0
	s_mov_b32 s7, 0
	s_delay_alu instid0(VALU_DEP_2)
	v_sub_nc_u32_e32 v35, 0, v30
	v_mov_b64_e32 v[30:31], v[18:19]
.LBB19_15:                              ; =>This Inner Loop Header: Depth=1
	global_load_b32 v68, v33, s[8:9] scale_offset
	s_clause 0x7
	global_load_b128 v[36:39], v[30:31], off offset:16
	global_load_b128 v[40:43], v[30:31], off
	global_load_b128 v[44:47], v[30:31], off offset:80
	global_load_b128 v[48:51], v[30:31], off offset:64
	;; [unrolled: 1-line block ×6, first 2 shown]
	v_add_co_u32 v35, s10, v35, 1
	s_or_b32 s7, s10, s7
	s_wait_xcnt 0x8
	v_add_nc_u32_e32 v33, 64, v33
	s_wait_loadcnt 0x8
	v_subrev_nc_u32_e32 v68, s12, v68
	s_delay_alu instid0(VALU_DEP_1)
	v_lshlrev_b32_e32 v116, 2, v68
	s_wait_kmcnt 0x0
	s_clause 0x1
	global_load_b128 v[68:71], v116, s[4:5] scale_offset
	global_load_b128 v[72:75], v116, s[4:5] offset:16 scale_offset
	s_clause 0x7
	global_load_b128 v[76:79], v[30:31], off offset:48
	global_load_b128 v[80:83], v[30:31], off offset:32
	;; [unrolled: 1-line block ×8, first 2 shown]
	s_clause 0x1
	global_load_b128 v[108:111], v116, s[4:5] offset:32 scale_offset
	global_load_b128 v[112:115], v116, s[4:5] offset:48 scale_offset
	s_wait_xcnt 0x2
	v_add_nc_u64_e32 v[30:31], 0x4000, v[30:31]
	s_wait_loadcnt 0xb
	v_fmac_f64_e32 v[28:29], v[40:41], v[68:69]
	v_fmac_f64_e32 v[0:1], v[42:43], v[68:69]
	v_fmac_f64_e32 v[24:25], v[48:49], v[68:69]
	v_fmac_f64_e32 v[12:13], v[50:51], v[68:69]
	v_fmac_f64_e32 v[22:23], v[56:57], v[68:69]
	v_fmac_f64_e32 v[14:15], v[58:59], v[68:69]
	v_fmac_f64_e32 v[20:21], v[64:65], v[68:69]
	v_fmac_f64_e32 v[10:11], v[66:67], v[68:69]
	v_fma_f64 v[28:29], -v[42:43], v[70:71], v[28:29]
	v_fmac_f64_e32 v[0:1], v[40:41], v[70:71]
	v_fma_f64 v[24:25], -v[50:51], v[70:71], v[24:25]
	v_fmac_f64_e32 v[12:13], v[48:49], v[70:71]
	v_fma_f64 v[22:23], -v[58:59], v[70:71], v[22:23]
	v_fmac_f64_e32 v[14:15], v[56:57], v[70:71]
	v_fma_f64 v[20:21], -v[66:67], v[70:71], v[20:21]
	v_fmac_f64_e32 v[10:11], v[64:65], v[70:71]
	s_wait_loadcnt 0xa
	v_fmac_f64_e32 v[28:29], v[36:37], v[72:73]
	v_fmac_f64_e32 v[0:1], v[38:39], v[72:73]
	v_fmac_f64_e32 v[24:25], v[44:45], v[72:73]
	v_fmac_f64_e32 v[12:13], v[46:47], v[72:73]
	v_fmac_f64_e32 v[22:23], v[52:53], v[72:73]
	v_fmac_f64_e32 v[14:15], v[54:55], v[72:73]
	v_fmac_f64_e32 v[20:21], v[60:61], v[72:73]
	v_fmac_f64_e32 v[10:11], v[62:63], v[72:73]
	v_fma_f64 v[28:29], -v[38:39], v[74:75], v[28:29]
	v_fmac_f64_e32 v[0:1], v[36:37], v[74:75]
	v_fma_f64 v[24:25], -v[46:47], v[74:75], v[24:25]
	v_fmac_f64_e32 v[12:13], v[44:45], v[74:75]
	v_fma_f64 v[22:23], -v[54:55], v[74:75], v[22:23]
	v_fmac_f64_e32 v[14:15], v[52:53], v[74:75]
	v_fma_f64 v[20:21], -v[62:63], v[74:75], v[20:21]
	v_fmac_f64_e32 v[10:11], v[60:61], v[74:75]
	;; [unrolled: 17-line block ×4, first 2 shown]
	s_and_not1_b32 exec_lo, exec_lo, s7
	s_cbranch_execnz .LBB19_15
; %bb.16:
	s_or_b32 exec_lo, exec_lo, s7
.LBB19_17:
	s_delay_alu instid0(SALU_CYCLE_1) | instskip(NEXT) | instid1(SALU_CYCLE_1)
	s_or_b32 exec_lo, exec_lo, s6
	s_mov_b32 s6, exec_lo
	v_cmpx_lt_u32_e32 0xbf, v34
	s_cbranch_execz .LBB19_21
; %bb.18:
	s_mov_b32 s7, 0
.LBB19_19:                              ; =>This Inner Loop Header: Depth=1
	global_load_b32 v142, v33, s[8:9] scale_offset
	s_clause 0x13
	global_load_b128 v[34:37], v[30:31], off offset:48
	global_load_b128 v[38:41], v[30:31], off offset:32
	;; [unrolled: 1-line block ×3, first 2 shown]
	global_load_b128 v[46:49], v[30:31], off
	global_load_b128 v[50:53], v[30:31], off offset:112
	global_load_b128 v[54:57], v[30:31], off offset:96
	;; [unrolled: 1-line block ×16, first 2 shown]
	s_clause 0x2
	global_load_b32 v154, v33, s[8:9] offset:256 scale_offset
	global_load_b32 v155, v33, s[8:9] offset:512 scale_offset
	;; [unrolled: 1-line block ×3, first 2 shown]
	s_clause 0x6
	global_load_b128 v[114:117], v[30:31], off offset:16496
	global_load_b128 v[118:121], v[30:31], off offset:16480
	;; [unrolled: 1-line block ×7, first 2 shown]
	s_wait_xcnt 0x7
	v_add_nc_u32_e32 v33, 0x100, v33
	s_delay_alu instid0(VALU_DEP_1) | instskip(SKIP_3) | instid1(VALU_DEP_1)
	v_cmp_ge_i32_e32 vcc_lo, v33, v17
	s_or_b32 s7, vcc_lo, s7
	s_wait_loadcnt 0x1e
	v_subrev_nc_u32_e32 v142, s12, v142
	v_lshlrev_b32_e32 v157, 2, v142
	s_wait_kmcnt 0x0
	s_clause 0x1
	global_load_b128 v[142:145], v157, s[4:5] scale_offset
	global_load_b128 v[146:149], v157, s[4:5] offset:16 scale_offset
	s_wait_loadcnt 0x1
	v_fmac_f64_e32 v[28:29], v[46:47], v[142:143]
	v_fmac_f64_e32 v[0:1], v[48:49], v[142:143]
	;; [unrolled: 1-line block ×8, first 2 shown]
	v_fma_f64 v[28:29], -v[48:49], v[144:145], v[28:29]
	v_fmac_f64_e32 v[0:1], v[46:47], v[144:145]
	v_fma_f64 v[150:151], -v[64:65], v[144:145], v[24:25]
	v_fmac_f64_e32 v[12:13], v[62:63], v[144:145]
	;; [unrolled: 2-line block ×4, first 2 shown]
	s_clause 0x4
	global_load_b128 v[46:49], v[30:31], off offset:16512
	global_load_b128 v[22:25], v[30:31], off offset:16608
	global_load_b128 v[62:65], v[30:31], off offset:16624
	global_load_b128 v[78:81], v[30:31], off offset:16592
	global_load_b128 v[94:97], v[30:31], off offset:16576
	s_wait_loadcnt 0x5
	v_fmac_f64_e32 v[28:29], v[42:43], v[146:147]
	v_fmac_f64_e32 v[0:1], v[44:45], v[146:147]
	;; [unrolled: 1-line block ×8, first 2 shown]
	v_fma_f64 v[28:29], -v[44:45], v[148:149], v[28:29]
	v_fmac_f64_e32 v[0:1], v[42:43], v[148:149]
	global_load_b128 v[42:45], v[30:31], off offset:32816
	v_fma_f64 v[150:151], -v[60:61], v[148:149], v[150:151]
	v_fmac_f64_e32 v[12:13], v[58:59], v[148:149]
	global_load_b128 v[58:61], v[30:31], off offset:32800
	;; [unrolled: 3-line block ×3, first 2 shown]
	v_fma_f64 v[20:21], -v[92:93], v[148:149], v[20:21]
	v_fmac_f64_e32 v[10:11], v[90:91], v[148:149]
	s_clause 0x1
	global_load_b128 v[90:93], v157, s[4:5] offset:32 scale_offset
	global_load_b128 v[142:145], v157, s[4:5] offset:48 scale_offset
	s_wait_loadcnt 0x1
	v_fmac_f64_e32 v[28:29], v[38:39], v[90:91]
	v_fmac_f64_e32 v[0:1], v[40:41], v[90:91]
	;; [unrolled: 1-line block ×8, first 2 shown]
	v_fma_f64 v[28:29], -v[40:41], v[92:93], v[28:29]
	v_fmac_f64_e32 v[0:1], v[38:39], v[92:93]
	v_fma_f64 v[146:147], -v[56:57], v[92:93], v[150:151]
	v_fmac_f64_e32 v[12:13], v[54:55], v[92:93]
	;; [unrolled: 2-line block ×4, first 2 shown]
	v_subrev_nc_u32_e32 v150, s12, v154
	s_clause 0x4
	global_load_b128 v[38:41], v[30:31], off offset:32768
	global_load_b128 v[70:73], v[30:31], off offset:32864
	;; [unrolled: 1-line block ×5, first 2 shown]
	v_lshlrev_b32_e32 v150, 2, v150
	s_wait_loadcnt 0x5
	v_fmac_f64_e32 v[28:29], v[34:35], v[142:143]
	v_fmac_f64_e32 v[0:1], v[36:37], v[142:143]
	;; [unrolled: 1-line block ×8, first 2 shown]
	v_fma_f64 v[28:29], -v[36:37], v[144:145], v[28:29]
	v_fmac_f64_e32 v[0:1], v[34:35], v[144:145]
	global_load_b128 v[34:37], v[30:31], off offset:32944
	v_fma_f64 v[146:147], -v[52:53], v[144:145], v[146:147]
	v_fmac_f64_e32 v[12:13], v[50:51], v[144:145]
	global_load_b128 v[50:53], v[30:31], off offset:32928
	;; [unrolled: 3-line block ×3, first 2 shown]
	v_fma_f64 v[20:21], -v[84:85], v[144:145], v[20:21]
	v_fmac_f64_e32 v[10:11], v[82:83], v[144:145]
	s_clause 0x1
	global_load_b128 v[82:85], v150, s[4:5] scale_offset
	global_load_b128 v[142:145], v150, s[4:5] offset:16 scale_offset
	s_wait_loadcnt 0x1
	v_fmac_f64_e32 v[28:29], v[110:111], v[82:83]
	v_fmac_f64_e32 v[0:1], v[112:113], v[82:83]
	;; [unrolled: 1-line block ×8, first 2 shown]
	v_fma_f64 v[28:29], -v[112:113], v[84:85], v[28:29]
	v_fmac_f64_e32 v[0:1], v[110:111], v[84:85]
	v_fma_f64 v[146:147], -v[128:129], v[84:85], v[146:147]
	v_fmac_f64_e32 v[12:13], v[126:127], v[84:85]
	;; [unrolled: 2-line block ×4, first 2 shown]
	s_clause 0x4
	global_load_b128 v[110:113], v[30:31], off offset:32896
	global_load_b128 v[46:49], v[30:31], off offset:32992
	;; [unrolled: 1-line block ×5, first 2 shown]
	s_wait_loadcnt 0x5
	v_fmac_f64_e32 v[28:29], v[106:107], v[142:143]
	v_fmac_f64_e32 v[0:1], v[108:109], v[142:143]
	;; [unrolled: 1-line block ×8, first 2 shown]
	v_fma_f64 v[28:29], -v[108:109], v[144:145], v[28:29]
	v_fmac_f64_e32 v[0:1], v[106:107], v[144:145]
	global_load_b128 v[106:109], v[30:31], off offset:49200
	v_fma_f64 v[146:147], -v[124:125], v[144:145], v[146:147]
	v_fmac_f64_e32 v[12:13], v[122:123], v[144:145]
	global_load_b128 v[122:125], v[30:31], off offset:49184
	;; [unrolled: 3-line block ×3, first 2 shown]
	v_fma_f64 v[20:21], -v[80:81], v[144:145], v[20:21]
	v_fmac_f64_e32 v[10:11], v[78:79], v[144:145]
	s_clause 0x1
	global_load_b128 v[78:81], v150, s[4:5] offset:32 scale_offset
	global_load_b128 v[142:145], v150, s[4:5] offset:48 scale_offset
	s_wait_xcnt 0x0
	v_subrev_nc_u32_e32 v150, s12, v155
	s_delay_alu instid0(VALU_DEP_1)
	v_lshlrev_b32_e32 v150, 2, v150
	s_wait_loadcnt 0x1
	v_fmac_f64_e32 v[28:29], v[102:103], v[78:79]
	v_fmac_f64_e32 v[0:1], v[104:105], v[78:79]
	;; [unrolled: 1-line block ×8, first 2 shown]
	v_fma_f64 v[28:29], -v[104:105], v[80:81], v[28:29]
	v_fmac_f64_e32 v[0:1], v[102:103], v[80:81]
	global_load_b128 v[102:105], v[30:31], off offset:49152
	v_fma_f64 v[146:147], -v[120:121], v[80:81], v[146:147]
	v_fmac_f64_e32 v[12:13], v[118:119], v[80:81]
	global_load_b128 v[118:121], v[30:31], off offset:49264
	;; [unrolled: 3-line block ×3, first 2 shown]
	v_fma_f64 v[24:25], -v[24:25], v[80:81], v[20:21]
	v_fmac_f64_e32 v[10:11], v[22:23], v[80:81]
	s_clause 0x1
	global_load_b128 v[20:23], v[30:31], off offset:49232
	global_load_b128 v[78:81], v[30:31], off offset:49216
	s_wait_loadcnt 0x5
	v_fmac_f64_e32 v[28:29], v[98:99], v[142:143]
	v_fmac_f64_e32 v[0:1], v[100:101], v[142:143]
	;; [unrolled: 1-line block ×8, first 2 shown]
	v_fma_f64 v[28:29], -v[100:101], v[144:145], v[28:29]
	v_fmac_f64_e32 v[0:1], v[98:99], v[144:145]
	global_load_b128 v[98:101], v150, s[4:5] scale_offset
	v_fma_f64 v[146:147], -v[116:117], v[144:145], v[146:147]
	v_fmac_f64_e32 v[12:13], v[114:115], v[144:145]
	global_load_b128 v[114:117], v150, s[4:5] offset:16 scale_offset
	v_fma_f64 v[148:149], -v[132:133], v[144:145], v[148:149]
	v_fmac_f64_e32 v[14:15], v[130:131], v[144:145]
	global_load_b128 v[130:133], v[30:31], off offset:49296
	v_fma_f64 v[24:25], -v[64:65], v[144:145], v[24:25]
	v_fmac_f64_e32 v[10:11], v[62:63], v[144:145]
	global_load_b128 v[62:65], v[30:31], off offset:49280
	global_load_b128 v[142:145], v150, s[4:5] offset:32 scale_offset
	s_wait_loadcnt 0x4
	v_fmac_f64_e32 v[28:29], v[38:39], v[98:99]
	v_fmac_f64_e32 v[0:1], v[40:41], v[98:99]
	;; [unrolled: 1-line block ×8, first 2 shown]
	v_fma_f64 v[28:29], -v[40:41], v[100:101], v[28:29]
	v_fmac_f64_e32 v[0:1], v[38:39], v[100:101]
	global_load_b128 v[38:41], v150, s[4:5] offset:48 scale_offset
	s_wait_xcnt 0x0
	v_subrev_nc_u32_e32 v150, s12, v156
	v_fma_f64 v[146:147], -v[92:93], v[100:101], v[146:147]
	v_fmac_f64_e32 v[12:13], v[90:91], v[100:101]
	global_load_b128 v[90:93], v[30:31], off offset:49344
	v_dual_fma_f64 v[148:149], -v[112:113], v[100:101], v[148:149] :: v_dual_lshlrev_b32 v154, 2, v150
	v_fmac_f64_e32 v[14:15], v[110:111], v[100:101]
	v_fma_f64 v[24:25], -v[96:97], v[100:101], v[24:25]
	v_fmac_f64_e32 v[10:11], v[94:95], v[100:101]
	global_load_b128 v[110:113], v154, s[4:5] scale_offset
	s_clause 0x1
	global_load_b128 v[94:97], v[30:31], off offset:49360
	global_load_b128 v[98:101], v[30:31], off offset:49312
	s_wait_loadcnt 0x8
	v_fmac_f64_e32 v[28:29], v[74:75], v[114:115]
	v_fmac_f64_e32 v[0:1], v[76:77], v[114:115]
	;; [unrolled: 1-line block ×8, first 2 shown]
	v_fma_f64 v[28:29], -v[76:77], v[116:117], v[28:29]
	v_fmac_f64_e32 v[0:1], v[74:75], v[116:117]
	global_load_b128 v[74:77], v154, s[4:5] offset:16 scale_offset
	v_fma_f64 v[150:151], -v[88:89], v[116:117], v[146:147]
	v_fmac_f64_e32 v[12:13], v[86:87], v[116:117]
	global_load_b128 v[86:89], v[30:31], off offset:49376
	v_fma_f64 v[152:153], -v[68:69], v[116:117], v[148:149]
	v_fmac_f64_e32 v[14:15], v[66:67], v[116:117]
	global_load_b128 v[66:69], v154, s[4:5] offset:32 scale_offset
	v_fma_f64 v[24:25], -v[84:85], v[116:117], v[24:25]
	v_fmac_f64_e32 v[10:11], v[82:83], v[116:117]
	s_clause 0x1
	global_load_b128 v[82:85], v[30:31], off offset:49328
	global_load_b128 v[114:117], v[30:31], off offset:49392
	global_load_b128 v[146:149], v154, s[4:5] offset:48 scale_offset
	s_wait_xcnt 0x1
	v_add_nc_u64_e32 v[30:31], 0x10000, v[30:31]
	s_wait_loadcnt 0xb
	v_fmac_f64_e32 v[28:29], v[58:59], v[142:143]
	v_fmac_f64_e32 v[0:1], v[60:61], v[142:143]
	v_fmac_f64_e32 v[150:151], v[70:71], v[142:143]
	v_fmac_f64_e32 v[12:13], v[72:73], v[142:143]
	v_fmac_f64_e32 v[152:153], v[50:51], v[142:143]
	v_fmac_f64_e32 v[14:15], v[52:53], v[142:143]
	v_fmac_f64_e32 v[24:25], v[46:47], v[142:143]
	v_fmac_f64_e32 v[10:11], v[48:49], v[142:143]
	v_fma_f64 v[28:29], -v[60:61], v[144:145], v[28:29]
	v_fmac_f64_e32 v[0:1], v[58:59], v[144:145]
	v_fma_f64 v[58:59], -v[72:73], v[144:145], v[150:151]
	v_fmac_f64_e32 v[12:13], v[70:71], v[144:145]
	v_fma_f64 v[52:53], -v[52:53], v[144:145], v[152:153]
	v_fmac_f64_e32 v[14:15], v[50:51], v[144:145]
	v_fma_f64 v[24:25], -v[48:49], v[144:145], v[24:25]
	v_fmac_f64_e32 v[10:11], v[46:47], v[144:145]
	s_wait_loadcnt 0xa
	v_fmac_f64_e32 v[28:29], v[42:43], v[38:39]
	v_fmac_f64_e32 v[0:1], v[44:45], v[38:39]
	v_fmac_f64_e32 v[58:59], v[54:55], v[38:39]
	v_fmac_f64_e32 v[12:13], v[56:57], v[38:39]
	v_fmac_f64_e32 v[52:53], v[34:35], v[38:39]
	v_fmac_f64_e32 v[14:15], v[36:37], v[38:39]
	v_fmac_f64_e32 v[24:25], v[126:127], v[38:39]
	v_fmac_f64_e32 v[10:11], v[128:129], v[38:39]
	v_fma_f64 v[28:29], -v[44:45], v[40:41], v[28:29]
	v_fmac_f64_e32 v[0:1], v[42:43], v[40:41]
	v_fma_f64 v[38:39], -v[56:57], v[40:41], v[58:59]
	v_fmac_f64_e32 v[12:13], v[54:55], v[40:41]
	v_fma_f64 v[36:37], -v[36:37], v[40:41], v[52:53]
	v_fmac_f64_e32 v[14:15], v[34:35], v[40:41]
	v_fma_f64 v[24:25], -v[128:129], v[40:41], v[24:25]
	v_fmac_f64_e32 v[10:11], v[126:127], v[40:41]
	;; [unrolled: 17-line block ×6, first 2 shown]
	s_and_not1_b32 exec_lo, exec_lo, s7
	s_cbranch_execnz .LBB19_19
; %bb.20:
	s_or_b32 exec_lo, exec_lo, s7
.LBB19_21:
	s_delay_alu instid0(SALU_CYCLE_1)
	s_or_b32 exec_lo, exec_lo, s6
.LBB19_22:
	s_delay_alu instid0(SALU_CYCLE_1)
	s_or_b32 exec_lo, exec_lo, s3
	s_cbranch_execz .LBB19_24
	s_branch .LBB19_35
.LBB19_23:
                                        ; implicit-def: $vgpr0_vgpr1
                                        ; implicit-def: $vgpr28_vgpr29
                                        ; implicit-def: $vgpr20_vgpr21
                                        ; implicit-def: $vgpr10_vgpr11
                                        ; implicit-def: $vgpr22_vgpr23
                                        ; implicit-def: $vgpr14_vgpr15
                                        ; implicit-def: $vgpr24_vgpr25
                                        ; implicit-def: $vgpr12_vgpr13
.LBB19_24:
	v_mov_b64_e32 v[0:1], 0
	v_mov_b64_e32 v[28:29], 0
	;; [unrolled: 1-line block ×8, first 2 shown]
	s_and_saveexec_b32 s3, s2
	s_cbranch_execz .LBB19_34
; %bb.25:
	v_add_nc_u32_e32 v0, v32, v27
	v_not_b32_e32 v1, v32
	v_mov_b64_e32 v[12:13], 0
	v_mov_b64_e32 v[24:25], 0
	;; [unrolled: 1-line block ×3, first 2 shown]
	v_subrev_nc_u32_e32 v0, s12, v0
	v_mov_b64_e32 v[22:23], 0
	v_mov_b64_e32 v[10:11], 0
	;; [unrolled: 1-line block ×4, first 2 shown]
	v_add_max_i32_e64 v0, v0, 64, v17
	s_mov_b32 s2, exec_lo
	s_delay_alu instid0(VALU_DEP_1) | instskip(NEXT) | instid1(VALU_DEP_1)
	v_add3_u32 v0, s12, v0, v1
	v_sub_nc_u32_e32 v30, v0, v27
	v_mov_b64_e32 v[0:1], 0
	s_delay_alu instid0(VALU_DEP_2) | instskip(NEXT) | instid1(VALU_DEP_1)
	v_and_b32_e32 v31, 0xc0, v30
	v_cmpx_ne_u32_e32 0xc0, v31
	s_cbranch_execz .LBB19_29
; %bb.26:
	v_lshrrev_b32_e32 v0, 6, v30
	v_mov_b64_e32 v[28:29], 0
	v_mov_b64_e32 v[20:21], 0
	;; [unrolled: 1-line block ×4, first 2 shown]
	v_add_nc_u32_e32 v12, 1, v0
	v_mov_b64_e32 v[0:1], 0
	v_mov_b64_e32 v[14:15], 0
	;; [unrolled: 1-line block ×3, first 2 shown]
	s_mov_b32 s6, 0
	v_and_b32_e32 v31, 3, v12
	v_mov_b64_e32 v[12:13], 0
	s_delay_alu instid0(VALU_DEP_2)
	v_sub_nc_u32_e32 v31, 0, v31
.LBB19_27:                              ; =>This Inner Loop Header: Depth=1
	global_load_b32 v48, v16, s[8:9] scale_offset
	s_clause 0x3
	global_load_b128 v[32:35], v[18:19], off offset:48
	global_load_b128 v[36:39], v[18:19], off offset:32
	;; [unrolled: 1-line block ×3, first 2 shown]
	global_load_b128 v[44:47], v[18:19], off
	v_add_co_u32 v31, s7, v31, 1
	s_or_b32 s6, s7, s6
	s_wait_xcnt 0x4
	v_add_nc_u32_e32 v16, 64, v16
	s_wait_loadcnt 0x4
	v_subrev_nc_u32_e32 v48, s12, v48
	s_delay_alu instid0(VALU_DEP_1)
	v_lshlrev_b32_e32 v108, 2, v48
	s_wait_kmcnt 0x0
	global_load_b128 v[48:51], v108, s[4:5] scale_offset
	s_clause 0x3
	global_load_b128 v[52:55], v[18:19], off offset:112
	global_load_b128 v[56:59], v[18:19], off offset:96
	;; [unrolled: 1-line block ×4, first 2 shown]
	global_load_b128 v[68:71], v108, s[4:5] offset:16 scale_offset
	s_clause 0x3
	global_load_b128 v[72:75], v[18:19], off offset:176
	global_load_b128 v[76:79], v[18:19], off offset:160
	;; [unrolled: 1-line block ×4, first 2 shown]
	s_clause 0x1
	global_load_b128 v[88:91], v108, s[4:5] offset:32 scale_offset
	global_load_b128 v[92:95], v108, s[4:5] offset:48 scale_offset
	s_clause 0x3
	global_load_b128 v[96:99], v[18:19], off offset:192
	global_load_b128 v[100:103], v[18:19], off offset:208
	;; [unrolled: 1-line block ×3, first 2 shown]
	; meta instruction
	global_load_b128 v[108:111], v[18:19], off offset:240
	s_wait_xcnt 0x0
	v_add_nc_u64_e32 v[18:19], 0x4000, v[18:19]
	s_wait_loadcnt 0xf
	v_fmac_f64_e32 v[28:29], v[44:45], v[48:49]
	v_fmac_f64_e32 v[0:1], v[46:47], v[48:49]
	v_fmac_f64_e32 v[24:25], v[40:41], v[48:49]
	v_fmac_f64_e32 v[12:13], v[42:43], v[48:49]
	v_fmac_f64_e32 v[22:23], v[36:37], v[48:49]
	v_fmac_f64_e32 v[14:15], v[38:39], v[48:49]
	v_fmac_f64_e32 v[20:21], v[32:33], v[48:49]
	v_fmac_f64_e32 v[10:11], v[34:35], v[48:49]
	v_fma_f64 v[28:29], -v[46:47], v[50:51], v[28:29]
	v_fmac_f64_e32 v[0:1], v[44:45], v[50:51]
	v_fma_f64 v[24:25], -v[42:43], v[50:51], v[24:25]
	v_fmac_f64_e32 v[12:13], v[40:41], v[50:51]
	v_fma_f64 v[22:23], -v[38:39], v[50:51], v[22:23]
	v_fmac_f64_e32 v[14:15], v[36:37], v[50:51]
	v_fma_f64 v[20:21], -v[34:35], v[50:51], v[20:21]
	v_fmac_f64_e32 v[10:11], v[32:33], v[50:51]
	s_wait_loadcnt 0xa
	v_fmac_f64_e32 v[28:29], v[64:65], v[68:69]
	v_fmac_f64_e32 v[0:1], v[66:67], v[68:69]
	v_fmac_f64_e32 v[24:25], v[60:61], v[68:69]
	v_fmac_f64_e32 v[12:13], v[62:63], v[68:69]
	v_fmac_f64_e32 v[22:23], v[56:57], v[68:69]
	v_fmac_f64_e32 v[14:15], v[58:59], v[68:69]
	v_fmac_f64_e32 v[20:21], v[52:53], v[68:69]
	v_fmac_f64_e32 v[10:11], v[54:55], v[68:69]
	v_fma_f64 v[28:29], -v[66:67], v[70:71], v[28:29]
	v_fmac_f64_e32 v[0:1], v[64:65], v[70:71]
	v_fma_f64 v[24:25], -v[62:63], v[70:71], v[24:25]
	v_fmac_f64_e32 v[12:13], v[60:61], v[70:71]
	v_fma_f64 v[22:23], -v[58:59], v[70:71], v[22:23]
	v_fmac_f64_e32 v[14:15], v[56:57], v[70:71]
	v_fma_f64 v[20:21], -v[54:55], v[70:71], v[20:21]
	v_fmac_f64_e32 v[10:11], v[52:53], v[70:71]
	;; [unrolled: 17-line block ×3, first 2 shown]
	s_wait_loadcnt 0x3
	v_fmac_f64_e32 v[28:29], v[96:97], v[92:93]
	v_fmac_f64_e32 v[0:1], v[98:99], v[92:93]
	s_wait_loadcnt 0x2
	v_fmac_f64_e32 v[24:25], v[100:101], v[92:93]
	v_fmac_f64_e32 v[12:13], v[102:103], v[92:93]
	;; [unrolled: 3-line block ×4, first 2 shown]
	v_fma_f64 v[28:29], -v[98:99], v[94:95], v[28:29]
	v_fmac_f64_e32 v[0:1], v[96:97], v[94:95]
	v_fma_f64 v[24:25], -v[102:103], v[94:95], v[24:25]
	v_fmac_f64_e32 v[12:13], v[100:101], v[94:95]
	;; [unrolled: 2-line block ×4, first 2 shown]
	s_and_not1_b32 exec_lo, exec_lo, s6
	s_cbranch_execnz .LBB19_27
; %bb.28:
	s_or_b32 exec_lo, exec_lo, s6
.LBB19_29:
	s_delay_alu instid0(SALU_CYCLE_1) | instskip(NEXT) | instid1(SALU_CYCLE_1)
	s_or_b32 exec_lo, exec_lo, s2
	s_mov_b32 s2, exec_lo
	v_cmpx_lt_u32_e32 0xbf, v30
	s_cbranch_execz .LBB19_33
; %bb.30:
	s_mov_b32 s6, 0
.LBB19_31:                              ; =>This Inner Loop Header: Depth=1
	global_load_b32 v118, v16, s[8:9] scale_offset
	s_clause 0xd
	global_load_b128 v[30:33], v[18:19], off offset:48
	global_load_b128 v[34:37], v[18:19], off offset:32
	;; [unrolled: 1-line block ×3, first 2 shown]
	global_load_b128 v[42:45], v[18:19], off
	global_load_b128 v[46:49], v[18:19], off offset:112
	global_load_b128 v[50:53], v[18:19], off offset:96
	;; [unrolled: 1-line block ×10, first 2 shown]
	s_clause 0x2
	global_load_b32 v130, v16, s[8:9] offset:256 scale_offset
	global_load_b32 v132, v16, s[8:9] offset:512 scale_offset
	;; [unrolled: 1-line block ×3, first 2 shown]
	s_clause 0x7
	global_load_b128 v[86:89], v[18:19], off offset:208
	global_load_b128 v[90:93], v[18:19], off offset:192
	global_load_b128 v[94:97], v[18:19], off offset:16432
	global_load_b128 v[98:101], v[18:19], off offset:16416
	global_load_b128 v[102:105], v[18:19], off offset:16400
	global_load_b128 v[106:109], v[18:19], off offset:16384
	global_load_b128 v[110:113], v[18:19], off offset:16496
	global_load_b128 v[114:117], v[18:19], off offset:16480
	s_wait_xcnt 0x8
	v_add_nc_u32_e32 v16, 0x100, v16
	s_delay_alu instid0(VALU_DEP_1) | instskip(SKIP_3) | instid1(VALU_DEP_1)
	v_cmp_ge_i32_e32 vcc_lo, v16, v17
	s_or_b32 s6, vcc_lo, s6
	s_wait_loadcnt 0x19
	v_subrev_nc_u32_e32 v118, s12, v118
	v_lshlrev_b32_e32 v131, 2, v118
	s_wait_kmcnt 0x0
	s_clause 0x1
	global_load_b128 v[118:121], v131, s[4:5] scale_offset
	global_load_b128 v[122:125], v131, s[4:5] offset:16 scale_offset
	s_wait_loadcnt 0xc
	v_subrev_nc_u32_e32 v130, s12, v130
	s_delay_alu instid0(VALU_DEP_1)
	v_lshlrev_b32_e32 v134, 2, v130
	s_wait_loadcnt 0x1
	v_fmac_f64_e32 v[28:29], v[42:43], v[118:119]
	v_fmac_f64_e32 v[0:1], v[44:45], v[118:119]
	v_fmac_f64_e32 v[24:25], v[38:39], v[118:119]
	v_fmac_f64_e32 v[12:13], v[40:41], v[118:119]
	v_fmac_f64_e32 v[22:23], v[34:35], v[118:119]
	v_fmac_f64_e32 v[14:15], v[36:37], v[118:119]
	v_fmac_f64_e32 v[20:21], v[30:31], v[118:119]
	v_fmac_f64_e32 v[10:11], v[32:33], v[118:119]
	v_fma_f64 v[126:127], -v[44:45], v[120:121], v[28:29]
	v_fmac_f64_e32 v[0:1], v[42:43], v[120:121]
	v_fma_f64 v[128:129], -v[40:41], v[120:121], v[24:25]
	v_fmac_f64_e32 v[12:13], v[38:39], v[120:121]
	;; [unrolled: 2-line block ×4, first 2 shown]
	s_clause 0x4
	global_load_b128 v[42:45], v[18:19], off offset:16464
	global_load_b128 v[38:41], v[18:19], off offset:16448
	;; [unrolled: 1-line block ×5, first 2 shown]
	s_wait_loadcnt 0x5
	v_fmac_f64_e32 v[126:127], v[58:59], v[122:123]
	v_fmac_f64_e32 v[0:1], v[60:61], v[122:123]
	;; [unrolled: 1-line block ×8, first 2 shown]
	v_fma_f64 v[126:127], -v[60:61], v[124:125], v[126:127]
	v_fmac_f64_e32 v[0:1], v[58:59], v[124:125]
	global_load_b128 v[58:61], v[18:19], off offset:16512
	v_fma_f64 v[128:129], -v[56:57], v[124:125], v[128:129]
	v_fmac_f64_e32 v[12:13], v[54:55], v[124:125]
	global_load_b128 v[54:57], v[18:19], off offset:16624
	;; [unrolled: 3-line block ×4, first 2 shown]
	s_clause 0x1
	global_load_b128 v[118:121], v131, s[4:5] offset:32 scale_offset
	global_load_b128 v[122:125], v131, s[4:5] offset:48 scale_offset
	s_wait_loadcnt 0x1
	v_fmac_f64_e32 v[126:127], v[74:75], v[118:119]
	v_fmac_f64_e32 v[0:1], v[76:77], v[118:119]
	;; [unrolled: 1-line block ×8, first 2 shown]
	v_fma_f64 v[126:127], -v[76:77], v[120:121], v[126:127]
	v_fmac_f64_e32 v[0:1], v[74:75], v[120:121]
	v_fma_f64 v[128:129], -v[72:73], v[120:121], v[128:129]
	v_fmac_f64_e32 v[12:13], v[70:71], v[120:121]
	;; [unrolled: 2-line block ×4, first 2 shown]
	s_clause 0x4
	global_load_b128 v[74:77], v[18:19], off offset:16576
	global_load_b128 v[66:69], v[18:19], off offset:32800
	;; [unrolled: 1-line block ×5, first 2 shown]
	s_wait_loadcnt 0x5
	v_fmac_f64_e32 v[126:127], v[90:91], v[122:123]
	v_fmac_f64_e32 v[0:1], v[92:93], v[122:123]
	;; [unrolled: 1-line block ×8, first 2 shown]
	v_fma_f64 v[126:127], -v[92:93], v[124:125], v[126:127]
	v_fmac_f64_e32 v[0:1], v[90:91], v[124:125]
	global_load_b128 v[90:93], v[18:19], off offset:32880
	v_fma_f64 v[128:129], -v[88:89], v[124:125], v[128:129]
	v_fmac_f64_e32 v[12:13], v[86:87], v[124:125]
	global_load_b128 v[86:89], v[18:19], off offset:32864
	;; [unrolled: 3-line block ×3, first 2 shown]
	v_fma_f64 v[20:21], -v[80:81], v[124:125], v[20:21]
	v_fmac_f64_e32 v[10:11], v[78:79], v[124:125]
	s_clause 0x1
	global_load_b128 v[78:81], v134, s[4:5] scale_offset
	global_load_b128 v[122:125], v134, s[4:5] offset:16 scale_offset
	s_wait_loadcnt 0x1
	v_fmac_f64_e32 v[126:127], v[106:107], v[78:79]
	v_fmac_f64_e32 v[0:1], v[108:109], v[78:79]
	;; [unrolled: 1-line block ×8, first 2 shown]
	v_fma_f64 v[126:127], -v[108:109], v[80:81], v[126:127]
	v_fmac_f64_e32 v[0:1], v[106:107], v[80:81]
	v_fma_f64 v[128:129], -v[104:105], v[80:81], v[128:129]
	v_fmac_f64_e32 v[12:13], v[102:103], v[80:81]
	;; [unrolled: 2-line block ×4, first 2 shown]
	s_clause 0x4
	global_load_b128 v[106:109], v[18:19], off offset:32832
	global_load_b128 v[98:101], v[18:19], off offset:32928
	;; [unrolled: 1-line block ×5, first 2 shown]
	s_wait_loadcnt 0x5
	v_fmac_f64_e32 v[126:127], v[38:39], v[122:123]
	v_fmac_f64_e32 v[0:1], v[40:41], v[122:123]
	v_fmac_f64_e32 v[128:129], v[42:43], v[122:123]
	v_fmac_f64_e32 v[12:13], v[44:45], v[122:123]
	v_fmac_f64_e32 v[130:131], v[114:115], v[122:123]
	v_fmac_f64_e32 v[14:15], v[116:117], v[122:123]
	v_fmac_f64_e32 v[20:21], v[110:111], v[122:123]
	v_fmac_f64_e32 v[10:11], v[112:113], v[122:123]
	v_fma_f64 v[126:127], -v[40:41], v[124:125], v[126:127]
	v_fmac_f64_e32 v[0:1], v[38:39], v[124:125]
	global_load_b128 v[36:39], v[18:19], off offset:33008
	v_fma_f64 v[44:45], -v[44:45], v[124:125], v[128:129]
	v_fmac_f64_e32 v[12:13], v[42:43], v[124:125]
	global_load_b128 v[40:43], v[18:19], off offset:32992
	;; [unrolled: 3-line block ×3, first 2 shown]
	v_fma_f64 v[20:21], -v[112:113], v[124:125], v[20:21]
	v_fmac_f64_e32 v[10:11], v[110:111], v[124:125]
	s_clause 0x1
	global_load_b128 v[110:113], v134, s[4:5] offset:32 scale_offset
	global_load_b128 v[122:125], v134, s[4:5] offset:48 scale_offset
	s_wait_loadcnt 0x1
	v_fmac_f64_e32 v[128:129], v[28:29], v[110:111]
	v_fmac_f64_e32 v[126:127], v[58:59], v[110:111]
	;; [unrolled: 1-line block ×8, first 2 shown]
	v_fma_f64 v[128:129], -v[30:31], v[112:113], v[128:129]
	v_fma_f64 v[126:127], -v[60:61], v[112:113], v[126:127]
	v_fmac_f64_e32 v[0:1], v[58:59], v[112:113]
	v_fma_f64 v[44:45], -v[34:35], v[112:113], v[44:45]
	v_fmac_f64_e32 v[12:13], v[32:33], v[112:113]
	v_fmac_f64_e32 v[14:15], v[28:29], v[112:113]
	v_fma_f64 v[24:25], -v[24:25], v[112:113], v[20:21]
	v_fmac_f64_e32 v[10:11], v[22:23], v[112:113]
	s_clause 0x4
	global_load_b128 v[58:61], v[18:19], off offset:32960
	global_load_b128 v[28:31], v[18:19], off offset:49184
	global_load_b128 v[32:35], v[18:19], off offset:49200
	global_load_b128 v[20:23], v[18:19], off offset:49168
	global_load_b128 v[110:113], v[18:19], off offset:49152
	s_wait_loadcnt 0x5
	v_fmac_f64_e32 v[128:129], v[50:51], v[122:123]
	v_fmac_f64_e32 v[126:127], v[74:75], v[122:123]
	v_fmac_f64_e32 v[0:1], v[76:77], v[122:123]
	v_fmac_f64_e32 v[44:45], v[46:47], v[122:123]
	v_fmac_f64_e32 v[12:13], v[48:49], v[122:123]
	v_fmac_f64_e32 v[14:15], v[52:53], v[122:123]
	v_fmac_f64_e32 v[24:25], v[54:55], v[122:123]
	v_fmac_f64_e32 v[10:11], v[56:57], v[122:123]
	v_fma_f64 v[128:129], -v[52:53], v[124:125], v[128:129]
	v_subrev_nc_u32_e32 v52, s12, v132
	v_fma_f64 v[126:127], -v[76:77], v[124:125], v[126:127]
	v_fmac_f64_e32 v[0:1], v[74:75], v[124:125]
	global_load_b128 v[74:77], v[18:19], off offset:49264
	v_fma_f64 v[130:131], -v[48:49], v[124:125], v[44:45]
	v_lshlrev_b32_e32 v132, 2, v52
	v_fmac_f64_e32 v[12:13], v[46:47], v[124:125]
	global_load_b128 v[44:47], v[18:19], off offset:49248
	v_fmac_f64_e32 v[14:15], v[50:51], v[124:125]
	global_load_b128 v[48:51], v[18:19], off offset:49232
	v_fma_f64 v[24:25], -v[56:57], v[124:125], v[24:25]
	v_fmac_f64_e32 v[10:11], v[54:55], v[124:125]
	s_clause 0x1
	global_load_b128 v[52:55], v132, s[4:5] scale_offset
	global_load_b128 v[122:125], v132, s[4:5] offset:16 scale_offset
	s_wait_loadcnt 0x1
	v_fmac_f64_e32 v[126:127], v[118:119], v[52:53]
	v_fmac_f64_e32 v[128:129], v[66:67], v[52:53]
	;; [unrolled: 1-line block ×8, first 2 shown]
	v_fma_f64 v[56:57], -v[120:121], v[54:55], v[126:127]
	v_fma_f64 v[128:129], -v[68:69], v[54:55], v[128:129]
	v_fmac_f64_e32 v[14:15], v[66:67], v[54:55]
	global_load_b128 v[66:69], v132, s[4:5] offset:32 scale_offset
	v_fmac_f64_e32 v[0:1], v[118:119], v[54:55]
	global_load_b128 v[118:121], v[18:19], off offset:49216
	v_fma_f64 v[126:127], -v[64:65], v[54:55], v[130:131]
	v_fmac_f64_e32 v[12:13], v[62:63], v[54:55]
	global_load_b128 v[62:65], v[18:19], off offset:49328
	v_fma_f64 v[24:25], -v[72:73], v[54:55], v[24:25]
	v_fmac_f64_e32 v[10:11], v[70:71], v[54:55]
	global_load_b128 v[52:55], v[18:19], off offset:49312
	global_load_b128 v[70:73], v132, s[4:5] offset:48 scale_offset
	v_subrev_nc_u32_e32 v130, s12, v133
	s_delay_alu instid0(VALU_DEP_1)
	v_lshlrev_b32_e32 v130, 2, v130
	s_wait_loadcnt 0x5
	v_fmac_f64_e32 v[56:57], v[106:107], v[122:123]
	v_fmac_f64_e32 v[128:129], v[86:87], v[122:123]
	;; [unrolled: 1-line block ×8, first 2 shown]
	v_fma_f64 v[56:57], -v[108:109], v[124:125], v[56:57]
	v_fma_f64 v[128:129], -v[88:89], v[124:125], v[128:129]
	v_fmac_f64_e32 v[14:15], v[86:87], v[124:125]
	global_load_b128 v[86:89], v[18:19], off offset:49280
	v_fmac_f64_e32 v[0:1], v[106:107], v[124:125]
	global_load_b128 v[106:109], v[18:19], off offset:49296
	v_fma_f64 v[126:127], -v[84:85], v[124:125], v[126:127]
	v_fmac_f64_e32 v[12:13], v[82:83], v[124:125]
	global_load_b128 v[82:85], v130, s[4:5] scale_offset
	v_fma_f64 v[24:25], -v[92:93], v[124:125], v[24:25]
	v_fmac_f64_e32 v[10:11], v[90:91], v[124:125]
	global_load_b128 v[90:93], v[18:19], off offset:49360
	global_load_b128 v[122:125], v130, s[4:5] offset:16 scale_offset
	s_wait_loadcnt 0x9
	v_fmac_f64_e32 v[56:57], v[94:95], v[66:67]
	v_fmac_f64_e32 v[0:1], v[96:97], v[66:67]
	;; [unrolled: 1-line block ×8, first 2 shown]
	v_fma_f64 v[56:57], -v[96:97], v[68:69], v[56:57]
	v_fmac_f64_e32 v[0:1], v[94:95], v[68:69]
	global_load_b128 v[94:97], v130, s[4:5] offset:48 scale_offset
	v_fma_f64 v[126:127], -v[80:81], v[68:69], v[126:127]
	v_fmac_f64_e32 v[12:13], v[78:79], v[68:69]
	global_load_b128 v[78:81], v130, s[4:5] offset:32 scale_offset
	v_fma_f64 v[128:129], -v[100:101], v[68:69], v[128:129]
	v_fmac_f64_e32 v[14:15], v[98:99], v[68:69]
	global_load_b128 v[98:101], v[18:19], off offset:49344
	v_fma_f64 v[24:25], -v[104:105], v[68:69], v[24:25]
	v_fmac_f64_e32 v[10:11], v[102:103], v[68:69]
	s_clause 0x1
	global_load_b128 v[66:69], v[18:19], off offset:49376
	global_load_b128 v[102:105], v[18:19], off offset:49392
	s_wait_xcnt 0x0
	v_add_nc_u64_e32 v[18:19], 0x10000, v[18:19]
	s_wait_loadcnt 0xa
	v_fmac_f64_e32 v[56:57], v[58:59], v[70:71]
	v_fmac_f64_e32 v[0:1], v[60:61], v[70:71]
	v_fmac_f64_e32 v[126:127], v[114:115], v[70:71]
	v_fmac_f64_e32 v[12:13], v[116:117], v[70:71]
	v_fmac_f64_e32 v[128:129], v[40:41], v[70:71]
	v_fmac_f64_e32 v[14:15], v[42:43], v[70:71]
	v_fmac_f64_e32 v[24:25], v[36:37], v[70:71]
	v_fmac_f64_e32 v[10:11], v[38:39], v[70:71]
	v_fma_f64 v[56:57], -v[60:61], v[72:73], v[56:57]
	v_fmac_f64_e32 v[0:1], v[58:59], v[72:73]
	v_fma_f64 v[58:59], -v[116:117], v[72:73], v[126:127]
	v_fmac_f64_e32 v[12:13], v[114:115], v[72:73]
	v_fma_f64 v[42:43], -v[42:43], v[72:73], v[128:129]
	v_fmac_f64_e32 v[14:15], v[40:41], v[72:73]
	v_fma_f64 v[24:25], -v[38:39], v[72:73], v[24:25]
	v_fmac_f64_e32 v[10:11], v[36:37], v[72:73]
	s_wait_loadcnt 0x7
	v_fmac_f64_e32 v[56:57], v[110:111], v[82:83]
	v_fmac_f64_e32 v[0:1], v[112:113], v[82:83]
	v_fmac_f64_e32 v[58:59], v[20:21], v[82:83]
	v_fmac_f64_e32 v[12:13], v[22:23], v[82:83]
	v_fmac_f64_e32 v[42:43], v[28:29], v[82:83]
	v_fmac_f64_e32 v[14:15], v[30:31], v[82:83]
	v_fmac_f64_e32 v[24:25], v[32:33], v[82:83]
	v_fmac_f64_e32 v[10:11], v[34:35], v[82:83]
	v_fma_f64 v[36:37], -v[112:113], v[84:85], v[56:57]
	v_fmac_f64_e32 v[0:1], v[110:111], v[84:85]
	v_fma_f64 v[22:23], -v[22:23], v[84:85], v[58:59]
	v_fmac_f64_e32 v[12:13], v[20:21], v[84:85]
	v_fma_f64 v[20:21], -v[30:31], v[84:85], v[42:43]
	v_fmac_f64_e32 v[14:15], v[28:29], v[84:85]
	v_fma_f64 v[24:25], -v[34:35], v[84:85], v[24:25]
	v_fmac_f64_e32 v[10:11], v[32:33], v[84:85]
	;; [unrolled: 17-line block ×4, first 2 shown]
	s_wait_loadcnt 0x2
	v_fmac_f64_e32 v[28:29], v[98:99], v[94:95]
	v_fmac_f64_e32 v[0:1], v[100:101], v[94:95]
	;; [unrolled: 1-line block ×4, first 2 shown]
	s_wait_loadcnt 0x1
	v_fmac_f64_e32 v[20:21], v[66:67], v[94:95]
	v_fmac_f64_e32 v[14:15], v[68:69], v[94:95]
	s_wait_loadcnt 0x0
	v_fmac_f64_e32 v[30:31], v[102:103], v[94:95]
	v_fmac_f64_e32 v[10:11], v[104:105], v[94:95]
	v_fma_f64 v[28:29], -v[100:101], v[96:97], v[28:29]
	v_fmac_f64_e32 v[0:1], v[98:99], v[96:97]
	v_fma_f64 v[24:25], -v[92:93], v[96:97], v[22:23]
	v_fmac_f64_e32 v[12:13], v[90:91], v[96:97]
	v_fma_f64 v[22:23], -v[68:69], v[96:97], v[20:21]
	v_fmac_f64_e32 v[14:15], v[66:67], v[96:97]
	v_fma_f64 v[20:21], -v[104:105], v[96:97], v[30:31]
	v_fmac_f64_e32 v[10:11], v[102:103], v[96:97]
	s_and_not1_b32 exec_lo, exec_lo, s6
	s_cbranch_execnz .LBB19_31
; %bb.32:
	s_or_b32 exec_lo, exec_lo, s6
.LBB19_33:
	s_delay_alu instid0(SALU_CYCLE_1)
	s_or_b32 exec_lo, exec_lo, s2
.LBB19_34:
	s_delay_alu instid0(SALU_CYCLE_1)
	s_or_b32 exec_lo, exec_lo, s3
.LBB19_35:
	v_mbcnt_lo_u32_b32 v44, -1, 0
	s_delay_alu instid0(VALU_DEP_1) | instskip(NEXT) | instid1(VALU_DEP_1)
	v_or_b32_e32 v16, 32, v44
	v_cmp_gt_i32_e32 vcc_lo, 32, v16
	v_cndmask_b32_e32 v16, v44, v16, vcc_lo
	s_delay_alu instid0(VALU_DEP_1)
	v_lshlrev_b32_e32 v41, 2, v16
	ds_bpermute_b32 v18, v41, v0
	ds_bpermute_b32 v19, v41, v1
	;; [unrolled: 1-line block ×4, first 2 shown]
	s_wait_dscnt 0x2
	v_add_f64_e32 v[0:1], v[0:1], v[18:19]
	s_wait_dscnt 0x0
	v_add_f64_e32 v[18:19], v[24:25], v[30:31]
	ds_bpermute_b32 v34, v41, v22
	ds_bpermute_b32 v35, v41, v23
	;; [unrolled: 1-line block ×12, first 2 shown]
	v_xor_b32_e32 v24, 16, v44
	s_delay_alu instid0(VALU_DEP_1)
	v_cmp_gt_i32_e32 vcc_lo, 32, v24
	s_wait_dscnt 0xa
	v_dual_add_f64 v[22:23], v[22:23], v[34:35] :: v_dual_cndmask_b32 v24, v44, v24, vcc_lo
	s_wait_dscnt 0x8
	v_add_f64_e32 v[20:21], v[20:21], v[38:39]
	s_wait_dscnt 0x6
	v_add_f64_e32 v[16:17], v[28:29], v[16:17]
	;; [unrolled: 2-line block ×5, first 2 shown]
	v_lshlrev_b32_e32 v41, 2, v24
	ds_bpermute_b32 v34, v41, v22
	ds_bpermute_b32 v35, v41, v23
	s_wait_dscnt 0x0
	v_add_f64_e32 v[22:23], v[22:23], v[34:35]
	ds_bpermute_b32 v24, v41, v16
	ds_bpermute_b32 v25, v41, v17
	;; [unrolled: 1-line block ×14, first 2 shown]
	s_wait_dscnt 0xc
	v_add_f64_e32 v[16:17], v[16:17], v[24:25]
	s_wait_dscnt 0xa
	v_dual_add_f64 v[20:21], v[20:21], v[38:39] :: v_dual_bitop2_b32 v24, 8, v44 bitop3:0x14
	s_wait_dscnt 0x8
	v_add_f64_e32 v[18:19], v[18:19], v[30:31]
	s_delay_alu instid0(VALU_DEP_2)
	v_cmp_gt_i32_e32 vcc_lo, 32, v24
	s_wait_dscnt 0x6
	v_add_f64_e32 v[0:1], v[0:1], v[28:29]
	s_wait_dscnt 0x4
	v_add_f64_e32 v[12:13], v[12:13], v[32:33]
	;; [unrolled: 2-line block ×3, first 2 shown]
	v_cndmask_b32_e32 v24, v44, v24, vcc_lo
	s_wait_dscnt 0x0
	v_add_f64_e32 v[10:11], v[10:11], v[40:41]
	s_delay_alu instid0(VALU_DEP_2)
	v_lshlrev_b32_e32 v41, 2, v24
	ds_bpermute_b32 v34, v41, v22
	ds_bpermute_b32 v35, v41, v23
	s_wait_dscnt 0x0
	v_add_f64_e32 v[22:23], v[22:23], v[34:35]
	ds_bpermute_b32 v30, v41, v18
	ds_bpermute_b32 v31, v41, v19
	;; [unrolled: 1-line block ×14, first 2 shown]
	s_wait_dscnt 0xc
	v_add_f64_e32 v[18:19], v[18:19], v[30:31]
	s_wait_dscnt 0xa
	v_add_f64_e32 v[16:17], v[16:17], v[24:25]
	s_wait_dscnt 0x8
	v_dual_add_f64 v[20:21], v[20:21], v[38:39] :: v_dual_bitop2_b32 v24, 4, v44 bitop3:0x14
	s_wait_dscnt 0x6
	v_add_f64_e32 v[0:1], v[0:1], v[28:29]
	s_delay_alu instid0(VALU_DEP_2)
	v_cmp_gt_i32_e32 vcc_lo, 32, v24
	s_wait_dscnt 0x4
	v_add_f64_e32 v[14:15], v[14:15], v[36:37]
	s_wait_dscnt 0x2
	v_add_f64_e32 v[12:13], v[12:13], v[32:33]
	;; [unrolled: 2-line block ×3, first 2 shown]
	v_cndmask_b32_e32 v24, v44, v24, vcc_lo
	s_delay_alu instid0(VALU_DEP_1)
	v_lshlrev_b32_e32 v41, 2, v24
	ds_bpermute_b32 v34, v41, v22
	ds_bpermute_b32 v35, v41, v23
	;; [unrolled: 1-line block ×4, first 2 shown]
	s_wait_dscnt 0x0
	v_add_f64_e32 v[18:19], v[18:19], v[30:31]
	v_add_f64_e32 v[30:31], v[22:23], v[34:35]
	ds_bpermute_b32 v24, v41, v16
	ds_bpermute_b32 v25, v41, v17
	ds_bpermute_b32 v28, v41, v0
	ds_bpermute_b32 v29, v41, v1
	ds_bpermute_b32 v36, v41, v14
	ds_bpermute_b32 v37, v41, v15
	ds_bpermute_b32 v38, v41, v20
	ds_bpermute_b32 v39, v41, v21
	ds_bpermute_b32 v32, v41, v12
	ds_bpermute_b32 v33, v41, v13
	ds_bpermute_b32 v40, v41, v10
	ds_bpermute_b32 v41, v41, v11
	s_wait_dscnt 0xa
	v_add_f64_e32 v[16:17], v[16:17], v[24:25]
	s_wait_dscnt 0x8
	v_add_f64_e32 v[24:25], v[0:1], v[28:29]
	v_xor_b32_e32 v0, 2, v44
	s_wait_dscnt 0x6
	v_add_f64_e32 v[14:15], v[14:15], v[36:37]
	s_wait_dscnt 0x4
	v_add_f64_e32 v[20:21], v[20:21], v[38:39]
	;; [unrolled: 2-line block ×3, first 2 shown]
	v_cmp_gt_i32_e32 vcc_lo, 32, v0
	s_wait_dscnt 0x0
	v_add_f64_e32 v[32:33], v[10:11], v[40:41]
	v_cndmask_b32_e32 v0, v44, v0, vcc_lo
	s_delay_alu instid0(VALU_DEP_1)
	v_lshlrev_b32_e32 v28, 2, v0
	ds_bpermute_b32 v22, v28, v18
	ds_bpermute_b32 v23, v28, v19
	ds_bpermute_b32 v36, v28, v30
	ds_bpermute_b32 v37, v28, v31
	ds_bpermute_b32 v0, v28, v16
	ds_bpermute_b32 v1, v28, v17
	ds_bpermute_b32 v10, v28, v24
	ds_bpermute_b32 v11, v28, v25
	ds_bpermute_b32 v38, v28, v14
	ds_bpermute_b32 v39, v28, v15
	ds_bpermute_b32 v40, v28, v20
	ds_bpermute_b32 v41, v28, v21
	ds_bpermute_b32 v34, v28, v12
	ds_bpermute_b32 v35, v28, v13
	ds_bpermute_b32 v42, v28, v32
	ds_bpermute_b32 v43, v28, v33
	s_wait_dscnt 0xa
	v_add_f64_e32 v[0:1], v[16:17], v[0:1]
	s_wait_dscnt 0x8
	v_add_f64_e32 v[28:29], v[24:25], v[10:11]
	v_add_f64_e32 v[10:11], v[18:19], v[22:23]
	s_wait_dscnt 0x6
	v_add_f64_e32 v[18:19], v[14:15], v[38:39]
	s_wait_dscnt 0x4
	;; [unrolled: 2-line block ×3, first 2 shown]
	v_dual_add_f64 v[22:23], v[12:13], v[34:35] :: v_dual_bitop2_b32 v20, 1, v44 bitop3:0x14
	v_add_f64_e32 v[12:13], v[30:31], v[36:37]
	s_delay_alu instid0(VALU_DEP_2) | instskip(SKIP_4) | instid1(VALU_DEP_3)
	v_cmp_gt_i32_e32 vcc_lo, 32, v20
	v_cndmask_b32_e32 v20, v44, v20, vcc_lo
	s_wait_dscnt 0x0
	v_add_f64_e32 v[16:17], v[32:33], v[42:43]
	v_cmp_eq_u32_e32 vcc_lo, 63, v27
	v_lshlrev_b32_e32 v35, 2, v20
	ds_bpermute_b32 v20, v35, v0
	ds_bpermute_b32 v21, v35, v1
	;; [unrolled: 1-line block ×16, first 2 shown]
	s_and_b32 exec_lo, exec_lo, vcc_lo
	s_cbranch_execz .LBB19_8
; %bb.36:
	s_wait_dscnt 0xc
	v_add_f64_e32 v[28:29], v[28:29], v[40:41]
	s_wait_dscnt 0x6
	v_add_f64_e32 v[38:39], v[22:23], v[38:39]
	v_add_f64_e32 v[36:37], v[18:19], v[36:37]
	s_wait_dscnt 0x0
	v_add_f64_e32 v[34:35], v[16:17], v[34:35]
	v_add_f64_e32 v[0:1], v[0:1], v[20:21]
	;; [unrolled: 1-line block ×5, first 2 shown]
	v_cmp_eq_f64_e32 vcc_lo, 0, v[2:3]
	v_cmp_eq_f64_e64 s2, 0, v[4:5]
	s_load_b64 s[0:1], s[0:1], 0x60
	v_mul_f64_e64 v[22:23], v[28:29], -v[8:9]
	v_mul_f64_e32 v[24:25], v[6:7], v[28:29]
	v_mul_f64_e64 v[18:19], v[38:39], -v[8:9]
	v_mul_f64_e32 v[20:21], v[6:7], v[38:39]
	;; [unrolled: 2-line block ×4, first 2 shown]
	s_and_b32 s2, vcc_lo, s2
	v_fmac_f64_e32 v[22:23], v[6:7], v[0:1]
	v_fmac_f64_e32 v[24:25], v[8:9], v[0:1]
	;; [unrolled: 1-line block ×8, first 2 shown]
	v_lshlrev_b32_e32 v0, 2, v26
	s_and_saveexec_b32 s3, s2
	s_delay_alu instid0(SALU_CYCLE_1)
	s_xor_b32 s2, exec_lo, s3
	s_cbranch_execz .LBB19_38
; %bb.37:
	s_wait_kmcnt 0x0
	s_clause 0x3
	global_store_b128 v0, v[22:25], s[0:1] scale_offset
	global_store_b128 v0, v[18:21], s[0:1] offset:16 scale_offset
	global_store_b128 v0, v[14:17], s[0:1] offset:32 scale_offset
	;; [unrolled: 1-line block ×3, first 2 shown]
                                        ; implicit-def: $vgpr4_vgpr5
                                        ; implicit-def: $vgpr22_vgpr23
                                        ; implicit-def: $vgpr0
                                        ; implicit-def: $vgpr18_vgpr19
                                        ; implicit-def: $vgpr14_vgpr15
                                        ; implicit-def: $vgpr10_vgpr11
.LBB19_38:
	s_wait_xcnt 0x0
	s_and_not1_saveexec_b32 s2, s2
	s_cbranch_execz .LBB19_8
; %bb.39:
	s_wait_kmcnt 0x0
	s_clause 0x3
	global_load_b128 v[6:9], v0, s[0:1] scale_offset
	global_load_b128 v[26:29], v0, s[0:1] offset:16 scale_offset
	global_load_b128 v[30:33], v0, s[0:1] offset:32 scale_offset
	global_load_b128 v[34:37], v0, s[0:1] offset:48 scale_offset
	s_wait_loadcnt 0x3
	v_fmac_f64_e32 v[22:23], v[2:3], v[6:7]
	v_fmac_f64_e32 v[24:25], v[4:5], v[6:7]
	s_wait_loadcnt 0x2
	v_fmac_f64_e32 v[18:19], v[2:3], v[26:27]
	v_fmac_f64_e32 v[20:21], v[4:5], v[26:27]
	;; [unrolled: 3-line block ×4, first 2 shown]
	v_fma_f64 v[22:23], -v[4:5], v[8:9], v[22:23]
	v_fmac_f64_e32 v[24:25], v[2:3], v[8:9]
	v_fma_f64 v[18:19], -v[4:5], v[28:29], v[18:19]
	v_fmac_f64_e32 v[20:21], v[2:3], v[28:29]
	v_fma_f64 v[14:15], -v[4:5], v[32:33], v[14:15]
	v_fmac_f64_e32 v[16:17], v[2:3], v[32:33]
	v_fma_f64 v[10:11], -v[4:5], v[36:37], v[10:11]
	v_fmac_f64_e32 v[12:13], v[2:3], v[36:37]
	s_clause 0x3
	global_store_b128 v0, v[22:25], s[0:1] scale_offset
	global_store_b128 v0, v[18:21], s[0:1] offset:16 scale_offset
	global_store_b128 v0, v[14:17], s[0:1] offset:32 scale_offset
	global_store_b128 v0, v[10:13], s[0:1] offset:48 scale_offset
	s_sendmsg sendmsg(MSG_DEALLOC_VGPRS)
	s_endpgm
	.section	.rodata,"a",@progbits
	.p2align	6, 0x0
	.amdhsa_kernel _ZN9rocsparseL18bsrxmvn_4x4_kernelILj128ELj64E21rocsparse_complex_numIdEiiS2_S2_S2_EEvT3_20rocsparse_direction_NS_24const_host_device_scalarIT1_EES3_PKS3_PKT2_SC_S9_PKT4_PKT5_S7_PT6_21rocsparse_index_base_b
		.amdhsa_group_segment_fixed_size 0
		.amdhsa_private_segment_fixed_size 0
		.amdhsa_kernarg_size 112
		.amdhsa_user_sgpr_count 2
		.amdhsa_user_sgpr_dispatch_ptr 0
		.amdhsa_user_sgpr_queue_ptr 0
		.amdhsa_user_sgpr_kernarg_segment_ptr 1
		.amdhsa_user_sgpr_dispatch_id 0
		.amdhsa_user_sgpr_kernarg_preload_length 0
		.amdhsa_user_sgpr_kernarg_preload_offset 0
		.amdhsa_user_sgpr_private_segment_size 0
		.amdhsa_wavefront_size32 1
		.amdhsa_uses_dynamic_stack 0
		.amdhsa_enable_private_segment 0
		.amdhsa_system_sgpr_workgroup_id_x 1
		.amdhsa_system_sgpr_workgroup_id_y 0
		.amdhsa_system_sgpr_workgroup_id_z 0
		.amdhsa_system_sgpr_workgroup_info 0
		.amdhsa_system_vgpr_workitem_id 0
		.amdhsa_next_free_vgpr 158
		.amdhsa_next_free_sgpr 14
		.amdhsa_named_barrier_count 0
		.amdhsa_reserve_vcc 1
		.amdhsa_float_round_mode_32 0
		.amdhsa_float_round_mode_16_64 0
		.amdhsa_float_denorm_mode_32 3
		.amdhsa_float_denorm_mode_16_64 3
		.amdhsa_fp16_overflow 0
		.amdhsa_memory_ordered 1
		.amdhsa_forward_progress 1
		.amdhsa_inst_pref_size 72
		.amdhsa_round_robin_scheduling 0
		.amdhsa_exception_fp_ieee_invalid_op 0
		.amdhsa_exception_fp_denorm_src 0
		.amdhsa_exception_fp_ieee_div_zero 0
		.amdhsa_exception_fp_ieee_overflow 0
		.amdhsa_exception_fp_ieee_underflow 0
		.amdhsa_exception_fp_ieee_inexact 0
		.amdhsa_exception_int_div_zero 0
	.end_amdhsa_kernel
	.section	.text._ZN9rocsparseL18bsrxmvn_4x4_kernelILj128ELj64E21rocsparse_complex_numIdEiiS2_S2_S2_EEvT3_20rocsparse_direction_NS_24const_host_device_scalarIT1_EES3_PKS3_PKT2_SC_S9_PKT4_PKT5_S7_PT6_21rocsparse_index_base_b,"axG",@progbits,_ZN9rocsparseL18bsrxmvn_4x4_kernelILj128ELj64E21rocsparse_complex_numIdEiiS2_S2_S2_EEvT3_20rocsparse_direction_NS_24const_host_device_scalarIT1_EES3_PKS3_PKT2_SC_S9_PKT4_PKT5_S7_PT6_21rocsparse_index_base_b,comdat
.Lfunc_end19:
	.size	_ZN9rocsparseL18bsrxmvn_4x4_kernelILj128ELj64E21rocsparse_complex_numIdEiiS2_S2_S2_EEvT3_20rocsparse_direction_NS_24const_host_device_scalarIT1_EES3_PKS3_PKT2_SC_S9_PKT4_PKT5_S7_PT6_21rocsparse_index_base_b, .Lfunc_end19-_ZN9rocsparseL18bsrxmvn_4x4_kernelILj128ELj64E21rocsparse_complex_numIdEiiS2_S2_S2_EEvT3_20rocsparse_direction_NS_24const_host_device_scalarIT1_EES3_PKS3_PKT2_SC_S9_PKT4_PKT5_S7_PT6_21rocsparse_index_base_b
                                        ; -- End function
	.set _ZN9rocsparseL18bsrxmvn_4x4_kernelILj128ELj64E21rocsparse_complex_numIdEiiS2_S2_S2_EEvT3_20rocsparse_direction_NS_24const_host_device_scalarIT1_EES3_PKS3_PKT2_SC_S9_PKT4_PKT5_S7_PT6_21rocsparse_index_base_b.num_vgpr, 158
	.set _ZN9rocsparseL18bsrxmvn_4x4_kernelILj128ELj64E21rocsparse_complex_numIdEiiS2_S2_S2_EEvT3_20rocsparse_direction_NS_24const_host_device_scalarIT1_EES3_PKS3_PKT2_SC_S9_PKT4_PKT5_S7_PT6_21rocsparse_index_base_b.num_agpr, 0
	.set _ZN9rocsparseL18bsrxmvn_4x4_kernelILj128ELj64E21rocsparse_complex_numIdEiiS2_S2_S2_EEvT3_20rocsparse_direction_NS_24const_host_device_scalarIT1_EES3_PKS3_PKT2_SC_S9_PKT4_PKT5_S7_PT6_21rocsparse_index_base_b.numbered_sgpr, 14
	.set _ZN9rocsparseL18bsrxmvn_4x4_kernelILj128ELj64E21rocsparse_complex_numIdEiiS2_S2_S2_EEvT3_20rocsparse_direction_NS_24const_host_device_scalarIT1_EES3_PKS3_PKT2_SC_S9_PKT4_PKT5_S7_PT6_21rocsparse_index_base_b.num_named_barrier, 0
	.set _ZN9rocsparseL18bsrxmvn_4x4_kernelILj128ELj64E21rocsparse_complex_numIdEiiS2_S2_S2_EEvT3_20rocsparse_direction_NS_24const_host_device_scalarIT1_EES3_PKS3_PKT2_SC_S9_PKT4_PKT5_S7_PT6_21rocsparse_index_base_b.private_seg_size, 0
	.set _ZN9rocsparseL18bsrxmvn_4x4_kernelILj128ELj64E21rocsparse_complex_numIdEiiS2_S2_S2_EEvT3_20rocsparse_direction_NS_24const_host_device_scalarIT1_EES3_PKS3_PKT2_SC_S9_PKT4_PKT5_S7_PT6_21rocsparse_index_base_b.uses_vcc, 1
	.set _ZN9rocsparseL18bsrxmvn_4x4_kernelILj128ELj64E21rocsparse_complex_numIdEiiS2_S2_S2_EEvT3_20rocsparse_direction_NS_24const_host_device_scalarIT1_EES3_PKS3_PKT2_SC_S9_PKT4_PKT5_S7_PT6_21rocsparse_index_base_b.uses_flat_scratch, 0
	.set _ZN9rocsparseL18bsrxmvn_4x4_kernelILj128ELj64E21rocsparse_complex_numIdEiiS2_S2_S2_EEvT3_20rocsparse_direction_NS_24const_host_device_scalarIT1_EES3_PKS3_PKT2_SC_S9_PKT4_PKT5_S7_PT6_21rocsparse_index_base_b.has_dyn_sized_stack, 0
	.set _ZN9rocsparseL18bsrxmvn_4x4_kernelILj128ELj64E21rocsparse_complex_numIdEiiS2_S2_S2_EEvT3_20rocsparse_direction_NS_24const_host_device_scalarIT1_EES3_PKS3_PKT2_SC_S9_PKT4_PKT5_S7_PT6_21rocsparse_index_base_b.has_recursion, 0
	.set _ZN9rocsparseL18bsrxmvn_4x4_kernelILj128ELj64E21rocsparse_complex_numIdEiiS2_S2_S2_EEvT3_20rocsparse_direction_NS_24const_host_device_scalarIT1_EES3_PKS3_PKT2_SC_S9_PKT4_PKT5_S7_PT6_21rocsparse_index_base_b.has_indirect_call, 0
	.section	.AMDGPU.csdata,"",@progbits
; Kernel info:
; codeLenInByte = 9116
; TotalNumSgprs: 16
; NumVgprs: 158
; ScratchSize: 0
; MemoryBound: 1
; FloatMode: 240
; IeeeMode: 1
; LDSByteSize: 0 bytes/workgroup (compile time only)
; SGPRBlocks: 0
; VGPRBlocks: 9
; NumSGPRsForWavesPerEU: 16
; NumVGPRsForWavesPerEU: 158
; NamedBarCnt: 0
; Occupancy: 6
; WaveLimiterHint : 1
; COMPUTE_PGM_RSRC2:SCRATCH_EN: 0
; COMPUTE_PGM_RSRC2:USER_SGPR: 2
; COMPUTE_PGM_RSRC2:TRAP_HANDLER: 0
; COMPUTE_PGM_RSRC2:TGID_X_EN: 1
; COMPUTE_PGM_RSRC2:TGID_Y_EN: 0
; COMPUTE_PGM_RSRC2:TGID_Z_EN: 0
; COMPUTE_PGM_RSRC2:TIDIG_COMP_CNT: 0
	.section	.text._ZN9rocsparseL18bsrxmvn_4x4_kernelILj128ELj4EflifffEEvT3_20rocsparse_direction_NS_24const_host_device_scalarIT1_EES1_PKS1_PKT2_SA_S7_PKT4_PKT5_S5_PT6_21rocsparse_index_base_b,"axG",@progbits,_ZN9rocsparseL18bsrxmvn_4x4_kernelILj128ELj4EflifffEEvT3_20rocsparse_direction_NS_24const_host_device_scalarIT1_EES1_PKS1_PKT2_SA_S7_PKT4_PKT5_S5_PT6_21rocsparse_index_base_b,comdat
	.globl	_ZN9rocsparseL18bsrxmvn_4x4_kernelILj128ELj4EflifffEEvT3_20rocsparse_direction_NS_24const_host_device_scalarIT1_EES1_PKS1_PKT2_SA_S7_PKT4_PKT5_S5_PT6_21rocsparse_index_base_b ; -- Begin function _ZN9rocsparseL18bsrxmvn_4x4_kernelILj128ELj4EflifffEEvT3_20rocsparse_direction_NS_24const_host_device_scalarIT1_EES1_PKS1_PKT2_SA_S7_PKT4_PKT5_S5_PT6_21rocsparse_index_base_b
	.p2align	8
	.type	_ZN9rocsparseL18bsrxmvn_4x4_kernelILj128ELj4EflifffEEvT3_20rocsparse_direction_NS_24const_host_device_scalarIT1_EES1_PKS1_PKT2_SA_S7_PKT4_PKT5_S5_PT6_21rocsparse_index_base_b,@function
_ZN9rocsparseL18bsrxmvn_4x4_kernelILj128ELj4EflifffEEvT3_20rocsparse_direction_NS_24const_host_device_scalarIT1_EES1_PKS1_PKT2_SA_S7_PKT4_PKT5_S5_PT6_21rocsparse_index_base_b: ; @_ZN9rocsparseL18bsrxmvn_4x4_kernelILj128ELj4EflifffEEvT3_20rocsparse_direction_NS_24const_host_device_scalarIT1_EES1_PKS1_PKT2_SA_S7_PKT4_PKT5_S5_PT6_21rocsparse_index_base_b
; %bb.0:
	s_clause 0x2
	s_load_b64 s[16:17], s[0:1], 0x58
	s_load_b64 s[12:13], s[0:1], 0x8
	s_load_b64 s[14:15], s[0:1], 0x48
	s_wait_kmcnt 0x0
	s_bitcmp1_b32 s17, 0
	s_cselect_b32 s2, -1, 0
	s_delay_alu instid0(SALU_CYCLE_1)
	s_and_b32 vcc_lo, exec_lo, s2
	s_xor_b32 s2, s2, -1
	s_cbranch_vccnz .LBB20_2
; %bb.1:
	s_load_b32 s12, s[12:13], 0x0
.LBB20_2:
	s_and_not1_b32 vcc_lo, exec_lo, s2
	s_cbranch_vccnz .LBB20_4
; %bb.3:
	s_load_b32 s14, s[14:15], 0x0
.LBB20_4:
	s_wait_kmcnt 0x0
	s_cmp_neq_f32 s12, 0
	s_mov_b32 s6, 0
	s_cselect_b32 s2, -1, 0
	s_cmp_neq_f32 s14, 1.0
	s_cselect_b32 s3, -1, 0
	s_delay_alu instid0(SALU_CYCLE_1) | instskip(NEXT) | instid1(SALU_CYCLE_1)
	s_or_b32 s2, s2, s3
	s_and_not1_b32 vcc_lo, exec_lo, s2
	s_cbranch_vccnz .LBB20_10
; %bb.5:
	s_clause 0x1
	s_load_b64 s[4:5], s[0:1], 0x18
	s_load_b64 s[2:3], s[0:1], 0x0
	s_bfe_u32 s7, ttmp6, 0x4000c
	s_and_b32 s8, ttmp6, 15
	s_add_co_i32 s7, s7, 1
	s_getreg_b32 s9, hwreg(HW_REG_IB_STS2, 6, 4)
	s_mul_i32 s7, ttmp9, s7
	v_lshrrev_b32_e32 v1, 2, v0
	s_add_co_i32 s8, s8, s7
	s_cmp_eq_u32 s9, 0
	s_cselect_b32 s7, ttmp9, s8
	s_delay_alu instid0(VALU_DEP_1) | instid1(SALU_CYCLE_1)
	v_lshl_or_b32 v2, s7, 5, v1
	s_wait_kmcnt 0x0
	s_cmp_lg_u64 s[4:5], 0
	s_cbranch_scc0 .LBB20_11
; %bb.6:
	s_load_b32 s6, s[0:1], 0x10
	s_mov_b32 s7, 0
                                        ; implicit-def: $vgpr1
	s_wait_kmcnt 0x0
	v_cmp_gt_i32_e32 vcc_lo, s6, v2
	s_mov_b32 s6, 0
	s_and_saveexec_b32 s8, vcc_lo
	s_delay_alu instid0(SALU_CYCLE_1)
	s_xor_b32 s8, exec_lo, s8
	s_cbranch_execz .LBB20_8
; %bb.7:
	global_load_b32 v1, v2, s[4:5] scale_offset
	s_mov_b32 s6, exec_lo
	s_wait_loadcnt 0x0
	v_subrev_nc_u32_e32 v1, s16, v1
.LBB20_8:
	s_or_b32 exec_lo, exec_lo, s8
	s_delay_alu instid0(SALU_CYCLE_1)
	s_and_b32 vcc_lo, exec_lo, s7
	s_cbranch_vccz .LBB20_12
.LBB20_9:
	v_cmp_gt_i32_e32 vcc_lo, s2, v2
	s_and_not1_b32 s2, s6, exec_lo
	s_and_b32 s4, vcc_lo, exec_lo
	s_delay_alu instid0(SALU_CYCLE_1) | instskip(NEXT) | instid1(SALU_CYCLE_1)
	s_or_b32 s6, s2, s4
	s_and_saveexec_b32 s2, s6
	s_cbranch_execnz .LBB20_13
.LBB20_10:
	s_sendmsg sendmsg(MSG_DEALLOC_VGPRS)
	s_endpgm
.LBB20_11:
                                        ; implicit-def: $vgpr1
	s_cbranch_execnz .LBB20_9
.LBB20_12:
	s_delay_alu instid0(VALU_DEP_1)
	v_mov_b32_e32 v2, v1
	s_and_saveexec_b32 s2, s6
	s_cbranch_execz .LBB20_10
.LBB20_13:
	s_load_b256 s[4:11], s[0:1], 0x20
	s_mov_b32 s17, 0
	v_dual_mov_b32 v1, 0 :: v_dual_bitop2_b32 v0, 3, v0 bitop3:0x40
	s_wait_kmcnt 0x0
	s_cmp_eq_u64 s[6:7], 0
	global_load_b64 v[14:15], v2, s[4:5] scale_offset
	s_cselect_b32 vcc_lo, -1, 0
	v_ashrrev_i32_e32 v3, 31, v2
	s_cmp_eq_u32 s3, 1
	s_delay_alu instid0(VALU_DEP_1) | instskip(NEXT) | instid1(VALU_DEP_1)
	v_lshlrev_b64_e32 v[4:5], 3, v[2:3]
	v_add_nc_u64_e32 v[6:7], s[4:5], v[4:5]
	v_add_nc_u64_e32 v[4:5], s[6:7], v[4:5]
	s_wait_xcnt 0x0
	s_load_b64 s[4:5], s[0:1], 0x40
	s_delay_alu instid0(VALU_DEP_2) | instskip(NEXT) | instid1(VALU_DEP_1)
	v_add_nc_u64_e32 v[6:7], 8, v[6:7]
	v_dual_cndmask_b32 v5, v5, v7 :: v_dual_cndmask_b32 v4, v4, v6
	global_load_b64 v[6:7], v[4:5], off
	s_wait_loadcnt 0x1
	s_wait_xcnt 0x0
	v_sub_nc_u64_e64 v[4:5], v[14:15], s[16:17]
	s_delay_alu instid0(VALU_DEP_1) | instskip(NEXT) | instid1(VALU_DEP_1)
	v_add_nc_u64_e32 v[4:5], v[4:5], v[0:1]
	v_lshlrev_b64_e32 v[8:9], 6, v[4:5]
	s_delay_alu instid0(VALU_DEP_1) | instskip(SKIP_2) | instid1(VALU_DEP_1)
	v_add_nc_u64_e32 v[8:9], s[10:11], v[8:9]
	s_wait_loadcnt 0x0
	v_sub_nc_u64_e64 v[6:7], v[6:7], s[16:17]
	v_cmp_lt_i64_e64 s2, v[4:5], v[6:7]
	s_cbranch_scc1 .LBB20_25
; %bb.14:
	v_dual_mov_b32 v13, v1 :: v_dual_mov_b32 v12, v1
	v_dual_mov_b32 v11, v1 :: v_dual_mov_b32 v10, v1
	s_and_saveexec_b32 s3, s2
	s_cbranch_execz .LBB20_24
; %bb.15:
	v_dual_mov_b32 v11, v1 :: v_dual_bitop2_b32 v10, 4, v0 bitop3:0x54
	v_sub_nc_u64_e32 v[12:13], s[16:17], v[0:1]
	v_not_b32_e32 v17, v15
	v_not_b32_e32 v16, v14
	v_mov_b64_e32 v[18:19], v[8:9]
	v_sub_nc_u64_e64 v[10:11], v[10:11], s[16:17]
	s_delay_alu instid0(VALU_DEP_3) | instskip(SKIP_1) | instid1(VALU_DEP_3)
	v_add_nc_u64_e32 v[12:13], v[12:13], v[16:17]
	v_mov_b64_e32 v[16:17], v[4:5]
	v_add_nc_u64_e32 v[10:11], v[10:11], v[14:15]
	s_delay_alu instid0(VALU_DEP_1) | instskip(NEXT) | instid1(VALU_DEP_1)
	v_max_i64 v[10:11], v[10:11], v[6:7]
	v_add_nc_u64_e32 v[20:21], v[12:13], v[10:11]
	s_delay_alu instid0(VALU_DEP_1) | instskip(NEXT) | instid1(VALU_DEP_1)
	v_dual_mov_b32 v11, 0 :: v_dual_bitop2_b32 v10, 12, v20 bitop3:0x40
	v_dual_mov_b32 v12, v11 :: v_dual_mov_b32 v13, v11
	s_delay_alu instid0(VALU_DEP_2)
	v_cmp_ne_u64_e32 vcc_lo, 12, v[10:11]
	v_mov_b32_e32 v10, v11
	s_and_saveexec_b32 s6, vcc_lo
	s_cbranch_execz .LBB20_19
; %bb.16:
	v_dual_lshrrev_b32 v3, 2, v20 :: v_dual_mov_b32 v11, 0
	v_mov_b64_e32 v[18:19], v[8:9]
	v_mov_b64_e32 v[16:17], v[4:5]
	v_lshl_add_u64 v[22:23], v[4:5], 2, s[8:9]
	s_delay_alu instid0(VALU_DEP_4) | instskip(SKIP_1) | instid1(VALU_DEP_1)
	v_dual_add_nc_u32 v3, 1, v3 :: v_dual_mov_b32 v13, v11
	s_mov_b32 s7, 0
	v_dual_mov_b32 v12, v11 :: v_dual_bitop2_b32 v10, 3, v3 bitop3:0x40
	s_delay_alu instid0(VALU_DEP_1)
	v_sub_nc_u64_e32 v[24:25], 0, v[10:11]
	v_mov_b32_e32 v10, v11
.LBB20_17:                              ; =>This Inner Loop Header: Depth=1
	global_load_b32 v3, v[22:23], off
	s_clause 0x3
	global_load_b128 v[26:29], v[18:19], off offset:16
	global_load_b128 v[30:33], v[18:19], off
	global_load_b128 v[34:37], v[18:19], off offset:48
	global_load_b128 v[38:41], v[18:19], off offset:32
	v_add_nc_u64_e32 v[24:25], 1, v[24:25]
	s_wait_xcnt 0x0
	v_add_nc_u64_e32 v[18:19], 0x100, v[18:19]
	v_add_nc_u64_e32 v[16:17], 4, v[16:17]
	;; [unrolled: 1-line block ×3, first 2 shown]
	s_delay_alu instid0(VALU_DEP_4)
	v_cmp_eq_u64_e32 vcc_lo, 0, v[24:25]
	s_or_b32 s7, vcc_lo, s7
	s_wait_loadcnt 0x4
	v_subrev_nc_u32_e32 v3, s16, v3
	s_wait_loadcnt 0x0
	v_dual_mov_b32 v49, v34 :: v_dual_mov_b32 v48, v38
	v_dual_mov_b32 v34, v39 :: v_dual_mov_b32 v38, v40
	s_delay_alu instid0(VALU_DEP_3) | instskip(SKIP_2) | instid1(VALU_DEP_3)
	v_dual_mov_b32 v39, v36 :: v_dual_lshlrev_b32 v42, 2, v3
	v_dual_mov_b32 v46, v30 :: v_dual_mov_b32 v47, v26
	v_dual_mov_b32 v26, v31 :: v_dual_mov_b32 v30, v32
	v_dual_ashrrev_i32 v43, 31, v42 :: v_dual_mov_b32 v31, v28
	v_dual_mov_b32 v28, v33 :: v_dual_mov_b32 v36, v41
	s_wait_kmcnt 0x0
	s_delay_alu instid0(VALU_DEP_2) | instskip(SKIP_4) | instid1(VALU_DEP_2)
	v_lshl_add_u64 v[42:43], v[42:43], 2, s[4:5]
	global_load_b128 v[42:45], v[42:43], off
	s_wait_loadcnt 0x0
	v_pk_fma_f32 v[10:11], v[46:47], v[42:43], v[10:11] op_sel_hi:[1,0,1]
	v_pk_fma_f32 v[12:13], v[48:49], v[42:43], v[12:13] op_sel_hi:[1,0,1]
	v_pk_fma_f32 v[10:11], v[26:27], v[42:43], v[10:11] op_sel:[0,1,0]
	s_delay_alu instid0(VALU_DEP_2) | instskip(SKIP_1) | instid1(VALU_DEP_3)
	v_pk_fma_f32 v[12:13], v[34:35], v[42:43], v[12:13] op_sel:[0,1,0]
	v_mov_b32_e32 v26, v45
	v_pk_fma_f32 v[10:11], v[30:31], v[44:45], v[10:11] op_sel_hi:[1,0,1]
	s_delay_alu instid0(VALU_DEP_3) | instskip(NEXT) | instid1(VALU_DEP_2)
	v_pk_fma_f32 v[12:13], v[38:39], v[44:45], v[12:13] op_sel_hi:[1,0,1]
	v_pk_fma_f32 v[10:11], v[28:29], v[26:27], v[10:11] op_sel_hi:[1,0,1]
	s_delay_alu instid0(VALU_DEP_2)
	v_pk_fma_f32 v[12:13], v[36:37], v[26:27], v[12:13] op_sel_hi:[1,0,1]
	s_and_not1_b32 exec_lo, exec_lo, s7
	s_cbranch_execnz .LBB20_17
; %bb.18:
	s_or_b32 exec_lo, exec_lo, s7
.LBB20_19:
	s_delay_alu instid0(SALU_CYCLE_1) | instskip(NEXT) | instid1(SALU_CYCLE_1)
	s_or_b32 exec_lo, exec_lo, s6
	s_mov_b32 s6, exec_lo
	v_cmpx_lt_u64_e32 11, v[20:21]
	s_cbranch_execz .LBB20_23
; %bb.20:
	v_lshl_add_u64 v[20:21], v[16:17], 2, s[8:9]
	s_mov_b32 s7, 0
	s_delay_alu instid0(VALU_DEP_1)
	v_add_nc_u64_e32 v[20:21], 32, v[20:21]
.LBB20_21:                              ; =>This Inner Loop Header: Depth=1
	s_clause 0x3
	global_load_b128 v[22:25], v[18:19], off
	global_load_b128 v[26:29], v[18:19], off offset:16
	global_load_b128 v[30:33], v[18:19], off offset:32
	global_load_b128 v[34:37], v[18:19], off offset:48
	s_clause 0x1
	global_load_b32 v3, v[20:21], off offset:-32
	global_load_b32 v76, v[20:21], off offset:-16
	s_clause 0x5
	global_load_b128 v[38:41], v[18:19], off offset:256
	global_load_b128 v[42:45], v[18:19], off offset:272
	;; [unrolled: 1-line block ×6, first 2 shown]
	s_clause 0x1
	global_load_b32 v84, v[20:21], off
	global_load_b32 v85, v[20:21], off offset:16
	s_clause 0x2
	global_load_b128 v[62:65], v[18:19], off offset:560
	global_load_b128 v[66:69], v[18:19], off offset:544
	;; [unrolled: 1-line block ×3, first 2 shown]
	v_add_nc_u64_e32 v[16:17], 16, v[16:17]
	s_wait_xcnt 0x3
	v_add_nc_u64_e32 v[20:21], 64, v[20:21]
	s_delay_alu instid0(VALU_DEP_2)
	v_cmp_ge_i64_e32 vcc_lo, v[16:17], v[6:7]
	s_or_b32 s7, vcc_lo, s7
	s_wait_loadcnt 0xf
	v_dual_mov_b32 v74, v22 :: v_dual_mov_b32 v75, v26
	s_wait_loadcnt 0xd
	v_dual_mov_b32 v80, v30 :: v_dual_mov_b32 v81, v34
	s_wait_loadcnt 0xc
	v_subrev_nc_u32_e32 v3, s16, v3
	s_wait_loadcnt 0xb
	v_subrev_nc_u32_e32 v30, s16, v76
	v_dual_mov_b32 v26, v23 :: v_dual_mov_b32 v78, v24
	v_dual_mov_b32 v79, v28 :: v_dual_mov_b32 v28, v25
	s_delay_alu instid0(VALU_DEP_3) | instskip(SKIP_3) | instid1(VALU_DEP_3)
	v_dual_lshlrev_b32 v22, 2, v3 :: v_dual_lshlrev_b32 v30, 2, v30
	s_wait_loadcnt 0x4
	v_subrev_nc_u32_e32 v3, s16, v84
	v_dual_mov_b32 v34, v31 :: v_dual_mov_b32 v82, v32
	v_ashrrev_i32_e32 v23, 31, v22
	s_wait_loadcnt 0x3
	v_subrev_nc_u32_e32 v84, s16, v85
	v_dual_ashrrev_i32 v31, 31, v30 :: v_dual_mov_b32 v83, v36
	v_mov_b32_e32 v36, v33
	s_wait_kmcnt 0x0
	v_lshl_add_u64 v[22:23], v[22:23], 2, s[4:5]
	v_lshlrev_b32_e32 v84, 2, v84
	v_lshl_add_u64 v[30:31], v[30:31], 2, s[4:5]
	global_load_b128 v[22:25], v[22:23], off
	v_ashrrev_i32_e32 v85, 31, v84
	global_load_b128 v[30:33], v[30:31], off
	s_wait_loadcnt 0x1
	v_pk_fma_f32 v[10:11], v[74:75], v[22:23], v[10:11] op_sel_hi:[1,0,1]
	v_pk_fma_f32 v[80:81], v[80:81], v[22:23], v[12:13] op_sel_hi:[1,0,1]
	v_lshlrev_b32_e32 v12, 2, v3
	global_load_b128 v[74:77], v[18:19], off offset:800
	v_pk_fma_f32 v[10:11], v[26:27], v[22:23], v[10:11] op_sel:[0,1,0]
	v_pk_fma_f32 v[22:23], v[34:35], v[22:23], v[80:81] op_sel:[0,1,0]
	v_ashrrev_i32_e32 v13, 31, v12
	s_delay_alu instid0(VALU_DEP_3) | instskip(SKIP_1) | instid1(VALU_DEP_3)
	v_pk_fma_f32 v[26:27], v[78:79], v[24:25], v[10:11] op_sel_hi:[1,0,1]
	v_mov_b32_e32 v78, v25
	v_lshl_add_u64 v[12:13], v[12:13], 2, s[4:5]
	v_pk_fma_f32 v[34:35], v[82:83], v[24:25], v[22:23] op_sel_hi:[1,0,1]
	global_load_b128 v[22:25], v[18:19], off offset:784
	v_lshl_add_u64 v[82:83], v[84:85], 2, s[4:5]
	v_pk_fma_f32 v[80:81], v[28:29], v[78:79], v[26:27] op_sel_hi:[1,0,1]
	global_load_b128 v[10:13], v[12:13], off
	global_load_b128 v[26:29], v[18:19], off offset:816
	v_pk_fma_f32 v[78:79], v[36:37], v[78:79], v[34:35] op_sel_hi:[1,0,1]
	global_load_b128 v[34:37], v[82:83], off
	s_wait_xcnt 0x0
	v_dual_mov_b32 v82, v38 :: v_dual_mov_b32 v83, v42
	v_dual_mov_b32 v42, v39 :: v_dual_mov_b32 v38, v40
	;; [unrolled: 1-line block ×4, first 2 shown]
	v_mov_b32_e32 v50, v47
	s_wait_loadcnt 0x5
	v_pk_fma_f32 v[46:47], v[82:83], v[30:31], v[80:81] op_sel_hi:[1,0,1]
	v_add_nc_u64_e32 v[18:19], 0x400, v[18:19]
	v_pk_fma_f32 v[40:41], v[40:41], v[30:31], v[78:79] op_sel_hi:[1,0,1]
	v_dual_mov_b32 v78, v48 :: v_dual_mov_b32 v79, v52
	s_delay_alu instid0(VALU_DEP_4) | instskip(SKIP_1) | instid1(VALU_DEP_4)
	v_pk_fma_f32 v[42:43], v[42:43], v[30:31], v[46:47] op_sel:[0,1,0]
	v_mov_b32_e32 v52, v49
	v_pk_fma_f32 v[30:31], v[50:51], v[30:31], v[40:41] op_sel:[0,1,0]
	v_dual_mov_b32 v41, v58 :: v_dual_mov_b32 v46, v33
	s_delay_alu instid0(VALU_DEP_4) | instskip(SKIP_1) | instid1(VALU_DEP_4)
	v_pk_fma_f32 v[38:39], v[38:39], v[32:33], v[42:43] op_sel_hi:[1,0,1]
	v_mov_b32_e32 v40, v54
	v_pk_fma_f32 v[30:31], v[78:79], v[32:33], v[30:31] op_sel_hi:[1,0,1]
	v_dual_mov_b32 v58, v55 :: v_dual_mov_b32 v32, v66
	v_dual_mov_b32 v33, v62 :: v_dual_mov_b32 v42, v56
	v_pk_fma_f32 v[38:39], v[44:45], v[46:47], v[38:39] op_sel_hi:[1,0,1]
	s_delay_alu instid0(VALU_DEP_4)
	v_pk_fma_f32 v[30:31], v[52:53], v[46:47], v[30:31] op_sel_hi:[1,0,1]
	v_dual_mov_b32 v43, v60 :: v_dual_mov_b32 v62, v67
	v_mov_b32_e32 v60, v57
	s_wait_loadcnt 0x2
	v_pk_fma_f32 v[38:39], v[40:41], v[10:11], v[38:39] op_sel_hi:[1,0,1]
	v_pk_fma_f32 v[30:31], v[32:33], v[10:11], v[30:31] op_sel_hi:[1,0,1]
	v_dual_mov_b32 v32, v68 :: v_dual_mov_b32 v33, v64
	v_mov_b32_e32 v64, v69
	s_delay_alu instid0(VALU_DEP_4) | instskip(NEXT) | instid1(VALU_DEP_4)
	v_pk_fma_f32 v[38:39], v[58:59], v[10:11], v[38:39] op_sel:[0,1,0]
	v_pk_fma_f32 v[10:11], v[62:63], v[10:11], v[30:31] op_sel:[0,1,0]
	v_dual_mov_b32 v30, v70 :: v_dual_mov_b32 v40, v13
	v_mov_b32_e32 v31, v22
	s_delay_alu instid0(VALU_DEP_4) | instskip(NEXT) | instid1(VALU_DEP_4)
	v_pk_fma_f32 v[38:39], v[42:43], v[12:13], v[38:39] op_sel_hi:[1,0,1]
	v_pk_fma_f32 v[10:11], v[32:33], v[12:13], v[10:11] op_sel_hi:[1,0,1]
	s_wait_loadcnt 0x1
	v_dual_mov_b32 v12, v74 :: v_dual_mov_b32 v13, v26
	v_mov_b32_e32 v22, v71
	v_pk_fma_f32 v[32:33], v[60:61], v[40:41], v[38:39] op_sel_hi:[1,0,1]
	v_pk_fma_f32 v[10:11], v[64:65], v[40:41], v[10:11] op_sel_hi:[1,0,1]
	v_dual_mov_b32 v38, v72 :: v_dual_mov_b32 v26, v75
	v_mov_b32_e32 v39, v24
	s_wait_loadcnt 0x0
	v_pk_fma_f32 v[30:31], v[30:31], v[34:35], v[32:33] op_sel_hi:[1,0,1]
	v_pk_fma_f32 v[10:11], v[12:13], v[34:35], v[10:11] op_sel_hi:[1,0,1]
	v_dual_mov_b32 v12, v76 :: v_dual_mov_b32 v13, v28
	v_mov_b32_e32 v24, v73
	s_delay_alu instid0(VALU_DEP_4) | instskip(NEXT) | instid1(VALU_DEP_4)
	v_pk_fma_f32 v[22:23], v[22:23], v[34:35], v[30:31] op_sel:[0,1,0]
	v_pk_fma_f32 v[10:11], v[26:27], v[34:35], v[10:11] op_sel:[0,1,0]
	v_dual_mov_b32 v28, v77 :: v_dual_mov_b32 v26, v37
	s_delay_alu instid0(VALU_DEP_3) | instskip(NEXT) | instid1(VALU_DEP_3)
	v_pk_fma_f32 v[22:23], v[38:39], v[36:37], v[22:23] op_sel_hi:[1,0,1]
	v_pk_fma_f32 v[12:13], v[12:13], v[36:37], v[10:11] op_sel_hi:[1,0,1]
	s_delay_alu instid0(VALU_DEP_2) | instskip(NEXT) | instid1(VALU_DEP_2)
	v_pk_fma_f32 v[10:11], v[24:25], v[26:27], v[22:23] op_sel_hi:[1,0,1]
	v_pk_fma_f32 v[12:13], v[28:29], v[26:27], v[12:13] op_sel_hi:[1,0,1]
	s_and_not1_b32 exec_lo, exec_lo, s7
	s_cbranch_execnz .LBB20_21
; %bb.22:
	s_or_b32 exec_lo, exec_lo, s7
.LBB20_23:
	s_delay_alu instid0(SALU_CYCLE_1)
	s_or_b32 exec_lo, exec_lo, s6
.LBB20_24:
	s_delay_alu instid0(SALU_CYCLE_1)
	s_or_b32 exec_lo, exec_lo, s3
	s_cbranch_execz .LBB20_26
	s_branch .LBB20_37
.LBB20_25:
                                        ; implicit-def: $vgpr13
                                        ; implicit-def: $vgpr11
.LBB20_26:
	v_dual_mov_b32 v13, 0 :: v_dual_mov_b32 v12, 0
	v_dual_mov_b32 v11, 0 :: v_dual_mov_b32 v10, 0
	s_and_saveexec_b32 s3, s2
	s_cbranch_execz .LBB20_36
; %bb.27:
	v_dual_mov_b32 v11, v1 :: v_dual_bitop2_b32 v10, 4, v0 bitop3:0x54
	v_sub_nc_u64_e32 v[12:13], s[16:17], v[0:1]
	s_delay_alu instid0(VALU_DEP_2) | instskip(NEXT) | instid1(VALU_DEP_1)
	v_sub_nc_u64_e64 v[10:11], v[10:11], s[16:17]
	v_add_nc_u64_e32 v[10:11], v[10:11], v[14:15]
	v_not_b32_e32 v15, v15
	v_not_b32_e32 v14, v14
	s_delay_alu instid0(VALU_DEP_1) | instskip(NEXT) | instid1(VALU_DEP_4)
	v_add_nc_u64_e32 v[12:13], v[12:13], v[14:15]
	v_max_i64 v[10:11], v[10:11], v[6:7]
	s_delay_alu instid0(VALU_DEP_1) | instskip(NEXT) | instid1(VALU_DEP_1)
	v_add_nc_u64_e32 v[14:15], v[12:13], v[10:11]
	v_dual_mov_b32 v11, 0 :: v_dual_bitop2_b32 v10, 12, v14 bitop3:0x40
	s_delay_alu instid0(VALU_DEP_1) | instskip(NEXT) | instid1(VALU_DEP_2)
	v_dual_mov_b32 v13, v11 :: v_dual_mov_b32 v12, v11
	v_cmp_ne_u64_e32 vcc_lo, 12, v[10:11]
	v_mov_b32_e32 v10, v11
	s_and_saveexec_b32 s2, vcc_lo
	s_cbranch_execz .LBB20_31
; %bb.28:
	v_dual_lshrrev_b32 v1, 2, v14 :: v_dual_mov_b32 v11, 0
	v_lshl_add_u64 v[16:17], v[4:5], 2, s[8:9]
	s_mov_b32 s6, 0
	s_delay_alu instid0(VALU_DEP_2) | instskip(NEXT) | instid1(VALU_DEP_1)
	v_dual_add_nc_u32 v1, 1, v1 :: v_dual_mov_b32 v13, v11
	v_dual_mov_b32 v12, v11 :: v_dual_bitop2_b32 v10, 3, v1 bitop3:0x40
	s_delay_alu instid0(VALU_DEP_1)
	v_sub_nc_u64_e32 v[18:19], 0, v[10:11]
	v_mov_b32_e32 v10, v11
.LBB20_29:                              ; =>This Inner Loop Header: Depth=1
	global_load_b32 v1, v[16:17], off
	v_add_nc_u64_e32 v[18:19], 1, v[18:19]
	v_add_nc_u64_e32 v[4:5], 4, v[4:5]
	s_wait_xcnt 0x0
	v_add_nc_u64_e32 v[16:17], 16, v[16:17]
	s_delay_alu instid0(VALU_DEP_3) | instskip(SKIP_3) | instid1(VALU_DEP_1)
	v_cmp_eq_u64_e32 vcc_lo, 0, v[18:19]
	s_or_b32 s6, vcc_lo, s6
	s_wait_loadcnt 0x0
	v_subrev_nc_u32_e32 v1, s16, v1
	v_lshlrev_b32_e32 v20, 2, v1
	s_delay_alu instid0(VALU_DEP_1) | instskip(SKIP_1) | instid1(VALU_DEP_1)
	v_ashrrev_i32_e32 v21, 31, v20
	s_wait_kmcnt 0x0
	v_lshl_add_u64 v[40:41], v[20:21], 2, s[4:5]
	s_clause 0x1
	global_load_b128 v[20:23], v[8:9], off offset:16
	global_load_b128 v[24:27], v[8:9], off
	global_load_b128 v[28:31], v[40:41], off
	s_clause 0x1
	global_load_b128 v[32:35], v[8:9], off offset:32
	global_load_b128 v[36:39], v[8:9], off offset:48
	s_wait_xcnt 0x0
	v_add_nc_u64_e32 v[8:9], 0x100, v[8:9]
	s_wait_loadcnt 0x2
	v_pk_fma_f32 v[10:11], v[24:25], v[28:29], v[10:11] op_sel_hi:[1,0,1]
	v_pk_fma_f32 v[12:13], v[26:27], v[28:29], v[12:13] op_sel_hi:[1,0,1]
	s_delay_alu instid0(VALU_DEP_2) | instskip(NEXT) | instid1(VALU_DEP_2)
	v_pk_fma_f32 v[10:11], v[20:21], v[28:29], v[10:11] op_sel:[0,1,0]
	v_pk_fma_f32 v[12:13], v[22:23], v[28:29], v[12:13] op_sel:[0,1,0]
	v_mov_b32_e32 v20, v31
	s_wait_loadcnt 0x1
	s_delay_alu instid0(VALU_DEP_3) | instskip(NEXT) | instid1(VALU_DEP_3)
	v_pk_fma_f32 v[10:11], v[32:33], v[30:31], v[10:11] op_sel_hi:[1,0,1]
	v_pk_fma_f32 v[12:13], v[34:35], v[30:31], v[12:13] op_sel_hi:[1,0,1]
	s_wait_loadcnt 0x0
	s_delay_alu instid0(VALU_DEP_2) | instskip(NEXT) | instid1(VALU_DEP_2)
	v_pk_fma_f32 v[10:11], v[36:37], v[20:21], v[10:11] op_sel_hi:[1,0,1]
	v_pk_fma_f32 v[12:13], v[38:39], v[20:21], v[12:13] op_sel_hi:[1,0,1]
	s_and_not1_b32 exec_lo, exec_lo, s6
	s_cbranch_execnz .LBB20_29
; %bb.30:
	s_or_b32 exec_lo, exec_lo, s6
.LBB20_31:
	s_delay_alu instid0(SALU_CYCLE_1) | instskip(NEXT) | instid1(SALU_CYCLE_1)
	s_or_b32 exec_lo, exec_lo, s2
	s_mov_b32 s2, exec_lo
	v_cmpx_lt_u64_e32 11, v[14:15]
	s_cbranch_execz .LBB20_35
; %bb.32:
	v_lshl_add_u64 v[14:15], v[4:5], 2, s[8:9]
	s_mov_b32 s6, 0
	s_delay_alu instid0(VALU_DEP_1)
	v_add_nc_u64_e32 v[14:15], 32, v[14:15]
.LBB20_33:                              ; =>This Inner Loop Header: Depth=1
	s_clause 0x2
	global_load_b32 v1, v[14:15], off offset:-32
	global_load_b32 v3, v[14:15], off offset:-16
	global_load_b32 v46, v[14:15], off
	s_clause 0x2
	global_load_b128 v[16:19], v[8:9], off offset:32
	global_load_b128 v[20:23], v[8:9], off offset:16
	global_load_b128 v[24:27], v[8:9], off
	global_load_b32 v66, v[14:15], off offset:16
	v_add_nc_u64_e32 v[4:5], 16, v[4:5]
	s_wait_xcnt 0x0
	v_add_nc_u64_e32 v[14:15], 64, v[14:15]
	s_delay_alu instid0(VALU_DEP_2)
	v_cmp_ge_i64_e32 vcc_lo, v[4:5], v[6:7]
	s_or_b32 s6, vcc_lo, s6
	s_wait_loadcnt 0x6
	v_subrev_nc_u32_e32 v1, s16, v1
	s_wait_loadcnt 0x5
	v_subrev_nc_u32_e32 v3, s16, v3
	s_delay_alu instid0(VALU_DEP_1) | instskip(SKIP_2) | instid1(VALU_DEP_1)
	v_dual_lshlrev_b32 v28, 2, v1 :: v_dual_lshlrev_b32 v40, 2, v3
	s_wait_loadcnt 0x4
	v_subrev_nc_u32_e32 v1, s16, v46
	v_dual_ashrrev_i32 v29, 31, v28 :: v_dual_lshlrev_b32 v60, 2, v1
	s_wait_loadcnt 0x0
	v_subrev_nc_u32_e32 v1, s16, v66
	v_ashrrev_i32_e32 v41, 31, v40
	s_wait_kmcnt 0x0
	v_lshl_add_u64 v[36:37], v[28:29], 2, s[4:5]
	global_load_b128 v[28:31], v[36:37], off
	global_load_b128 v[32:35], v[8:9], off offset:48
	v_lshlrev_b32_e32 v76, 2, v1
	v_lshl_add_u64 v[44:45], v[40:41], 2, s[4:5]
	s_clause 0x2
	global_load_b128 v[36:39], v[8:9], off offset:272
	global_load_b128 v[40:43], v[8:9], off offset:256
	;; [unrolled: 1-line block ×3, first 2 shown]
	v_ashrrev_i32_e32 v61, 31, v60
	global_load_b128 v[44:47], v[44:45], off
	s_clause 0x1
	global_load_b128 v[52:55], v[8:9], off offset:304
	global_load_b128 v[56:59], v[8:9], off offset:528
	v_ashrrev_i32_e32 v77, 31, v76
	v_lshl_add_u64 v[64:65], v[60:61], 2, s[4:5]
	global_load_b128 v[60:63], v[8:9], off offset:512
	v_lshl_add_u64 v[76:77], v[76:77], 2, s[4:5]
	global_load_b128 v[64:67], v[64:65], off
	s_clause 0x1
	global_load_b128 v[68:71], v[8:9], off offset:560
	global_load_b128 v[72:75], v[8:9], off offset:544
	s_wait_loadcnt 0xb
	v_pk_fma_f32 v[24:25], v[24:25], v[28:29], v[10:11] op_sel_hi:[1,0,1]
	v_pk_fma_f32 v[26:27], v[26:27], v[28:29], v[12:13] op_sel_hi:[1,0,1]
	global_load_b128 v[10:13], v[8:9], off offset:784
	v_pk_fma_f32 v[78:79], v[20:21], v[28:29], v[24:25] op_sel:[0,1,0]
	v_pk_fma_f32 v[28:29], v[22:23], v[28:29], v[26:27] op_sel:[0,1,0]
	global_load_b128 v[20:23], v[8:9], off offset:768
	global_load_b128 v[24:27], v[76:77], off
	s_wait_xcnt 0x0
	v_pk_fma_f32 v[76:77], v[16:17], v[30:31], v[78:79] op_sel_hi:[1,0,1]
	v_pk_fma_f32 v[28:29], v[18:19], v[30:31], v[28:29] op_sel_hi:[1,0,1]
	global_load_b128 v[16:19], v[8:9], off offset:800
	v_mov_b32_e32 v30, v31
	s_wait_loadcnt 0xe
	s_delay_alu instid0(VALU_DEP_1)
	v_pk_fma_f32 v[32:33], v[32:33], v[30:31], v[76:77] op_sel_hi:[1,0,1]
	v_pk_fma_f32 v[34:35], v[34:35], v[30:31], v[28:29] op_sel_hi:[1,0,1]
	global_load_b128 v[28:31], v[8:9], off offset:816
	s_wait_xcnt 0x0
	v_add_nc_u64_e32 v[8:9], 0x400, v[8:9]
	s_wait_loadcnt 0xb
	v_pk_fma_f32 v[32:33], v[40:41], v[44:45], v[32:33] op_sel_hi:[1,0,1]
	v_pk_fma_f32 v[34:35], v[42:43], v[44:45], v[34:35] op_sel_hi:[1,0,1]
	s_delay_alu instid0(VALU_DEP_2) | instskip(SKIP_1) | instid1(VALU_DEP_3)
	v_pk_fma_f32 v[32:33], v[36:37], v[44:45], v[32:33] op_sel:[0,1,0]
	v_mov_b32_e32 v36, v47
	v_pk_fma_f32 v[34:35], v[38:39], v[44:45], v[34:35] op_sel:[0,1,0]
	s_delay_alu instid0(VALU_DEP_3) | instskip(NEXT) | instid1(VALU_DEP_2)
	v_pk_fma_f32 v[32:33], v[48:49], v[46:47], v[32:33] op_sel_hi:[1,0,1]
	v_pk_fma_f32 v[34:35], v[50:51], v[46:47], v[34:35] op_sel_hi:[1,0,1]
	s_wait_loadcnt 0xa
	s_delay_alu instid0(VALU_DEP_2) | instskip(NEXT) | instid1(VALU_DEP_2)
	v_pk_fma_f32 v[32:33], v[52:53], v[36:37], v[32:33] op_sel_hi:[1,0,1]
	v_pk_fma_f32 v[34:35], v[54:55], v[36:37], v[34:35] op_sel_hi:[1,0,1]
	s_wait_loadcnt 0x7
	v_mov_b32_e32 v36, v67
	s_delay_alu instid0(VALU_DEP_3) | instskip(NEXT) | instid1(VALU_DEP_3)
	v_pk_fma_f32 v[32:33], v[60:61], v[64:65], v[32:33] op_sel_hi:[1,0,1]
	v_pk_fma_f32 v[34:35], v[62:63], v[64:65], v[34:35] op_sel_hi:[1,0,1]
	s_delay_alu instid0(VALU_DEP_2) | instskip(NEXT) | instid1(VALU_DEP_2)
	v_pk_fma_f32 v[32:33], v[56:57], v[64:65], v[32:33] op_sel:[0,1,0]
	v_pk_fma_f32 v[34:35], v[58:59], v[64:65], v[34:35] op_sel:[0,1,0]
	s_wait_loadcnt 0x5
	s_delay_alu instid0(VALU_DEP_2) | instskip(NEXT) | instid1(VALU_DEP_2)
	v_pk_fma_f32 v[32:33], v[72:73], v[66:67], v[32:33] op_sel_hi:[1,0,1]
	v_pk_fma_f32 v[34:35], v[74:75], v[66:67], v[34:35] op_sel_hi:[1,0,1]
	s_delay_alu instid0(VALU_DEP_2) | instskip(SKIP_1) | instid1(VALU_DEP_1)
	v_pk_fma_f32 v[32:33], v[68:69], v[36:37], v[32:33] op_sel_hi:[1,0,1]
	s_wait_loadcnt 0x2
	v_pk_fma_f32 v[20:21], v[20:21], v[24:25], v[32:33] op_sel_hi:[1,0,1]
	s_delay_alu instid0(VALU_DEP_1) | instskip(SKIP_3) | instid1(VALU_DEP_3)
	v_pk_fma_f32 v[10:11], v[10:11], v[24:25], v[20:21] op_sel:[0,1,0]
	v_mov_b32_e32 v20, v27
	v_pk_fma_f32 v[34:35], v[70:71], v[36:37], v[34:35] op_sel_hi:[1,0,1]
	s_wait_loadcnt 0x1
	v_pk_fma_f32 v[10:11], v[16:17], v[26:27], v[10:11] op_sel_hi:[1,0,1]
	s_delay_alu instid0(VALU_DEP_2) | instskip(SKIP_1) | instid1(VALU_DEP_2)
	v_pk_fma_f32 v[22:23], v[22:23], v[24:25], v[34:35] op_sel_hi:[1,0,1]
	s_wait_loadcnt 0x0
	v_pk_fma_f32 v[10:11], v[28:29], v[20:21], v[10:11] op_sel_hi:[1,0,1]
	s_delay_alu instid0(VALU_DEP_2) | instskip(NEXT) | instid1(VALU_DEP_1)
	v_pk_fma_f32 v[12:13], v[12:13], v[24:25], v[22:23] op_sel:[0,1,0]
	v_pk_fma_f32 v[12:13], v[18:19], v[26:27], v[12:13] op_sel_hi:[1,0,1]
	s_delay_alu instid0(VALU_DEP_1)
	v_pk_fma_f32 v[12:13], v[30:31], v[20:21], v[12:13] op_sel_hi:[1,0,1]
	s_and_not1_b32 exec_lo, exec_lo, s6
	s_cbranch_execnz .LBB20_33
; %bb.34:
	s_or_b32 exec_lo, exec_lo, s6
.LBB20_35:
	s_delay_alu instid0(SALU_CYCLE_1)
	s_or_b32 exec_lo, exec_lo, s2
.LBB20_36:
	s_delay_alu instid0(SALU_CYCLE_1)
	s_or_b32 exec_lo, exec_lo, s3
.LBB20_37:
	v_mbcnt_lo_u32_b32 v1, -1, 0
	s_mov_b32 s2, -1
	s_delay_alu instid0(VALU_DEP_1) | instskip(NEXT) | instid1(VALU_DEP_1)
	v_xor_b32_e32 v3, 2, v1
	v_cmp_gt_i32_e32 vcc_lo, 32, v3
	v_cndmask_b32_e32 v3, v1, v3, vcc_lo
	s_delay_alu instid0(VALU_DEP_1)
	v_lshlrev_b32_e32 v3, 2, v3
	ds_bpermute_b32 v4, v3, v10
	ds_bpermute_b32 v5, v3, v11
	;; [unrolled: 1-line block ×4, first 2 shown]
	v_xor_b32_e32 v3, 1, v1
	s_delay_alu instid0(VALU_DEP_1) | instskip(SKIP_2) | instid1(VALU_DEP_2)
	v_cmp_gt_i32_e32 vcc_lo, 32, v3
	v_cndmask_b32_e32 v1, v1, v3, vcc_lo
	v_cmp_eq_u32_e32 vcc_lo, 3, v0
	v_lshlrev_b32_e32 v1, 2, v1
	s_wait_dscnt 0x2
	v_pk_add_f32 v[4:5], v[10:11], v[4:5]
	s_wait_dscnt 0x0
	v_pk_add_f32 v[6:7], v[12:13], v[6:7]
	ds_bpermute_b32 v10, v1, v4
	ds_bpermute_b32 v11, v1, v5
	;; [unrolled: 1-line block ×4, first 2 shown]
	s_and_b32 exec_lo, exec_lo, vcc_lo
	s_cbranch_execz .LBB20_10
; %bb.38:
	s_load_b64 s[0:1], s[0:1], 0x50
	s_wait_dscnt 0x2
	v_pk_add_f32 v[4:5], v[4:5], v[10:11]
	s_wait_dscnt 0x0
	v_pk_add_f32 v[0:1], v[6:7], v[8:9]
	v_lshlrev_b32_e32 v2, 2, v2
	s_cmp_eq_f32 s14, 0
	s_cbranch_scc0 .LBB20_40
; %bb.39:
	s_delay_alu instid0(VALU_DEP_1)
	v_ashrrev_i32_e32 v3, 31, v2
	v_pk_mul_f32 v[6:7], s[12:13], v[4:5] op_sel_hi:[0,1]
	v_pk_mul_f32 v[8:9], s[12:13], v[0:1] op_sel_hi:[0,1]
	s_mov_b32 s2, 0
	s_wait_kmcnt 0x0
	v_lshl_add_u64 v[10:11], v[2:3], 2, s[0:1]
	global_store_b128 v[10:11], v[6:9], off
.LBB20_40:
	s_and_not1_b32 vcc_lo, exec_lo, s2
	s_cbranch_vccnz .LBB20_10
; %bb.41:
	v_ashrrev_i32_e32 v3, 31, v2
	s_wait_kmcnt 0x0
	s_delay_alu instid0(VALU_DEP_1)
	v_lshl_add_u64 v[10:11], v[2:3], 2, s[0:1]
	v_pk_mul_f32 v[2:3], s[12:13], v[4:5] op_sel_hi:[0,1]
	v_pk_mul_f32 v[4:5], s[12:13], v[0:1] op_sel_hi:[0,1]
	global_load_b128 v[6:9], v[10:11], off
	s_wait_loadcnt 0x0
	v_pk_fma_f32 v[0:1], s[14:15], v[6:7], v[2:3] op_sel_hi:[0,1,1]
	v_pk_fma_f32 v[2:3], s[14:15], v[8:9], v[4:5] op_sel_hi:[0,1,1]
	global_store_b128 v[10:11], v[0:3], off
	s_sendmsg sendmsg(MSG_DEALLOC_VGPRS)
	s_endpgm
	.section	.rodata,"a",@progbits
	.p2align	6, 0x0
	.amdhsa_kernel _ZN9rocsparseL18bsrxmvn_4x4_kernelILj128ELj4EflifffEEvT3_20rocsparse_direction_NS_24const_host_device_scalarIT1_EES1_PKS1_PKT2_SA_S7_PKT4_PKT5_S5_PT6_21rocsparse_index_base_b
		.amdhsa_group_segment_fixed_size 0
		.amdhsa_private_segment_fixed_size 0
		.amdhsa_kernarg_size 96
		.amdhsa_user_sgpr_count 2
		.amdhsa_user_sgpr_dispatch_ptr 0
		.amdhsa_user_sgpr_queue_ptr 0
		.amdhsa_user_sgpr_kernarg_segment_ptr 1
		.amdhsa_user_sgpr_dispatch_id 0
		.amdhsa_user_sgpr_kernarg_preload_length 0
		.amdhsa_user_sgpr_kernarg_preload_offset 0
		.amdhsa_user_sgpr_private_segment_size 0
		.amdhsa_wavefront_size32 1
		.amdhsa_uses_dynamic_stack 0
		.amdhsa_enable_private_segment 0
		.amdhsa_system_sgpr_workgroup_id_x 1
		.amdhsa_system_sgpr_workgroup_id_y 0
		.amdhsa_system_sgpr_workgroup_id_z 0
		.amdhsa_system_sgpr_workgroup_info 0
		.amdhsa_system_vgpr_workitem_id 0
		.amdhsa_next_free_vgpr 86
		.amdhsa_next_free_sgpr 18
		.amdhsa_named_barrier_count 0
		.amdhsa_reserve_vcc 1
		.amdhsa_float_round_mode_32 0
		.amdhsa_float_round_mode_16_64 0
		.amdhsa_float_denorm_mode_32 3
		.amdhsa_float_denorm_mode_16_64 3
		.amdhsa_fp16_overflow 0
		.amdhsa_memory_ordered 1
		.amdhsa_forward_progress 1
		.amdhsa_inst_pref_size 30
		.amdhsa_round_robin_scheduling 0
		.amdhsa_exception_fp_ieee_invalid_op 0
		.amdhsa_exception_fp_denorm_src 0
		.amdhsa_exception_fp_ieee_div_zero 0
		.amdhsa_exception_fp_ieee_overflow 0
		.amdhsa_exception_fp_ieee_underflow 0
		.amdhsa_exception_fp_ieee_inexact 0
		.amdhsa_exception_int_div_zero 0
	.end_amdhsa_kernel
	.section	.text._ZN9rocsparseL18bsrxmvn_4x4_kernelILj128ELj4EflifffEEvT3_20rocsparse_direction_NS_24const_host_device_scalarIT1_EES1_PKS1_PKT2_SA_S7_PKT4_PKT5_S5_PT6_21rocsparse_index_base_b,"axG",@progbits,_ZN9rocsparseL18bsrxmvn_4x4_kernelILj128ELj4EflifffEEvT3_20rocsparse_direction_NS_24const_host_device_scalarIT1_EES1_PKS1_PKT2_SA_S7_PKT4_PKT5_S5_PT6_21rocsparse_index_base_b,comdat
.Lfunc_end20:
	.size	_ZN9rocsparseL18bsrxmvn_4x4_kernelILj128ELj4EflifffEEvT3_20rocsparse_direction_NS_24const_host_device_scalarIT1_EES1_PKS1_PKT2_SA_S7_PKT4_PKT5_S5_PT6_21rocsparse_index_base_b, .Lfunc_end20-_ZN9rocsparseL18bsrxmvn_4x4_kernelILj128ELj4EflifffEEvT3_20rocsparse_direction_NS_24const_host_device_scalarIT1_EES1_PKS1_PKT2_SA_S7_PKT4_PKT5_S5_PT6_21rocsparse_index_base_b
                                        ; -- End function
	.set _ZN9rocsparseL18bsrxmvn_4x4_kernelILj128ELj4EflifffEEvT3_20rocsparse_direction_NS_24const_host_device_scalarIT1_EES1_PKS1_PKT2_SA_S7_PKT4_PKT5_S5_PT6_21rocsparse_index_base_b.num_vgpr, 86
	.set _ZN9rocsparseL18bsrxmvn_4x4_kernelILj128ELj4EflifffEEvT3_20rocsparse_direction_NS_24const_host_device_scalarIT1_EES1_PKS1_PKT2_SA_S7_PKT4_PKT5_S5_PT6_21rocsparse_index_base_b.num_agpr, 0
	.set _ZN9rocsparseL18bsrxmvn_4x4_kernelILj128ELj4EflifffEEvT3_20rocsparse_direction_NS_24const_host_device_scalarIT1_EES1_PKS1_PKT2_SA_S7_PKT4_PKT5_S5_PT6_21rocsparse_index_base_b.numbered_sgpr, 18
	.set _ZN9rocsparseL18bsrxmvn_4x4_kernelILj128ELj4EflifffEEvT3_20rocsparse_direction_NS_24const_host_device_scalarIT1_EES1_PKS1_PKT2_SA_S7_PKT4_PKT5_S5_PT6_21rocsparse_index_base_b.num_named_barrier, 0
	.set _ZN9rocsparseL18bsrxmvn_4x4_kernelILj128ELj4EflifffEEvT3_20rocsparse_direction_NS_24const_host_device_scalarIT1_EES1_PKS1_PKT2_SA_S7_PKT4_PKT5_S5_PT6_21rocsparse_index_base_b.private_seg_size, 0
	.set _ZN9rocsparseL18bsrxmvn_4x4_kernelILj128ELj4EflifffEEvT3_20rocsparse_direction_NS_24const_host_device_scalarIT1_EES1_PKS1_PKT2_SA_S7_PKT4_PKT5_S5_PT6_21rocsparse_index_base_b.uses_vcc, 1
	.set _ZN9rocsparseL18bsrxmvn_4x4_kernelILj128ELj4EflifffEEvT3_20rocsparse_direction_NS_24const_host_device_scalarIT1_EES1_PKS1_PKT2_SA_S7_PKT4_PKT5_S5_PT6_21rocsparse_index_base_b.uses_flat_scratch, 0
	.set _ZN9rocsparseL18bsrxmvn_4x4_kernelILj128ELj4EflifffEEvT3_20rocsparse_direction_NS_24const_host_device_scalarIT1_EES1_PKS1_PKT2_SA_S7_PKT4_PKT5_S5_PT6_21rocsparse_index_base_b.has_dyn_sized_stack, 0
	.set _ZN9rocsparseL18bsrxmvn_4x4_kernelILj128ELj4EflifffEEvT3_20rocsparse_direction_NS_24const_host_device_scalarIT1_EES1_PKS1_PKT2_SA_S7_PKT4_PKT5_S5_PT6_21rocsparse_index_base_b.has_recursion, 0
	.set _ZN9rocsparseL18bsrxmvn_4x4_kernelILj128ELj4EflifffEEvT3_20rocsparse_direction_NS_24const_host_device_scalarIT1_EES1_PKS1_PKT2_SA_S7_PKT4_PKT5_S5_PT6_21rocsparse_index_base_b.has_indirect_call, 0
	.section	.AMDGPU.csdata,"",@progbits
; Kernel info:
; codeLenInByte = 3800
; TotalNumSgprs: 20
; NumVgprs: 86
; ScratchSize: 0
; MemoryBound: 0
; FloatMode: 240
; IeeeMode: 1
; LDSByteSize: 0 bytes/workgroup (compile time only)
; SGPRBlocks: 0
; VGPRBlocks: 5
; NumSGPRsForWavesPerEU: 20
; NumVGPRsForWavesPerEU: 86
; NamedBarCnt: 0
; Occupancy: 10
; WaveLimiterHint : 1
; COMPUTE_PGM_RSRC2:SCRATCH_EN: 0
; COMPUTE_PGM_RSRC2:USER_SGPR: 2
; COMPUTE_PGM_RSRC2:TRAP_HANDLER: 0
; COMPUTE_PGM_RSRC2:TGID_X_EN: 1
; COMPUTE_PGM_RSRC2:TGID_Y_EN: 0
; COMPUTE_PGM_RSRC2:TGID_Z_EN: 0
; COMPUTE_PGM_RSRC2:TIDIG_COMP_CNT: 0
	.section	.text._ZN9rocsparseL18bsrxmvn_4x4_kernelILj128ELj8EflifffEEvT3_20rocsparse_direction_NS_24const_host_device_scalarIT1_EES1_PKS1_PKT2_SA_S7_PKT4_PKT5_S5_PT6_21rocsparse_index_base_b,"axG",@progbits,_ZN9rocsparseL18bsrxmvn_4x4_kernelILj128ELj8EflifffEEvT3_20rocsparse_direction_NS_24const_host_device_scalarIT1_EES1_PKS1_PKT2_SA_S7_PKT4_PKT5_S5_PT6_21rocsparse_index_base_b,comdat
	.globl	_ZN9rocsparseL18bsrxmvn_4x4_kernelILj128ELj8EflifffEEvT3_20rocsparse_direction_NS_24const_host_device_scalarIT1_EES1_PKS1_PKT2_SA_S7_PKT4_PKT5_S5_PT6_21rocsparse_index_base_b ; -- Begin function _ZN9rocsparseL18bsrxmvn_4x4_kernelILj128ELj8EflifffEEvT3_20rocsparse_direction_NS_24const_host_device_scalarIT1_EES1_PKS1_PKT2_SA_S7_PKT4_PKT5_S5_PT6_21rocsparse_index_base_b
	.p2align	8
	.type	_ZN9rocsparseL18bsrxmvn_4x4_kernelILj128ELj8EflifffEEvT3_20rocsparse_direction_NS_24const_host_device_scalarIT1_EES1_PKS1_PKT2_SA_S7_PKT4_PKT5_S5_PT6_21rocsparse_index_base_b,@function
_ZN9rocsparseL18bsrxmvn_4x4_kernelILj128ELj8EflifffEEvT3_20rocsparse_direction_NS_24const_host_device_scalarIT1_EES1_PKS1_PKT2_SA_S7_PKT4_PKT5_S5_PT6_21rocsparse_index_base_b: ; @_ZN9rocsparseL18bsrxmvn_4x4_kernelILj128ELj8EflifffEEvT3_20rocsparse_direction_NS_24const_host_device_scalarIT1_EES1_PKS1_PKT2_SA_S7_PKT4_PKT5_S5_PT6_21rocsparse_index_base_b
; %bb.0:
	s_clause 0x2
	s_load_b64 s[16:17], s[0:1], 0x58
	s_load_b64 s[12:13], s[0:1], 0x8
	;; [unrolled: 1-line block ×3, first 2 shown]
	s_wait_kmcnt 0x0
	s_bitcmp1_b32 s17, 0
	s_cselect_b32 s2, -1, 0
	s_delay_alu instid0(SALU_CYCLE_1)
	s_and_b32 vcc_lo, exec_lo, s2
	s_xor_b32 s2, s2, -1
	s_cbranch_vccnz .LBB21_2
; %bb.1:
	s_load_b32 s12, s[12:13], 0x0
.LBB21_2:
	s_and_not1_b32 vcc_lo, exec_lo, s2
	s_cbranch_vccnz .LBB21_4
; %bb.3:
	s_load_b32 s14, s[14:15], 0x0
.LBB21_4:
	s_wait_kmcnt 0x0
	s_cmp_neq_f32 s12, 0
	s_mov_b32 s6, 0
	s_cselect_b32 s2, -1, 0
	s_cmp_neq_f32 s14, 1.0
	s_cselect_b32 s3, -1, 0
	s_delay_alu instid0(SALU_CYCLE_1) | instskip(NEXT) | instid1(SALU_CYCLE_1)
	s_or_b32 s2, s2, s3
	s_and_not1_b32 vcc_lo, exec_lo, s2
	s_cbranch_vccnz .LBB21_10
; %bb.5:
	s_clause 0x1
	s_load_b64 s[4:5], s[0:1], 0x18
	s_load_b64 s[2:3], s[0:1], 0x0
	s_bfe_u32 s7, ttmp6, 0x4000c
	s_and_b32 s8, ttmp6, 15
	s_add_co_i32 s7, s7, 1
	s_getreg_b32 s9, hwreg(HW_REG_IB_STS2, 6, 4)
	s_mul_i32 s7, ttmp9, s7
	v_lshrrev_b32_e32 v1, 3, v0
	s_add_co_i32 s8, s8, s7
	s_cmp_eq_u32 s9, 0
	s_cselect_b32 s7, ttmp9, s8
	s_delay_alu instid0(VALU_DEP_1) | instid1(SALU_CYCLE_1)
	v_lshl_or_b32 v2, s7, 4, v1
	s_wait_kmcnt 0x0
	s_cmp_lg_u64 s[4:5], 0
	s_cbranch_scc0 .LBB21_11
; %bb.6:
	s_load_b32 s6, s[0:1], 0x10
	s_mov_b32 s7, 0
                                        ; implicit-def: $vgpr1
	s_wait_kmcnt 0x0
	v_cmp_gt_i32_e32 vcc_lo, s6, v2
	s_mov_b32 s6, 0
	s_and_saveexec_b32 s8, vcc_lo
	s_delay_alu instid0(SALU_CYCLE_1)
	s_xor_b32 s8, exec_lo, s8
	s_cbranch_execz .LBB21_8
; %bb.7:
	global_load_b32 v1, v2, s[4:5] scale_offset
	s_mov_b32 s6, exec_lo
	s_wait_loadcnt 0x0
	v_subrev_nc_u32_e32 v1, s16, v1
.LBB21_8:
	s_or_b32 exec_lo, exec_lo, s8
	s_delay_alu instid0(SALU_CYCLE_1)
	s_and_b32 vcc_lo, exec_lo, s7
	s_cbranch_vccz .LBB21_12
.LBB21_9:
	v_cmp_gt_i32_e32 vcc_lo, s2, v2
	s_and_not1_b32 s2, s6, exec_lo
	s_and_b32 s4, vcc_lo, exec_lo
	s_delay_alu instid0(SALU_CYCLE_1) | instskip(NEXT) | instid1(SALU_CYCLE_1)
	s_or_b32 s6, s2, s4
	s_and_saveexec_b32 s2, s6
	s_cbranch_execnz .LBB21_13
.LBB21_10:
	s_sendmsg sendmsg(MSG_DEALLOC_VGPRS)
	s_endpgm
.LBB21_11:
                                        ; implicit-def: $vgpr1
	s_cbranch_execnz .LBB21_9
.LBB21_12:
	s_delay_alu instid0(VALU_DEP_1)
	v_mov_b32_e32 v2, v1
	s_and_saveexec_b32 s2, s6
	s_cbranch_execz .LBB21_10
.LBB21_13:
	s_load_b256 s[4:11], s[0:1], 0x20
	s_mov_b32 s17, 0
	v_dual_mov_b32 v1, 0 :: v_dual_bitop2_b32 v0, 7, v0 bitop3:0x40
	s_wait_kmcnt 0x0
	s_cmp_eq_u64 s[6:7], 0
	global_load_b64 v[14:15], v2, s[4:5] scale_offset
	s_cselect_b32 vcc_lo, -1, 0
	v_ashrrev_i32_e32 v3, 31, v2
	s_cmp_eq_u32 s3, 1
	s_delay_alu instid0(VALU_DEP_1) | instskip(NEXT) | instid1(VALU_DEP_1)
	v_lshlrev_b64_e32 v[4:5], 3, v[2:3]
	v_add_nc_u64_e32 v[6:7], s[4:5], v[4:5]
	v_add_nc_u64_e32 v[4:5], s[6:7], v[4:5]
	s_wait_xcnt 0x0
	s_load_b64 s[4:5], s[0:1], 0x40
	s_delay_alu instid0(VALU_DEP_2) | instskip(NEXT) | instid1(VALU_DEP_1)
	v_add_nc_u64_e32 v[6:7], 8, v[6:7]
	v_dual_cndmask_b32 v5, v5, v7 :: v_dual_cndmask_b32 v4, v4, v6
	global_load_b64 v[6:7], v[4:5], off
	s_wait_loadcnt 0x1
	s_wait_xcnt 0x0
	v_sub_nc_u64_e64 v[4:5], v[14:15], s[16:17]
	s_delay_alu instid0(VALU_DEP_1) | instskip(NEXT) | instid1(VALU_DEP_1)
	v_add_nc_u64_e32 v[4:5], v[4:5], v[0:1]
	v_lshlrev_b64_e32 v[8:9], 6, v[4:5]
	s_delay_alu instid0(VALU_DEP_1) | instskip(SKIP_2) | instid1(VALU_DEP_1)
	v_add_nc_u64_e32 v[8:9], s[10:11], v[8:9]
	s_wait_loadcnt 0x0
	v_sub_nc_u64_e64 v[6:7], v[6:7], s[16:17]
	v_cmp_lt_i64_e64 s2, v[4:5], v[6:7]
	s_cbranch_scc1 .LBB21_25
; %bb.14:
	v_dual_mov_b32 v11, v1 :: v_dual_mov_b32 v10, v1
	v_dual_mov_b32 v13, v1 :: v_dual_mov_b32 v12, v1
	s_and_saveexec_b32 s3, s2
	s_cbranch_execz .LBB21_24
; %bb.15:
	v_dual_mov_b32 v11, v1 :: v_dual_bitop2_b32 v10, 8, v0 bitop3:0x54
	v_sub_nc_u64_e32 v[12:13], s[16:17], v[0:1]
	v_not_b32_e32 v17, v15
	v_not_b32_e32 v16, v14
	v_mov_b64_e32 v[18:19], v[8:9]
	v_sub_nc_u64_e64 v[10:11], v[10:11], s[16:17]
	s_delay_alu instid0(VALU_DEP_3) | instskip(SKIP_1) | instid1(VALU_DEP_3)
	v_add_nc_u64_e32 v[12:13], v[12:13], v[16:17]
	v_mov_b64_e32 v[16:17], v[4:5]
	v_add_nc_u64_e32 v[10:11], v[10:11], v[14:15]
	s_delay_alu instid0(VALU_DEP_1) | instskip(NEXT) | instid1(VALU_DEP_1)
	v_max_i64 v[10:11], v[10:11], v[6:7]
	v_add_nc_u64_e32 v[20:21], v[12:13], v[10:11]
	s_delay_alu instid0(VALU_DEP_1) | instskip(NEXT) | instid1(VALU_DEP_1)
	v_dual_mov_b32 v13, 0 :: v_dual_bitop2_b32 v12, 24, v20 bitop3:0x40
	v_dual_mov_b32 v10, v13 :: v_dual_mov_b32 v11, v13
	s_delay_alu instid0(VALU_DEP_2)
	v_cmp_ne_u64_e32 vcc_lo, 24, v[12:13]
	v_mov_b32_e32 v12, v13
	s_and_saveexec_b32 s6, vcc_lo
	s_cbranch_execz .LBB21_19
; %bb.16:
	v_dual_lshrrev_b32 v3, 3, v20 :: v_dual_mov_b32 v11, 0
	v_mov_b64_e32 v[18:19], v[8:9]
	v_mov_b64_e32 v[16:17], v[4:5]
	v_lshl_add_u64 v[22:23], v[4:5], 2, s[8:9]
	s_delay_alu instid0(VALU_DEP_4) | instskip(SKIP_1) | instid1(VALU_DEP_1)
	v_dual_mov_b32 v12, v11 :: v_dual_add_nc_u32 v3, 1, v3
	s_mov_b32 s7, 0
	v_dual_mov_b32 v13, v11 :: v_dual_bitop2_b32 v10, 3, v3 bitop3:0x40
	s_delay_alu instid0(VALU_DEP_1)
	v_sub_nc_u64_e32 v[24:25], 0, v[10:11]
	v_mov_b32_e32 v10, v11
.LBB21_17:                              ; =>This Inner Loop Header: Depth=1
	global_load_b32 v3, v[22:23], off
	s_clause 0x3
	global_load_b128 v[26:29], v[18:19], off offset:16
	global_load_b128 v[30:33], v[18:19], off
	global_load_b128 v[34:37], v[18:19], off offset:48
	global_load_b128 v[38:41], v[18:19], off offset:32
	v_add_nc_u64_e32 v[24:25], 1, v[24:25]
	s_wait_xcnt 0x0
	v_add_nc_u64_e32 v[18:19], 0x200, v[18:19]
	v_add_nc_u64_e32 v[16:17], 8, v[16:17]
	;; [unrolled: 1-line block ×3, first 2 shown]
	s_delay_alu instid0(VALU_DEP_4)
	v_cmp_eq_u64_e32 vcc_lo, 0, v[24:25]
	s_or_b32 s7, vcc_lo, s7
	s_wait_loadcnt 0x4
	v_subrev_nc_u32_e32 v3, s16, v3
	s_wait_loadcnt 0x0
	v_dual_mov_b32 v49, v34 :: v_dual_mov_b32 v48, v38
	v_dual_mov_b32 v34, v39 :: v_dual_mov_b32 v38, v40
	s_delay_alu instid0(VALU_DEP_3) | instskip(SKIP_2) | instid1(VALU_DEP_3)
	v_dual_mov_b32 v39, v36 :: v_dual_lshlrev_b32 v42, 2, v3
	v_dual_mov_b32 v46, v30 :: v_dual_mov_b32 v47, v26
	v_dual_mov_b32 v26, v31 :: v_dual_mov_b32 v30, v32
	v_dual_ashrrev_i32 v43, 31, v42 :: v_dual_mov_b32 v31, v28
	v_dual_mov_b32 v28, v33 :: v_dual_mov_b32 v36, v41
	s_wait_kmcnt 0x0
	s_delay_alu instid0(VALU_DEP_2) | instskip(SKIP_4) | instid1(VALU_DEP_2)
	v_lshl_add_u64 v[42:43], v[42:43], 2, s[4:5]
	global_load_b128 v[42:45], v[42:43], off
	s_wait_loadcnt 0x0
	v_pk_fma_f32 v[12:13], v[46:47], v[42:43], v[12:13] op_sel_hi:[1,0,1]
	v_pk_fma_f32 v[10:11], v[48:49], v[42:43], v[10:11] op_sel_hi:[1,0,1]
	v_pk_fma_f32 v[12:13], v[26:27], v[42:43], v[12:13] op_sel:[0,1,0]
	s_delay_alu instid0(VALU_DEP_2) | instskip(SKIP_1) | instid1(VALU_DEP_3)
	v_pk_fma_f32 v[10:11], v[34:35], v[42:43], v[10:11] op_sel:[0,1,0]
	v_mov_b32_e32 v26, v45
	v_pk_fma_f32 v[12:13], v[30:31], v[44:45], v[12:13] op_sel_hi:[1,0,1]
	s_delay_alu instid0(VALU_DEP_3) | instskip(NEXT) | instid1(VALU_DEP_2)
	v_pk_fma_f32 v[10:11], v[38:39], v[44:45], v[10:11] op_sel_hi:[1,0,1]
	v_pk_fma_f32 v[12:13], v[28:29], v[26:27], v[12:13] op_sel_hi:[1,0,1]
	s_delay_alu instid0(VALU_DEP_2)
	v_pk_fma_f32 v[10:11], v[36:37], v[26:27], v[10:11] op_sel_hi:[1,0,1]
	s_and_not1_b32 exec_lo, exec_lo, s7
	s_cbranch_execnz .LBB21_17
; %bb.18:
	s_or_b32 exec_lo, exec_lo, s7
.LBB21_19:
	s_delay_alu instid0(SALU_CYCLE_1) | instskip(NEXT) | instid1(SALU_CYCLE_1)
	s_or_b32 exec_lo, exec_lo, s6
	s_mov_b32 s6, exec_lo
	v_cmpx_lt_u64_e32 23, v[20:21]
	s_cbranch_execz .LBB21_23
; %bb.20:
	v_lshl_add_u64 v[20:21], v[16:17], 2, s[8:9]
	s_mov_b32 s7, 0
	s_delay_alu instid0(VALU_DEP_1)
	v_add_nc_u64_e32 v[20:21], 64, v[20:21]
.LBB21_21:                              ; =>This Inner Loop Header: Depth=1
	s_clause 0x3
	global_load_b128 v[22:25], v[18:19], off
	global_load_b128 v[26:29], v[18:19], off offset:16
	global_load_b128 v[30:33], v[18:19], off offset:32
	;; [unrolled: 1-line block ×3, first 2 shown]
	s_clause 0x1
	global_load_b32 v3, v[20:21], off offset:-64
	global_load_b32 v76, v[20:21], off offset:-32
	s_clause 0x5
	global_load_b128 v[38:41], v[18:19], off offset:512
	global_load_b128 v[42:45], v[18:19], off offset:528
	;; [unrolled: 1-line block ×6, first 2 shown]
	s_clause 0x1
	global_load_b32 v84, v[20:21], off
	global_load_b32 v85, v[20:21], off offset:32
	s_clause 0x2
	global_load_b128 v[62:65], v[18:19], off offset:1072
	global_load_b128 v[66:69], v[18:19], off offset:1056
	;; [unrolled: 1-line block ×3, first 2 shown]
	v_add_nc_u64_e32 v[16:17], 32, v[16:17]
	s_wait_xcnt 0x3
	v_add_nc_u64_e32 v[20:21], 0x80, v[20:21]
	s_delay_alu instid0(VALU_DEP_2)
	v_cmp_ge_i64_e32 vcc_lo, v[16:17], v[6:7]
	s_or_b32 s7, vcc_lo, s7
	s_wait_loadcnt 0xf
	v_dual_mov_b32 v74, v22 :: v_dual_mov_b32 v75, v26
	s_wait_loadcnt 0xd
	v_dual_mov_b32 v80, v30 :: v_dual_mov_b32 v81, v34
	s_wait_loadcnt 0xc
	v_subrev_nc_u32_e32 v3, s16, v3
	s_wait_loadcnt 0xb
	v_subrev_nc_u32_e32 v30, s16, v76
	v_dual_mov_b32 v26, v23 :: v_dual_mov_b32 v78, v24
	v_dual_mov_b32 v79, v28 :: v_dual_mov_b32 v28, v25
	s_delay_alu instid0(VALU_DEP_3) | instskip(SKIP_3) | instid1(VALU_DEP_3)
	v_dual_lshlrev_b32 v22, 2, v3 :: v_dual_lshlrev_b32 v30, 2, v30
	s_wait_loadcnt 0x4
	v_subrev_nc_u32_e32 v3, s16, v84
	v_dual_mov_b32 v34, v31 :: v_dual_mov_b32 v82, v32
	v_ashrrev_i32_e32 v23, 31, v22
	s_wait_loadcnt 0x3
	v_subrev_nc_u32_e32 v84, s16, v85
	v_dual_ashrrev_i32 v31, 31, v30 :: v_dual_mov_b32 v83, v36
	v_mov_b32_e32 v36, v33
	s_wait_kmcnt 0x0
	v_lshl_add_u64 v[22:23], v[22:23], 2, s[4:5]
	v_lshlrev_b32_e32 v84, 2, v84
	v_lshl_add_u64 v[30:31], v[30:31], 2, s[4:5]
	global_load_b128 v[22:25], v[22:23], off
	v_ashrrev_i32_e32 v85, 31, v84
	global_load_b128 v[30:33], v[30:31], off
	s_wait_loadcnt 0x1
	v_pk_fma_f32 v[80:81], v[80:81], v[22:23], v[10:11] op_sel_hi:[1,0,1]
	v_lshlrev_b32_e32 v10, 2, v3
	v_pk_fma_f32 v[12:13], v[74:75], v[22:23], v[12:13] op_sel_hi:[1,0,1]
	global_load_b128 v[74:77], v[18:19], off offset:1568
	v_ashrrev_i32_e32 v11, 31, v10
	v_pk_fma_f32 v[12:13], v[26:27], v[22:23], v[12:13] op_sel:[0,1,0]
	v_pk_fma_f32 v[22:23], v[34:35], v[22:23], v[80:81] op_sel:[0,1,0]
	s_delay_alu instid0(VALU_DEP_3) | instskip(NEXT) | instid1(VALU_DEP_3)
	v_lshl_add_u64 v[10:11], v[10:11], 2, s[4:5]
	v_pk_fma_f32 v[26:27], v[78:79], v[24:25], v[12:13] op_sel_hi:[1,0,1]
	v_mov_b32_e32 v78, v25
	s_delay_alu instid0(VALU_DEP_4)
	v_pk_fma_f32 v[34:35], v[82:83], v[24:25], v[22:23] op_sel_hi:[1,0,1]
	global_load_b128 v[22:25], v[18:19], off offset:1552
	global_load_b128 v[10:13], v[10:11], off
	v_lshl_add_u64 v[82:83], v[84:85], 2, s[4:5]
	v_pk_fma_f32 v[80:81], v[28:29], v[78:79], v[26:27] op_sel_hi:[1,0,1]
	global_load_b128 v[26:29], v[18:19], off offset:1584
	v_pk_fma_f32 v[78:79], v[36:37], v[78:79], v[34:35] op_sel_hi:[1,0,1]
	s_wait_xcnt 0x0
	v_add_nc_u64_e32 v[18:19], 0x800, v[18:19]
	global_load_b128 v[34:37], v[82:83], off
	s_wait_xcnt 0x0
	v_dual_mov_b32 v82, v38 :: v_dual_mov_b32 v83, v42
	v_dual_mov_b32 v42, v39 :: v_dual_mov_b32 v38, v40
	;; [unrolled: 1-line block ×4, first 2 shown]
	v_mov_b32_e32 v50, v47
	s_wait_loadcnt 0x5
	v_pk_fma_f32 v[46:47], v[82:83], v[30:31], v[80:81] op_sel_hi:[1,0,1]
	s_delay_alu instid0(VALU_DEP_3) | instskip(SKIP_1) | instid1(VALU_DEP_3)
	v_pk_fma_f32 v[40:41], v[40:41], v[30:31], v[78:79] op_sel_hi:[1,0,1]
	v_dual_mov_b32 v78, v48 :: v_dual_mov_b32 v79, v52
	v_pk_fma_f32 v[42:43], v[42:43], v[30:31], v[46:47] op_sel:[0,1,0]
	v_mov_b32_e32 v52, v49
	s_delay_alu instid0(VALU_DEP_4) | instskip(SKIP_1) | instid1(VALU_DEP_4)
	v_pk_fma_f32 v[30:31], v[50:51], v[30:31], v[40:41] op_sel:[0,1,0]
	v_dual_mov_b32 v41, v58 :: v_dual_mov_b32 v46, v33
	v_pk_fma_f32 v[38:39], v[38:39], v[32:33], v[42:43] op_sel_hi:[1,0,1]
	v_mov_b32_e32 v40, v54
	s_delay_alu instid0(VALU_DEP_4) | instskip(SKIP_3) | instid1(VALU_DEP_4)
	v_pk_fma_f32 v[30:31], v[78:79], v[32:33], v[30:31] op_sel_hi:[1,0,1]
	v_dual_mov_b32 v58, v55 :: v_dual_mov_b32 v32, v66
	v_dual_mov_b32 v33, v62 :: v_dual_mov_b32 v42, v56
	v_pk_fma_f32 v[38:39], v[44:45], v[46:47], v[38:39] op_sel_hi:[1,0,1]
	v_pk_fma_f32 v[30:31], v[52:53], v[46:47], v[30:31] op_sel_hi:[1,0,1]
	v_dual_mov_b32 v43, v60 :: v_dual_mov_b32 v62, v67
	v_mov_b32_e32 v60, v57
	s_wait_loadcnt 0x2
	v_pk_fma_f32 v[38:39], v[40:41], v[10:11], v[38:39] op_sel_hi:[1,0,1]
	v_pk_fma_f32 v[30:31], v[32:33], v[10:11], v[30:31] op_sel_hi:[1,0,1]
	v_dual_mov_b32 v32, v68 :: v_dual_mov_b32 v33, v64
	v_mov_b32_e32 v64, v69
	s_delay_alu instid0(VALU_DEP_4) | instskip(NEXT) | instid1(VALU_DEP_4)
	v_pk_fma_f32 v[38:39], v[58:59], v[10:11], v[38:39] op_sel:[0,1,0]
	v_pk_fma_f32 v[10:11], v[62:63], v[10:11], v[30:31] op_sel:[0,1,0]
	v_dual_mov_b32 v30, v70 :: v_dual_mov_b32 v40, v13
	v_mov_b32_e32 v31, v22
	s_delay_alu instid0(VALU_DEP_4) | instskip(NEXT) | instid1(VALU_DEP_4)
	v_pk_fma_f32 v[38:39], v[42:43], v[12:13], v[38:39] op_sel_hi:[1,0,1]
	v_pk_fma_f32 v[10:11], v[32:33], v[12:13], v[10:11] op_sel_hi:[1,0,1]
	s_wait_loadcnt 0x1
	v_dual_mov_b32 v12, v74 :: v_dual_mov_b32 v13, v26
	v_mov_b32_e32 v22, v71
	v_pk_fma_f32 v[32:33], v[60:61], v[40:41], v[38:39] op_sel_hi:[1,0,1]
	v_pk_fma_f32 v[10:11], v[64:65], v[40:41], v[10:11] op_sel_hi:[1,0,1]
	v_dual_mov_b32 v38, v72 :: v_dual_mov_b32 v26, v75
	v_mov_b32_e32 v39, v24
	s_wait_loadcnt 0x0
	v_pk_fma_f32 v[30:31], v[30:31], v[34:35], v[32:33] op_sel_hi:[1,0,1]
	v_pk_fma_f32 v[10:11], v[12:13], v[34:35], v[10:11] op_sel_hi:[1,0,1]
	v_dual_mov_b32 v12, v76 :: v_dual_mov_b32 v13, v28
	v_mov_b32_e32 v24, v73
	s_delay_alu instid0(VALU_DEP_4) | instskip(NEXT) | instid1(VALU_DEP_4)
	v_pk_fma_f32 v[22:23], v[22:23], v[34:35], v[30:31] op_sel:[0,1,0]
	v_pk_fma_f32 v[10:11], v[26:27], v[34:35], v[10:11] op_sel:[0,1,0]
	v_dual_mov_b32 v28, v77 :: v_dual_mov_b32 v26, v37
	s_delay_alu instid0(VALU_DEP_3) | instskip(NEXT) | instid1(VALU_DEP_3)
	v_pk_fma_f32 v[22:23], v[38:39], v[36:37], v[22:23] op_sel_hi:[1,0,1]
	v_pk_fma_f32 v[10:11], v[12:13], v[36:37], v[10:11] op_sel_hi:[1,0,1]
	s_delay_alu instid0(VALU_DEP_2) | instskip(NEXT) | instid1(VALU_DEP_2)
	v_pk_fma_f32 v[12:13], v[24:25], v[26:27], v[22:23] op_sel_hi:[1,0,1]
	v_pk_fma_f32 v[10:11], v[28:29], v[26:27], v[10:11] op_sel_hi:[1,0,1]
	s_and_not1_b32 exec_lo, exec_lo, s7
	s_cbranch_execnz .LBB21_21
; %bb.22:
	s_or_b32 exec_lo, exec_lo, s7
.LBB21_23:
	s_delay_alu instid0(SALU_CYCLE_1)
	s_or_b32 exec_lo, exec_lo, s6
.LBB21_24:
	s_delay_alu instid0(SALU_CYCLE_1)
	s_or_b32 exec_lo, exec_lo, s3
	s_cbranch_execz .LBB21_26
	s_branch .LBB21_37
.LBB21_25:
                                        ; implicit-def: $vgpr11
                                        ; implicit-def: $vgpr13
.LBB21_26:
	v_dual_mov_b32 v11, 0 :: v_dual_mov_b32 v10, 0
	v_dual_mov_b32 v13, 0 :: v_dual_mov_b32 v12, 0
	s_and_saveexec_b32 s3, s2
	s_cbranch_execz .LBB21_36
; %bb.27:
	v_dual_mov_b32 v11, v1 :: v_dual_bitop2_b32 v10, 8, v0 bitop3:0x54
	v_sub_nc_u64_e32 v[12:13], s[16:17], v[0:1]
	s_delay_alu instid0(VALU_DEP_2) | instskip(NEXT) | instid1(VALU_DEP_1)
	v_sub_nc_u64_e64 v[10:11], v[10:11], s[16:17]
	v_add_nc_u64_e32 v[10:11], v[10:11], v[14:15]
	v_not_b32_e32 v15, v15
	v_not_b32_e32 v14, v14
	s_delay_alu instid0(VALU_DEP_1) | instskip(NEXT) | instid1(VALU_DEP_4)
	v_add_nc_u64_e32 v[12:13], v[12:13], v[14:15]
	v_max_i64 v[10:11], v[10:11], v[6:7]
	s_delay_alu instid0(VALU_DEP_1) | instskip(NEXT) | instid1(VALU_DEP_1)
	v_add_nc_u64_e32 v[14:15], v[12:13], v[10:11]
	v_dual_mov_b32 v13, 0 :: v_dual_bitop2_b32 v12, 24, v14 bitop3:0x40
	s_delay_alu instid0(VALU_DEP_1) | instskip(NEXT) | instid1(VALU_DEP_2)
	v_dual_mov_b32 v11, v13 :: v_dual_mov_b32 v10, v13
	v_cmp_ne_u64_e32 vcc_lo, 24, v[12:13]
	v_mov_b32_e32 v12, v13
	s_and_saveexec_b32 s2, vcc_lo
	s_cbranch_execz .LBB21_31
; %bb.28:
	v_dual_lshrrev_b32 v1, 3, v14 :: v_dual_mov_b32 v11, 0
	v_lshl_add_u64 v[16:17], v[4:5], 2, s[8:9]
	s_mov_b32 s6, 0
	s_delay_alu instid0(VALU_DEP_2) | instskip(NEXT) | instid1(VALU_DEP_1)
	v_dual_mov_b32 v12, v11 :: v_dual_add_nc_u32 v1, 1, v1
	v_dual_mov_b32 v13, v11 :: v_dual_bitop2_b32 v10, 3, v1 bitop3:0x40
	s_delay_alu instid0(VALU_DEP_1)
	v_sub_nc_u64_e32 v[18:19], 0, v[10:11]
	v_mov_b32_e32 v10, v11
.LBB21_29:                              ; =>This Inner Loop Header: Depth=1
	global_load_b32 v1, v[16:17], off
	v_add_nc_u64_e32 v[18:19], 1, v[18:19]
	v_add_nc_u64_e32 v[4:5], 8, v[4:5]
	s_wait_xcnt 0x0
	v_add_nc_u64_e32 v[16:17], 32, v[16:17]
	s_delay_alu instid0(VALU_DEP_3) | instskip(SKIP_3) | instid1(VALU_DEP_1)
	v_cmp_eq_u64_e32 vcc_lo, 0, v[18:19]
	s_or_b32 s6, vcc_lo, s6
	s_wait_loadcnt 0x0
	v_subrev_nc_u32_e32 v1, s16, v1
	v_lshlrev_b32_e32 v20, 2, v1
	s_delay_alu instid0(VALU_DEP_1) | instskip(SKIP_1) | instid1(VALU_DEP_1)
	v_ashrrev_i32_e32 v21, 31, v20
	s_wait_kmcnt 0x0
	v_lshl_add_u64 v[40:41], v[20:21], 2, s[4:5]
	s_clause 0x1
	global_load_b128 v[20:23], v[8:9], off offset:16
	global_load_b128 v[24:27], v[8:9], off
	global_load_b128 v[28:31], v[40:41], off
	s_clause 0x1
	global_load_b128 v[32:35], v[8:9], off offset:32
	global_load_b128 v[36:39], v[8:9], off offset:48
	s_wait_xcnt 0x0
	v_add_nc_u64_e32 v[8:9], 0x200, v[8:9]
	s_wait_loadcnt 0x2
	v_pk_fma_f32 v[12:13], v[24:25], v[28:29], v[12:13] op_sel_hi:[1,0,1]
	v_pk_fma_f32 v[10:11], v[26:27], v[28:29], v[10:11] op_sel_hi:[1,0,1]
	s_delay_alu instid0(VALU_DEP_2) | instskip(NEXT) | instid1(VALU_DEP_2)
	v_pk_fma_f32 v[12:13], v[20:21], v[28:29], v[12:13] op_sel:[0,1,0]
	v_pk_fma_f32 v[10:11], v[22:23], v[28:29], v[10:11] op_sel:[0,1,0]
	v_mov_b32_e32 v20, v31
	s_wait_loadcnt 0x1
	s_delay_alu instid0(VALU_DEP_3) | instskip(NEXT) | instid1(VALU_DEP_3)
	v_pk_fma_f32 v[12:13], v[32:33], v[30:31], v[12:13] op_sel_hi:[1,0,1]
	v_pk_fma_f32 v[10:11], v[34:35], v[30:31], v[10:11] op_sel_hi:[1,0,1]
	s_wait_loadcnt 0x0
	s_delay_alu instid0(VALU_DEP_2) | instskip(NEXT) | instid1(VALU_DEP_2)
	v_pk_fma_f32 v[12:13], v[36:37], v[20:21], v[12:13] op_sel_hi:[1,0,1]
	v_pk_fma_f32 v[10:11], v[38:39], v[20:21], v[10:11] op_sel_hi:[1,0,1]
	s_and_not1_b32 exec_lo, exec_lo, s6
	s_cbranch_execnz .LBB21_29
; %bb.30:
	s_or_b32 exec_lo, exec_lo, s6
.LBB21_31:
	s_delay_alu instid0(SALU_CYCLE_1) | instskip(NEXT) | instid1(SALU_CYCLE_1)
	s_or_b32 exec_lo, exec_lo, s2
	s_mov_b32 s2, exec_lo
	v_cmpx_lt_u64_e32 23, v[14:15]
	s_cbranch_execz .LBB21_35
; %bb.32:
	v_lshl_add_u64 v[14:15], v[4:5], 2, s[8:9]
	s_mov_b32 s6, 0
	s_delay_alu instid0(VALU_DEP_1)
	v_add_nc_u64_e32 v[14:15], 64, v[14:15]
.LBB21_33:                              ; =>This Inner Loop Header: Depth=1
	s_clause 0x2
	global_load_b32 v1, v[14:15], off offset:-64
	global_load_b32 v3, v[14:15], off offset:-32
	global_load_b32 v46, v[14:15], off
	s_clause 0x2
	global_load_b128 v[16:19], v[8:9], off offset:32
	global_load_b128 v[20:23], v[8:9], off offset:16
	global_load_b128 v[24:27], v[8:9], off
	global_load_b32 v66, v[14:15], off offset:32
	v_add_nc_u64_e32 v[4:5], 32, v[4:5]
	s_wait_xcnt 0x0
	v_add_nc_u64_e32 v[14:15], 0x80, v[14:15]
	s_delay_alu instid0(VALU_DEP_2)
	v_cmp_ge_i64_e32 vcc_lo, v[4:5], v[6:7]
	s_or_b32 s6, vcc_lo, s6
	s_wait_loadcnt 0x6
	v_subrev_nc_u32_e32 v1, s16, v1
	s_wait_loadcnt 0x5
	v_subrev_nc_u32_e32 v3, s16, v3
	s_delay_alu instid0(VALU_DEP_1) | instskip(SKIP_2) | instid1(VALU_DEP_1)
	v_dual_lshlrev_b32 v28, 2, v1 :: v_dual_lshlrev_b32 v40, 2, v3
	s_wait_loadcnt 0x4
	v_subrev_nc_u32_e32 v1, s16, v46
	v_dual_ashrrev_i32 v29, 31, v28 :: v_dual_lshlrev_b32 v60, 2, v1
	s_wait_loadcnt 0x0
	v_subrev_nc_u32_e32 v1, s16, v66
	v_ashrrev_i32_e32 v41, 31, v40
	s_wait_kmcnt 0x0
	v_lshl_add_u64 v[36:37], v[28:29], 2, s[4:5]
	global_load_b128 v[28:31], v[36:37], off
	global_load_b128 v[32:35], v[8:9], off offset:48
	v_lshlrev_b32_e32 v76, 2, v1
	v_lshl_add_u64 v[44:45], v[40:41], 2, s[4:5]
	s_clause 0x2
	global_load_b128 v[36:39], v[8:9], off offset:528
	global_load_b128 v[40:43], v[8:9], off offset:512
	global_load_b128 v[48:51], v[8:9], off offset:544
	v_ashrrev_i32_e32 v61, 31, v60
	global_load_b128 v[44:47], v[44:45], off
	s_clause 0x1
	global_load_b128 v[52:55], v[8:9], off offset:560
	global_load_b128 v[56:59], v[8:9], off offset:1040
	v_ashrrev_i32_e32 v77, 31, v76
	v_lshl_add_u64 v[64:65], v[60:61], 2, s[4:5]
	global_load_b128 v[60:63], v[8:9], off offset:1024
	v_lshl_add_u64 v[76:77], v[76:77], 2, s[4:5]
	global_load_b128 v[64:67], v[64:65], off
	s_clause 0x1
	global_load_b128 v[68:71], v[8:9], off offset:1072
	global_load_b128 v[72:75], v[8:9], off offset:1056
	s_wait_loadcnt 0xb
	v_pk_fma_f32 v[24:25], v[24:25], v[28:29], v[12:13] op_sel_hi:[1,0,1]
	v_pk_fma_f32 v[26:27], v[26:27], v[28:29], v[10:11] op_sel_hi:[1,0,1]
	global_load_b128 v[10:13], v[8:9], off offset:1552
	v_pk_fma_f32 v[78:79], v[20:21], v[28:29], v[24:25] op_sel:[0,1,0]
	v_pk_fma_f32 v[28:29], v[22:23], v[28:29], v[26:27] op_sel:[0,1,0]
	global_load_b128 v[20:23], v[8:9], off offset:1536
	global_load_b128 v[24:27], v[76:77], off
	s_wait_xcnt 0x0
	v_pk_fma_f32 v[76:77], v[16:17], v[30:31], v[78:79] op_sel_hi:[1,0,1]
	v_pk_fma_f32 v[28:29], v[18:19], v[30:31], v[28:29] op_sel_hi:[1,0,1]
	global_load_b128 v[16:19], v[8:9], off offset:1568
	v_mov_b32_e32 v30, v31
	s_wait_loadcnt 0xe
	s_delay_alu instid0(VALU_DEP_1)
	v_pk_fma_f32 v[32:33], v[32:33], v[30:31], v[76:77] op_sel_hi:[1,0,1]
	v_pk_fma_f32 v[34:35], v[34:35], v[30:31], v[28:29] op_sel_hi:[1,0,1]
	global_load_b128 v[28:31], v[8:9], off offset:1584
	s_wait_xcnt 0x0
	v_add_nc_u64_e32 v[8:9], 0x800, v[8:9]
	s_wait_loadcnt 0xb
	v_pk_fma_f32 v[32:33], v[40:41], v[44:45], v[32:33] op_sel_hi:[1,0,1]
	v_pk_fma_f32 v[34:35], v[42:43], v[44:45], v[34:35] op_sel_hi:[1,0,1]
	s_delay_alu instid0(VALU_DEP_2) | instskip(SKIP_1) | instid1(VALU_DEP_3)
	v_pk_fma_f32 v[32:33], v[36:37], v[44:45], v[32:33] op_sel:[0,1,0]
	v_mov_b32_e32 v36, v47
	v_pk_fma_f32 v[34:35], v[38:39], v[44:45], v[34:35] op_sel:[0,1,0]
	s_delay_alu instid0(VALU_DEP_3) | instskip(NEXT) | instid1(VALU_DEP_2)
	v_pk_fma_f32 v[32:33], v[48:49], v[46:47], v[32:33] op_sel_hi:[1,0,1]
	v_pk_fma_f32 v[34:35], v[50:51], v[46:47], v[34:35] op_sel_hi:[1,0,1]
	s_wait_loadcnt 0xa
	s_delay_alu instid0(VALU_DEP_2) | instskip(NEXT) | instid1(VALU_DEP_2)
	v_pk_fma_f32 v[32:33], v[52:53], v[36:37], v[32:33] op_sel_hi:[1,0,1]
	v_pk_fma_f32 v[34:35], v[54:55], v[36:37], v[34:35] op_sel_hi:[1,0,1]
	s_wait_loadcnt 0x7
	v_mov_b32_e32 v36, v67
	s_delay_alu instid0(VALU_DEP_3) | instskip(NEXT) | instid1(VALU_DEP_3)
	v_pk_fma_f32 v[32:33], v[60:61], v[64:65], v[32:33] op_sel_hi:[1,0,1]
	v_pk_fma_f32 v[34:35], v[62:63], v[64:65], v[34:35] op_sel_hi:[1,0,1]
	s_delay_alu instid0(VALU_DEP_2) | instskip(NEXT) | instid1(VALU_DEP_2)
	v_pk_fma_f32 v[32:33], v[56:57], v[64:65], v[32:33] op_sel:[0,1,0]
	v_pk_fma_f32 v[34:35], v[58:59], v[64:65], v[34:35] op_sel:[0,1,0]
	s_wait_loadcnt 0x5
	s_delay_alu instid0(VALU_DEP_2) | instskip(NEXT) | instid1(VALU_DEP_2)
	v_pk_fma_f32 v[32:33], v[72:73], v[66:67], v[32:33] op_sel_hi:[1,0,1]
	v_pk_fma_f32 v[34:35], v[74:75], v[66:67], v[34:35] op_sel_hi:[1,0,1]
	s_delay_alu instid0(VALU_DEP_2) | instskip(SKIP_1) | instid1(VALU_DEP_1)
	v_pk_fma_f32 v[32:33], v[68:69], v[36:37], v[32:33] op_sel_hi:[1,0,1]
	s_wait_loadcnt 0x2
	v_pk_fma_f32 v[20:21], v[20:21], v[24:25], v[32:33] op_sel_hi:[1,0,1]
	s_delay_alu instid0(VALU_DEP_1) | instskip(SKIP_3) | instid1(VALU_DEP_3)
	v_pk_fma_f32 v[10:11], v[10:11], v[24:25], v[20:21] op_sel:[0,1,0]
	v_mov_b32_e32 v20, v27
	v_pk_fma_f32 v[34:35], v[70:71], v[36:37], v[34:35] op_sel_hi:[1,0,1]
	s_wait_loadcnt 0x1
	v_pk_fma_f32 v[10:11], v[16:17], v[26:27], v[10:11] op_sel_hi:[1,0,1]
	s_delay_alu instid0(VALU_DEP_2) | instskip(NEXT) | instid1(VALU_DEP_1)
	v_pk_fma_f32 v[22:23], v[22:23], v[24:25], v[34:35] op_sel_hi:[1,0,1]
	v_pk_fma_f32 v[12:13], v[12:13], v[24:25], v[22:23] op_sel:[0,1,0]
	s_delay_alu instid0(VALU_DEP_1) | instskip(SKIP_2) | instid1(VALU_DEP_2)
	v_pk_fma_f32 v[16:17], v[18:19], v[26:27], v[12:13] op_sel_hi:[1,0,1]
	s_wait_loadcnt 0x0
	v_pk_fma_f32 v[12:13], v[28:29], v[20:21], v[10:11] op_sel_hi:[1,0,1]
	v_pk_fma_f32 v[10:11], v[30:31], v[20:21], v[16:17] op_sel_hi:[1,0,1]
	s_and_not1_b32 exec_lo, exec_lo, s6
	s_cbranch_execnz .LBB21_33
; %bb.34:
	s_or_b32 exec_lo, exec_lo, s6
.LBB21_35:
	s_delay_alu instid0(SALU_CYCLE_1)
	s_or_b32 exec_lo, exec_lo, s2
.LBB21_36:
	s_delay_alu instid0(SALU_CYCLE_1)
	s_or_b32 exec_lo, exec_lo, s3
.LBB21_37:
	v_mbcnt_lo_u32_b32 v1, -1, 0
	s_mov_b32 s2, -1
	s_delay_alu instid0(VALU_DEP_1) | instskip(NEXT) | instid1(VALU_DEP_1)
	v_xor_b32_e32 v3, 4, v1
	v_cmp_gt_i32_e32 vcc_lo, 32, v3
	v_cndmask_b32_e32 v3, v1, v3, vcc_lo
	s_delay_alu instid0(VALU_DEP_1)
	v_lshlrev_b32_e32 v3, 2, v3
	ds_bpermute_b32 v4, v3, v12
	ds_bpermute_b32 v5, v3, v13
	;; [unrolled: 1-line block ×4, first 2 shown]
	v_xor_b32_e32 v3, 2, v1
	s_delay_alu instid0(VALU_DEP_1) | instskip(SKIP_1) | instid1(VALU_DEP_1)
	v_cmp_gt_i32_e32 vcc_lo, 32, v3
	v_cndmask_b32_e32 v3, v1, v3, vcc_lo
	v_lshlrev_b32_e32 v3, 2, v3
	s_wait_dscnt 0x2
	v_pk_add_f32 v[4:5], v[12:13], v[4:5]
	s_wait_dscnt 0x0
	v_pk_add_f32 v[6:7], v[10:11], v[6:7]
	ds_bpermute_b32 v8, v3, v4
	ds_bpermute_b32 v9, v3, v5
	;; [unrolled: 1-line block ×4, first 2 shown]
	v_xor_b32_e32 v3, 1, v1
	s_delay_alu instid0(VALU_DEP_1) | instskip(SKIP_2) | instid1(VALU_DEP_2)
	v_cmp_gt_i32_e32 vcc_lo, 32, v3
	v_cndmask_b32_e32 v1, v1, v3, vcc_lo
	v_cmp_eq_u32_e32 vcc_lo, 7, v0
	v_lshlrev_b32_e32 v1, 2, v1
	s_wait_dscnt 0x2
	v_pk_add_f32 v[4:5], v[4:5], v[8:9]
	s_wait_dscnt 0x0
	v_pk_add_f32 v[6:7], v[6:7], v[10:11]
	ds_bpermute_b32 v10, v1, v4
	ds_bpermute_b32 v11, v1, v5
	;; [unrolled: 1-line block ×4, first 2 shown]
	s_and_b32 exec_lo, exec_lo, vcc_lo
	s_cbranch_execz .LBB21_10
; %bb.38:
	s_load_b64 s[0:1], s[0:1], 0x50
	s_wait_dscnt 0x2
	v_pk_add_f32 v[4:5], v[4:5], v[10:11]
	s_wait_dscnt 0x0
	v_pk_add_f32 v[0:1], v[6:7], v[8:9]
	v_lshlrev_b32_e32 v2, 2, v2
	s_cmp_eq_f32 s14, 0
	s_cbranch_scc0 .LBB21_40
; %bb.39:
	s_delay_alu instid0(VALU_DEP_1)
	v_ashrrev_i32_e32 v3, 31, v2
	v_pk_mul_f32 v[6:7], s[12:13], v[4:5] op_sel_hi:[0,1]
	v_pk_mul_f32 v[8:9], s[12:13], v[0:1] op_sel_hi:[0,1]
	s_mov_b32 s2, 0
	s_wait_kmcnt 0x0
	v_lshl_add_u64 v[10:11], v[2:3], 2, s[0:1]
	global_store_b128 v[10:11], v[6:9], off
.LBB21_40:
	s_and_not1_b32 vcc_lo, exec_lo, s2
	s_cbranch_vccnz .LBB21_10
; %bb.41:
	v_ashrrev_i32_e32 v3, 31, v2
	s_wait_kmcnt 0x0
	s_delay_alu instid0(VALU_DEP_1)
	v_lshl_add_u64 v[10:11], v[2:3], 2, s[0:1]
	v_pk_mul_f32 v[2:3], s[12:13], v[4:5] op_sel_hi:[0,1]
	v_pk_mul_f32 v[4:5], s[12:13], v[0:1] op_sel_hi:[0,1]
	global_load_b128 v[6:9], v[10:11], off
	s_wait_loadcnt 0x0
	v_pk_fma_f32 v[0:1], s[14:15], v[6:7], v[2:3] op_sel_hi:[0,1,1]
	v_pk_fma_f32 v[2:3], s[14:15], v[8:9], v[4:5] op_sel_hi:[0,1,1]
	global_store_b128 v[10:11], v[0:3], off
	s_sendmsg sendmsg(MSG_DEALLOC_VGPRS)
	s_endpgm
	.section	.rodata,"a",@progbits
	.p2align	6, 0x0
	.amdhsa_kernel _ZN9rocsparseL18bsrxmvn_4x4_kernelILj128ELj8EflifffEEvT3_20rocsparse_direction_NS_24const_host_device_scalarIT1_EES1_PKS1_PKT2_SA_S7_PKT4_PKT5_S5_PT6_21rocsparse_index_base_b
		.amdhsa_group_segment_fixed_size 0
		.amdhsa_private_segment_fixed_size 0
		.amdhsa_kernarg_size 96
		.amdhsa_user_sgpr_count 2
		.amdhsa_user_sgpr_dispatch_ptr 0
		.amdhsa_user_sgpr_queue_ptr 0
		.amdhsa_user_sgpr_kernarg_segment_ptr 1
		.amdhsa_user_sgpr_dispatch_id 0
		.amdhsa_user_sgpr_kernarg_preload_length 0
		.amdhsa_user_sgpr_kernarg_preload_offset 0
		.amdhsa_user_sgpr_private_segment_size 0
		.amdhsa_wavefront_size32 1
		.amdhsa_uses_dynamic_stack 0
		.amdhsa_enable_private_segment 0
		.amdhsa_system_sgpr_workgroup_id_x 1
		.amdhsa_system_sgpr_workgroup_id_y 0
		.amdhsa_system_sgpr_workgroup_id_z 0
		.amdhsa_system_sgpr_workgroup_info 0
		.amdhsa_system_vgpr_workitem_id 0
		.amdhsa_next_free_vgpr 86
		.amdhsa_next_free_sgpr 18
		.amdhsa_named_barrier_count 0
		.amdhsa_reserve_vcc 1
		.amdhsa_float_round_mode_32 0
		.amdhsa_float_round_mode_16_64 0
		.amdhsa_float_denorm_mode_32 3
		.amdhsa_float_denorm_mode_16_64 3
		.amdhsa_fp16_overflow 0
		.amdhsa_memory_ordered 1
		.amdhsa_forward_progress 1
		.amdhsa_inst_pref_size 31
		.amdhsa_round_robin_scheduling 0
		.amdhsa_exception_fp_ieee_invalid_op 0
		.amdhsa_exception_fp_denorm_src 0
		.amdhsa_exception_fp_ieee_div_zero 0
		.amdhsa_exception_fp_ieee_overflow 0
		.amdhsa_exception_fp_ieee_underflow 0
		.amdhsa_exception_fp_ieee_inexact 0
		.amdhsa_exception_int_div_zero 0
	.end_amdhsa_kernel
	.section	.text._ZN9rocsparseL18bsrxmvn_4x4_kernelILj128ELj8EflifffEEvT3_20rocsparse_direction_NS_24const_host_device_scalarIT1_EES1_PKS1_PKT2_SA_S7_PKT4_PKT5_S5_PT6_21rocsparse_index_base_b,"axG",@progbits,_ZN9rocsparseL18bsrxmvn_4x4_kernelILj128ELj8EflifffEEvT3_20rocsparse_direction_NS_24const_host_device_scalarIT1_EES1_PKS1_PKT2_SA_S7_PKT4_PKT5_S5_PT6_21rocsparse_index_base_b,comdat
.Lfunc_end21:
	.size	_ZN9rocsparseL18bsrxmvn_4x4_kernelILj128ELj8EflifffEEvT3_20rocsparse_direction_NS_24const_host_device_scalarIT1_EES1_PKS1_PKT2_SA_S7_PKT4_PKT5_S5_PT6_21rocsparse_index_base_b, .Lfunc_end21-_ZN9rocsparseL18bsrxmvn_4x4_kernelILj128ELj8EflifffEEvT3_20rocsparse_direction_NS_24const_host_device_scalarIT1_EES1_PKS1_PKT2_SA_S7_PKT4_PKT5_S5_PT6_21rocsparse_index_base_b
                                        ; -- End function
	.set _ZN9rocsparseL18bsrxmvn_4x4_kernelILj128ELj8EflifffEEvT3_20rocsparse_direction_NS_24const_host_device_scalarIT1_EES1_PKS1_PKT2_SA_S7_PKT4_PKT5_S5_PT6_21rocsparse_index_base_b.num_vgpr, 86
	.set _ZN9rocsparseL18bsrxmvn_4x4_kernelILj128ELj8EflifffEEvT3_20rocsparse_direction_NS_24const_host_device_scalarIT1_EES1_PKS1_PKT2_SA_S7_PKT4_PKT5_S5_PT6_21rocsparse_index_base_b.num_agpr, 0
	.set _ZN9rocsparseL18bsrxmvn_4x4_kernelILj128ELj8EflifffEEvT3_20rocsparse_direction_NS_24const_host_device_scalarIT1_EES1_PKS1_PKT2_SA_S7_PKT4_PKT5_S5_PT6_21rocsparse_index_base_b.numbered_sgpr, 18
	.set _ZN9rocsparseL18bsrxmvn_4x4_kernelILj128ELj8EflifffEEvT3_20rocsparse_direction_NS_24const_host_device_scalarIT1_EES1_PKS1_PKT2_SA_S7_PKT4_PKT5_S5_PT6_21rocsparse_index_base_b.num_named_barrier, 0
	.set _ZN9rocsparseL18bsrxmvn_4x4_kernelILj128ELj8EflifffEEvT3_20rocsparse_direction_NS_24const_host_device_scalarIT1_EES1_PKS1_PKT2_SA_S7_PKT4_PKT5_S5_PT6_21rocsparse_index_base_b.private_seg_size, 0
	.set _ZN9rocsparseL18bsrxmvn_4x4_kernelILj128ELj8EflifffEEvT3_20rocsparse_direction_NS_24const_host_device_scalarIT1_EES1_PKS1_PKT2_SA_S7_PKT4_PKT5_S5_PT6_21rocsparse_index_base_b.uses_vcc, 1
	.set _ZN9rocsparseL18bsrxmvn_4x4_kernelILj128ELj8EflifffEEvT3_20rocsparse_direction_NS_24const_host_device_scalarIT1_EES1_PKS1_PKT2_SA_S7_PKT4_PKT5_S5_PT6_21rocsparse_index_base_b.uses_flat_scratch, 0
	.set _ZN9rocsparseL18bsrxmvn_4x4_kernelILj128ELj8EflifffEEvT3_20rocsparse_direction_NS_24const_host_device_scalarIT1_EES1_PKS1_PKT2_SA_S7_PKT4_PKT5_S5_PT6_21rocsparse_index_base_b.has_dyn_sized_stack, 0
	.set _ZN9rocsparseL18bsrxmvn_4x4_kernelILj128ELj8EflifffEEvT3_20rocsparse_direction_NS_24const_host_device_scalarIT1_EES1_PKS1_PKT2_SA_S7_PKT4_PKT5_S5_PT6_21rocsparse_index_base_b.has_recursion, 0
	.set _ZN9rocsparseL18bsrxmvn_4x4_kernelILj128ELj8EflifffEEvT3_20rocsparse_direction_NS_24const_host_device_scalarIT1_EES1_PKS1_PKT2_SA_S7_PKT4_PKT5_S5_PT6_21rocsparse_index_base_b.has_indirect_call, 0
	.section	.AMDGPU.csdata,"",@progbits
; Kernel info:
; codeLenInByte = 3880
; TotalNumSgprs: 20
; NumVgprs: 86
; ScratchSize: 0
; MemoryBound: 0
; FloatMode: 240
; IeeeMode: 1
; LDSByteSize: 0 bytes/workgroup (compile time only)
; SGPRBlocks: 0
; VGPRBlocks: 5
; NumSGPRsForWavesPerEU: 20
; NumVGPRsForWavesPerEU: 86
; NamedBarCnt: 0
; Occupancy: 10
; WaveLimiterHint : 1
; COMPUTE_PGM_RSRC2:SCRATCH_EN: 0
; COMPUTE_PGM_RSRC2:USER_SGPR: 2
; COMPUTE_PGM_RSRC2:TRAP_HANDLER: 0
; COMPUTE_PGM_RSRC2:TGID_X_EN: 1
; COMPUTE_PGM_RSRC2:TGID_Y_EN: 0
; COMPUTE_PGM_RSRC2:TGID_Z_EN: 0
; COMPUTE_PGM_RSRC2:TIDIG_COMP_CNT: 0
	.section	.text._ZN9rocsparseL18bsrxmvn_4x4_kernelILj128ELj16EflifffEEvT3_20rocsparse_direction_NS_24const_host_device_scalarIT1_EES1_PKS1_PKT2_SA_S7_PKT4_PKT5_S5_PT6_21rocsparse_index_base_b,"axG",@progbits,_ZN9rocsparseL18bsrxmvn_4x4_kernelILj128ELj16EflifffEEvT3_20rocsparse_direction_NS_24const_host_device_scalarIT1_EES1_PKS1_PKT2_SA_S7_PKT4_PKT5_S5_PT6_21rocsparse_index_base_b,comdat
	.globl	_ZN9rocsparseL18bsrxmvn_4x4_kernelILj128ELj16EflifffEEvT3_20rocsparse_direction_NS_24const_host_device_scalarIT1_EES1_PKS1_PKT2_SA_S7_PKT4_PKT5_S5_PT6_21rocsparse_index_base_b ; -- Begin function _ZN9rocsparseL18bsrxmvn_4x4_kernelILj128ELj16EflifffEEvT3_20rocsparse_direction_NS_24const_host_device_scalarIT1_EES1_PKS1_PKT2_SA_S7_PKT4_PKT5_S5_PT6_21rocsparse_index_base_b
	.p2align	8
	.type	_ZN9rocsparseL18bsrxmvn_4x4_kernelILj128ELj16EflifffEEvT3_20rocsparse_direction_NS_24const_host_device_scalarIT1_EES1_PKS1_PKT2_SA_S7_PKT4_PKT5_S5_PT6_21rocsparse_index_base_b,@function
_ZN9rocsparseL18bsrxmvn_4x4_kernelILj128ELj16EflifffEEvT3_20rocsparse_direction_NS_24const_host_device_scalarIT1_EES1_PKS1_PKT2_SA_S7_PKT4_PKT5_S5_PT6_21rocsparse_index_base_b: ; @_ZN9rocsparseL18bsrxmvn_4x4_kernelILj128ELj16EflifffEEvT3_20rocsparse_direction_NS_24const_host_device_scalarIT1_EES1_PKS1_PKT2_SA_S7_PKT4_PKT5_S5_PT6_21rocsparse_index_base_b
; %bb.0:
	s_clause 0x2
	s_load_b64 s[16:17], s[0:1], 0x58
	s_load_b64 s[12:13], s[0:1], 0x8
	;; [unrolled: 1-line block ×3, first 2 shown]
	s_wait_kmcnt 0x0
	s_bitcmp1_b32 s17, 0
	s_cselect_b32 s2, -1, 0
	s_delay_alu instid0(SALU_CYCLE_1)
	s_and_b32 vcc_lo, exec_lo, s2
	s_xor_b32 s2, s2, -1
	s_cbranch_vccnz .LBB22_2
; %bb.1:
	s_load_b32 s12, s[12:13], 0x0
.LBB22_2:
	s_and_not1_b32 vcc_lo, exec_lo, s2
	s_cbranch_vccnz .LBB22_4
; %bb.3:
	s_load_b32 s14, s[14:15], 0x0
.LBB22_4:
	s_wait_kmcnt 0x0
	s_cmp_neq_f32 s12, 0
	s_mov_b32 s6, 0
	s_cselect_b32 s2, -1, 0
	s_cmp_neq_f32 s14, 1.0
	s_cselect_b32 s3, -1, 0
	s_delay_alu instid0(SALU_CYCLE_1) | instskip(NEXT) | instid1(SALU_CYCLE_1)
	s_or_b32 s2, s2, s3
	s_and_not1_b32 vcc_lo, exec_lo, s2
	s_cbranch_vccnz .LBB22_10
; %bb.5:
	s_clause 0x1
	s_load_b64 s[4:5], s[0:1], 0x18
	s_load_b64 s[2:3], s[0:1], 0x0
	s_bfe_u32 s7, ttmp6, 0x4000c
	s_and_b32 s8, ttmp6, 15
	s_add_co_i32 s7, s7, 1
	s_getreg_b32 s9, hwreg(HW_REG_IB_STS2, 6, 4)
	s_mul_i32 s7, ttmp9, s7
	v_lshrrev_b32_e32 v1, 4, v0
	s_add_co_i32 s8, s8, s7
	s_cmp_eq_u32 s9, 0
	s_cselect_b32 s7, ttmp9, s8
	s_delay_alu instid0(VALU_DEP_1) | instid1(SALU_CYCLE_1)
	v_lshl_or_b32 v2, s7, 3, v1
	s_wait_kmcnt 0x0
	s_cmp_lg_u64 s[4:5], 0
	s_cbranch_scc0 .LBB22_11
; %bb.6:
	s_load_b32 s6, s[0:1], 0x10
	s_mov_b32 s7, 0
                                        ; implicit-def: $vgpr1
	s_wait_kmcnt 0x0
	v_cmp_gt_i32_e32 vcc_lo, s6, v2
	s_mov_b32 s6, 0
	s_and_saveexec_b32 s8, vcc_lo
	s_delay_alu instid0(SALU_CYCLE_1)
	s_xor_b32 s8, exec_lo, s8
	s_cbranch_execz .LBB22_8
; %bb.7:
	global_load_b32 v1, v2, s[4:5] scale_offset
	s_mov_b32 s6, exec_lo
	s_wait_loadcnt 0x0
	v_subrev_nc_u32_e32 v1, s16, v1
.LBB22_8:
	s_or_b32 exec_lo, exec_lo, s8
	s_delay_alu instid0(SALU_CYCLE_1)
	s_and_b32 vcc_lo, exec_lo, s7
	s_cbranch_vccz .LBB22_12
.LBB22_9:
	v_cmp_gt_i32_e32 vcc_lo, s2, v2
	s_and_not1_b32 s2, s6, exec_lo
	s_and_b32 s4, vcc_lo, exec_lo
	s_delay_alu instid0(SALU_CYCLE_1) | instskip(NEXT) | instid1(SALU_CYCLE_1)
	s_or_b32 s6, s2, s4
	s_and_saveexec_b32 s2, s6
	s_cbranch_execnz .LBB22_13
.LBB22_10:
	s_sendmsg sendmsg(MSG_DEALLOC_VGPRS)
	s_endpgm
.LBB22_11:
                                        ; implicit-def: $vgpr1
	s_cbranch_execnz .LBB22_9
.LBB22_12:
	s_delay_alu instid0(VALU_DEP_1)
	v_mov_b32_e32 v2, v1
	s_and_saveexec_b32 s2, s6
	s_cbranch_execz .LBB22_10
.LBB22_13:
	s_load_b256 s[4:11], s[0:1], 0x20
	s_mov_b32 s17, 0
	v_dual_mov_b32 v1, 0 :: v_dual_bitop2_b32 v0, 15, v0 bitop3:0x40
	s_wait_kmcnt 0x0
	s_cmp_eq_u64 s[6:7], 0
	global_load_b64 v[12:13], v2, s[4:5] scale_offset
	s_cselect_b32 vcc_lo, -1, 0
	v_ashrrev_i32_e32 v3, 31, v2
	s_cmp_eq_u32 s3, 1
	s_delay_alu instid0(VALU_DEP_1) | instskip(NEXT) | instid1(VALU_DEP_1)
	v_lshlrev_b64_e32 v[4:5], 3, v[2:3]
	v_add_nc_u64_e32 v[6:7], s[4:5], v[4:5]
	v_add_nc_u64_e32 v[4:5], s[6:7], v[4:5]
	s_wait_xcnt 0x0
	s_load_b64 s[4:5], s[0:1], 0x40
	s_delay_alu instid0(VALU_DEP_2) | instskip(NEXT) | instid1(VALU_DEP_1)
	v_add_nc_u64_e32 v[6:7], 8, v[6:7]
	v_dual_cndmask_b32 v5, v5, v7 :: v_dual_cndmask_b32 v4, v4, v6
	global_load_b64 v[6:7], v[4:5], off
	s_wait_loadcnt 0x1
	s_wait_xcnt 0x0
	v_sub_nc_u64_e64 v[4:5], v[12:13], s[16:17]
	s_delay_alu instid0(VALU_DEP_1) | instskip(NEXT) | instid1(VALU_DEP_1)
	v_add_nc_u64_e32 v[4:5], v[4:5], v[0:1]
	v_lshlrev_b64_e32 v[8:9], 6, v[4:5]
	s_delay_alu instid0(VALU_DEP_1) | instskip(SKIP_2) | instid1(VALU_DEP_1)
	v_add_nc_u64_e32 v[8:9], s[10:11], v[8:9]
	s_wait_loadcnt 0x0
	v_sub_nc_u64_e64 v[6:7], v[6:7], s[16:17]
	v_cmp_lt_i64_e64 s2, v[4:5], v[6:7]
	s_cbranch_scc1 .LBB22_25
; %bb.14:
	v_dual_mov_b32 v19, v1 :: v_dual_mov_b32 v18, v1
	v_dual_mov_b32 v11, v1 :: v_dual_mov_b32 v10, v1
	s_and_saveexec_b32 s3, s2
	s_cbranch_execz .LBB22_24
; %bb.15:
	v_dual_mov_b32 v11, v1 :: v_dual_bitop2_b32 v10, 16, v0 bitop3:0x54
	v_sub_nc_u64_e32 v[14:15], s[16:17], v[0:1]
	v_not_b32_e32 v17, v13
	v_not_b32_e32 v16, v12
	v_mov_b64_e32 v[20:21], 0
	v_sub_nc_u64_e64 v[10:11], v[10:11], s[16:17]
	s_delay_alu instid0(VALU_DEP_3) | instskip(SKIP_1) | instid1(VALU_DEP_3)
	v_add_nc_u64_e32 v[14:15], v[14:15], v[16:17]
	v_mov_b64_e32 v[16:17], v[8:9]
	v_add_nc_u64_e32 v[10:11], v[10:11], v[12:13]
	s_delay_alu instid0(VALU_DEP_1) | instskip(NEXT) | instid1(VALU_DEP_1)
	v_max_i64 v[10:11], v[10:11], v[6:7]
	v_add_nc_u64_e32 v[22:23], v[14:15], v[10:11]
	v_mov_b32_e32 v18, 0
	v_mov_b64_e32 v[10:11], 0
	s_delay_alu instid0(VALU_DEP_2) | instskip(NEXT) | instid1(VALU_DEP_1)
	v_dual_mov_b32 v15, v18 :: v_dual_bitop2_b32 v14, 48, v22 bitop3:0x40
	v_cmp_ne_u64_e32 vcc_lo, 48, v[14:15]
	v_mov_b64_e32 v[14:15], v[4:5]
	s_and_saveexec_b32 s6, vcc_lo
	s_cbranch_execz .LBB22_19
; %bb.16:
	v_dual_lshrrev_b32 v3, 4, v22 :: v_dual_mov_b32 v11, v18
	v_mov_b64_e32 v[16:17], v[8:9]
	v_mov_b64_e32 v[14:15], v[4:5]
	v_lshl_add_u64 v[20:21], v[4:5], 2, s[8:9]
	s_delay_alu instid0(VALU_DEP_4) | instskip(SKIP_1) | instid1(VALU_DEP_1)
	v_dual_add_nc_u32 v3, 1, v3 :: v_dual_mov_b32 v19, v18
	s_mov_b32 s7, 0
	v_and_b32_e32 v10, 3, v3
	s_delay_alu instid0(VALU_DEP_1)
	v_sub_nc_u64_e32 v[24:25], 0, v[10:11]
	v_mov_b32_e32 v10, v18
.LBB22_17:                              ; =>This Inner Loop Header: Depth=1
	global_load_b32 v3, v[20:21], off
	s_clause 0x3
	global_load_b128 v[26:29], v[16:17], off offset:16
	global_load_b128 v[30:33], v[16:17], off
	global_load_b128 v[34:37], v[16:17], off offset:48
	global_load_b128 v[38:41], v[16:17], off offset:32
	v_add_nc_u64_e32 v[24:25], 1, v[24:25]
	s_wait_xcnt 0x0
	v_add_nc_u64_e32 v[16:17], 0x400, v[16:17]
	v_add_nc_u64_e32 v[14:15], 16, v[14:15]
	;; [unrolled: 1-line block ×3, first 2 shown]
	s_delay_alu instid0(VALU_DEP_4)
	v_cmp_eq_u64_e32 vcc_lo, 0, v[24:25]
	s_or_b32 s7, vcc_lo, s7
	s_wait_loadcnt 0x4
	v_subrev_nc_u32_e32 v3, s16, v3
	s_wait_loadcnt 0x0
	v_dual_mov_b32 v49, v34 :: v_dual_mov_b32 v48, v38
	v_dual_mov_b32 v34, v39 :: v_dual_mov_b32 v38, v40
	s_delay_alu instid0(VALU_DEP_3) | instskip(SKIP_2) | instid1(VALU_DEP_3)
	v_dual_mov_b32 v39, v36 :: v_dual_lshlrev_b32 v42, 2, v3
	v_dual_mov_b32 v46, v30 :: v_dual_mov_b32 v47, v26
	v_dual_mov_b32 v26, v31 :: v_dual_mov_b32 v30, v32
	v_dual_ashrrev_i32 v43, 31, v42 :: v_dual_mov_b32 v31, v28
	v_dual_mov_b32 v28, v33 :: v_dual_mov_b32 v36, v41
	s_wait_kmcnt 0x0
	s_delay_alu instid0(VALU_DEP_2) | instskip(SKIP_4) | instid1(VALU_DEP_2)
	v_lshl_add_u64 v[42:43], v[42:43], 2, s[4:5]
	global_load_b128 v[42:45], v[42:43], off
	s_wait_loadcnt 0x0
	v_pk_fma_f32 v[10:11], v[46:47], v[42:43], v[10:11] op_sel_hi:[1,0,1]
	v_pk_fma_f32 v[18:19], v[48:49], v[42:43], v[18:19] op_sel_hi:[1,0,1]
	v_pk_fma_f32 v[10:11], v[26:27], v[42:43], v[10:11] op_sel:[0,1,0]
	s_delay_alu instid0(VALU_DEP_2) | instskip(SKIP_1) | instid1(VALU_DEP_3)
	v_pk_fma_f32 v[18:19], v[34:35], v[42:43], v[18:19] op_sel:[0,1,0]
	v_mov_b32_e32 v26, v45
	v_pk_fma_f32 v[10:11], v[30:31], v[44:45], v[10:11] op_sel_hi:[1,0,1]
	s_delay_alu instid0(VALU_DEP_3) | instskip(NEXT) | instid1(VALU_DEP_2)
	v_pk_fma_f32 v[18:19], v[38:39], v[44:45], v[18:19] op_sel_hi:[1,0,1]
	v_pk_fma_f32 v[10:11], v[28:29], v[26:27], v[10:11] op_sel_hi:[1,0,1]
	s_delay_alu instid0(VALU_DEP_2)
	v_pk_fma_f32 v[18:19], v[36:37], v[26:27], v[18:19] op_sel_hi:[1,0,1]
	s_and_not1_b32 exec_lo, exec_lo, s7
	s_cbranch_execnz .LBB22_17
; %bb.18:
	s_or_b32 exec_lo, exec_lo, s7
	s_delay_alu instid0(VALU_DEP_1)
	v_mov_b64_e32 v[20:21], v[18:19]
.LBB22_19:
	s_or_b32 exec_lo, exec_lo, s6
	s_delay_alu instid0(SALU_CYCLE_1)
	s_mov_b32 s6, exec_lo
	v_cmpx_lt_u64_e32 47, v[22:23]
	s_cbranch_execz .LBB22_23
; %bb.20:
	v_lshl_add_u64 v[18:19], v[14:15], 2, s[8:9]
	s_mov_b32 s7, 0
	s_delay_alu instid0(VALU_DEP_1)
	v_add_nc_u64_e32 v[18:19], 0x80, v[18:19]
.LBB22_21:                              ; =>This Inner Loop Header: Depth=1
	s_clause 0x3
	global_load_b128 v[22:25], v[16:17], off
	global_load_b128 v[26:29], v[16:17], off offset:16
	global_load_b128 v[30:33], v[16:17], off offset:32
	;; [unrolled: 1-line block ×3, first 2 shown]
	s_clause 0x1
	global_load_b32 v3, v[18:19], off offset:-128
	global_load_b32 v76, v[18:19], off offset:-64
	s_clause 0x5
	global_load_b128 v[38:41], v[16:17], off offset:1024
	global_load_b128 v[42:45], v[16:17], off offset:1040
	;; [unrolled: 1-line block ×6, first 2 shown]
	s_clause 0x1
	global_load_b32 v84, v[18:19], off
	global_load_b32 v85, v[18:19], off offset:64
	s_clause 0x2
	global_load_b128 v[62:65], v[16:17], off offset:2096
	global_load_b128 v[66:69], v[16:17], off offset:2080
	;; [unrolled: 1-line block ×3, first 2 shown]
	v_add_nc_u64_e32 v[14:15], 64, v[14:15]
	s_wait_xcnt 0x3
	v_add_nc_u64_e32 v[18:19], 0x100, v[18:19]
	s_delay_alu instid0(VALU_DEP_2)
	v_cmp_ge_i64_e32 vcc_lo, v[14:15], v[6:7]
	s_or_b32 s7, vcc_lo, s7
	s_wait_loadcnt 0xf
	v_dual_mov_b32 v74, v22 :: v_dual_mov_b32 v75, v26
	s_wait_loadcnt 0xd
	v_dual_mov_b32 v80, v30 :: v_dual_mov_b32 v81, v34
	s_wait_loadcnt 0xc
	v_subrev_nc_u32_e32 v3, s16, v3
	s_wait_loadcnt 0xb
	v_subrev_nc_u32_e32 v30, s16, v76
	v_dual_mov_b32 v26, v23 :: v_dual_mov_b32 v78, v24
	v_dual_mov_b32 v79, v28 :: v_dual_mov_b32 v28, v25
	s_delay_alu instid0(VALU_DEP_3) | instskip(SKIP_3) | instid1(VALU_DEP_3)
	v_dual_lshlrev_b32 v22, 2, v3 :: v_dual_lshlrev_b32 v30, 2, v30
	s_wait_loadcnt 0x4
	v_subrev_nc_u32_e32 v3, s16, v84
	v_dual_mov_b32 v34, v31 :: v_dual_mov_b32 v82, v32
	v_ashrrev_i32_e32 v23, 31, v22
	s_wait_loadcnt 0x3
	v_subrev_nc_u32_e32 v84, s16, v85
	v_dual_ashrrev_i32 v31, 31, v30 :: v_dual_mov_b32 v83, v36
	v_mov_b32_e32 v36, v33
	s_wait_kmcnt 0x0
	v_lshl_add_u64 v[22:23], v[22:23], 2, s[4:5]
	v_lshlrev_b32_e32 v84, 2, v84
	v_lshl_add_u64 v[30:31], v[30:31], 2, s[4:5]
	global_load_b128 v[22:25], v[22:23], off
	v_ashrrev_i32_e32 v85, 31, v84
	global_load_b128 v[30:33], v[30:31], off
	s_wait_loadcnt 0x1
	v_pk_fma_f32 v[20:21], v[80:81], v[22:23], v[20:21] op_sel_hi:[1,0,1]
	v_lshlrev_b32_e32 v80, 2, v3
	v_pk_fma_f32 v[10:11], v[74:75], v[22:23], v[10:11] op_sel_hi:[1,0,1]
	global_load_b128 v[74:77], v[16:17], off offset:3104
	v_pk_fma_f32 v[20:21], v[34:35], v[22:23], v[20:21] op_sel:[0,1,0]
	v_ashrrev_i32_e32 v81, 31, v80
	v_pk_fma_f32 v[10:11], v[26:27], v[22:23], v[10:11] op_sel:[0,1,0]
	s_delay_alu instid0(VALU_DEP_3) | instskip(SKIP_1) | instid1(VALU_DEP_4)
	v_pk_fma_f32 v[34:35], v[82:83], v[24:25], v[20:21] op_sel_hi:[1,0,1]
	v_mov_b32_e32 v82, v25
	v_lshl_add_u64 v[80:81], v[80:81], 2, s[4:5]
	s_delay_alu instid0(VALU_DEP_4)
	v_pk_fma_f32 v[10:11], v[78:79], v[24:25], v[10:11] op_sel_hi:[1,0,1]
	s_clause 0x1
	global_load_b128 v[20:23], v[16:17], off offset:3088
	global_load_b128 v[24:27], v[16:17], off offset:3120
	s_wait_xcnt 0x0
	v_add_nc_u64_e32 v[16:17], 0x1000, v[16:17]
	global_load_b128 v[78:81], v[80:81], off
	v_pk_fma_f32 v[10:11], v[28:29], v[82:83], v[10:11] op_sel_hi:[1,0,1]
	v_lshl_add_u64 v[28:29], v[84:85], 2, s[4:5]
	v_pk_fma_f32 v[82:83], v[36:37], v[82:83], v[34:35] op_sel_hi:[1,0,1]
	global_load_b128 v[34:37], v[28:29], off
	s_wait_xcnt 0x0
	v_dual_mov_b32 v28, v38 :: v_dual_mov_b32 v29, v42
	v_dual_mov_b32 v42, v39 :: v_dual_mov_b32 v38, v40
	;; [unrolled: 1-line block ×4, first 2 shown]
	v_mov_b32_e32 v50, v47
	s_wait_loadcnt 0x5
	v_pk_fma_f32 v[10:11], v[28:29], v[30:31], v[10:11] op_sel_hi:[1,0,1]
	s_delay_alu instid0(VALU_DEP_3) | instskip(SKIP_1) | instid1(VALU_DEP_3)
	v_pk_fma_f32 v[28:29], v[40:41], v[30:31], v[82:83] op_sel_hi:[1,0,1]
	v_dual_mov_b32 v40, v48 :: v_dual_mov_b32 v41, v52
	v_pk_fma_f32 v[10:11], v[42:43], v[30:31], v[10:11] op_sel:[0,1,0]
	v_mov_b32_e32 v52, v49
	s_delay_alu instid0(VALU_DEP_4) | instskip(SKIP_1) | instid1(VALU_DEP_4)
	v_pk_fma_f32 v[28:29], v[50:51], v[30:31], v[28:29] op_sel:[0,1,0]
	v_dual_mov_b32 v31, v58 :: v_dual_mov_b32 v42, v33
	v_pk_fma_f32 v[10:11], v[38:39], v[32:33], v[10:11] op_sel_hi:[1,0,1]
	v_mov_b32_e32 v30, v54
	s_delay_alu instid0(VALU_DEP_4) | instskip(SKIP_3) | instid1(VALU_DEP_4)
	v_pk_fma_f32 v[28:29], v[40:41], v[32:33], v[28:29] op_sel_hi:[1,0,1]
	v_dual_mov_b32 v58, v55 :: v_dual_mov_b32 v32, v66
	v_dual_mov_b32 v33, v62 :: v_dual_mov_b32 v38, v56
	v_pk_fma_f32 v[10:11], v[44:45], v[42:43], v[10:11] op_sel_hi:[1,0,1]
	v_pk_fma_f32 v[28:29], v[52:53], v[42:43], v[28:29] op_sel_hi:[1,0,1]
	v_dual_mov_b32 v39, v60 :: v_dual_mov_b32 v62, v67
	v_mov_b32_e32 v60, v57
	s_wait_loadcnt 0x1
	v_pk_fma_f32 v[10:11], v[30:31], v[78:79], v[10:11] op_sel_hi:[1,0,1]
	v_pk_fma_f32 v[28:29], v[32:33], v[78:79], v[28:29] op_sel_hi:[1,0,1]
	v_dual_mov_b32 v30, v68 :: v_dual_mov_b32 v31, v64
	v_mov_b32_e32 v64, v69
	s_delay_alu instid0(VALU_DEP_4) | instskip(NEXT) | instid1(VALU_DEP_4)
	v_pk_fma_f32 v[10:11], v[58:59], v[78:79], v[10:11] op_sel:[0,1,0]
	v_pk_fma_f32 v[28:29], v[62:63], v[78:79], v[28:29] op_sel:[0,1,0]
	v_dual_mov_b32 v32, v70 :: v_dual_mov_b32 v40, v81
	v_mov_b32_e32 v33, v20
	s_delay_alu instid0(VALU_DEP_4) | instskip(NEXT) | instid1(VALU_DEP_4)
	v_pk_fma_f32 v[10:11], v[38:39], v[80:81], v[10:11] op_sel_hi:[1,0,1]
	v_pk_fma_f32 v[28:29], v[30:31], v[80:81], v[28:29] op_sel_hi:[1,0,1]
	v_dual_mov_b32 v30, v74 :: v_dual_mov_b32 v31, v24
	v_mov_b32_e32 v20, v71
	s_delay_alu instid0(VALU_DEP_4) | instskip(NEXT) | instid1(VALU_DEP_4)
	v_pk_fma_f32 v[10:11], v[60:61], v[40:41], v[10:11] op_sel_hi:[1,0,1]
	v_pk_fma_f32 v[28:29], v[64:65], v[40:41], v[28:29] op_sel_hi:[1,0,1]
	v_dual_mov_b32 v38, v72 :: v_dual_mov_b32 v24, v75
	v_mov_b32_e32 v39, v22
	s_wait_loadcnt 0x0
	v_pk_fma_f32 v[10:11], v[32:33], v[34:35], v[10:11] op_sel_hi:[1,0,1]
	v_pk_fma_f32 v[28:29], v[30:31], v[34:35], v[28:29] op_sel_hi:[1,0,1]
	v_dual_mov_b32 v30, v76 :: v_dual_mov_b32 v31, v26
	v_mov_b32_e32 v22, v73
	s_delay_alu instid0(VALU_DEP_4) | instskip(NEXT) | instid1(VALU_DEP_4)
	v_pk_fma_f32 v[10:11], v[20:21], v[34:35], v[10:11] op_sel:[0,1,0]
	v_pk_fma_f32 v[20:21], v[24:25], v[34:35], v[28:29] op_sel:[0,1,0]
	v_dual_mov_b32 v26, v77 :: v_dual_mov_b32 v24, v37
	s_delay_alu instid0(VALU_DEP_3) | instskip(NEXT) | instid1(VALU_DEP_3)
	v_pk_fma_f32 v[10:11], v[38:39], v[36:37], v[10:11] op_sel_hi:[1,0,1]
	v_pk_fma_f32 v[20:21], v[30:31], v[36:37], v[20:21] op_sel_hi:[1,0,1]
	s_delay_alu instid0(VALU_DEP_2) | instskip(NEXT) | instid1(VALU_DEP_2)
	v_pk_fma_f32 v[10:11], v[22:23], v[24:25], v[10:11] op_sel_hi:[1,0,1]
	v_pk_fma_f32 v[20:21], v[26:27], v[24:25], v[20:21] op_sel_hi:[1,0,1]
	s_and_not1_b32 exec_lo, exec_lo, s7
	s_cbranch_execnz .LBB22_21
; %bb.22:
	s_or_b32 exec_lo, exec_lo, s7
	s_delay_alu instid0(VALU_DEP_1)
	v_dual_mov_b32 v19, v21 :: v_dual_mov_b32 v18, v20
.LBB22_23:
	s_or_b32 exec_lo, exec_lo, s6
.LBB22_24:
	s_delay_alu instid0(SALU_CYCLE_1)
	s_or_b32 exec_lo, exec_lo, s3
	s_cbranch_execz .LBB22_26
	s_branch .LBB22_37
.LBB22_25:
                                        ; implicit-def: $vgpr19
                                        ; implicit-def: $vgpr11
.LBB22_26:
	v_dual_mov_b32 v19, 0 :: v_dual_mov_b32 v18, 0
	v_dual_mov_b32 v11, 0 :: v_dual_mov_b32 v10, 0
	s_and_saveexec_b32 s3, s2
	s_cbranch_execz .LBB22_36
; %bb.27:
	v_dual_mov_b32 v11, v1 :: v_dual_bitop2_b32 v10, 16, v0 bitop3:0x54
	v_sub_nc_u64_e32 v[14:15], s[16:17], v[0:1]
	s_delay_alu instid0(VALU_DEP_2) | instskip(NEXT) | instid1(VALU_DEP_1)
	v_sub_nc_u64_e64 v[10:11], v[10:11], s[16:17]
	v_add_nc_u64_e32 v[10:11], v[10:11], v[12:13]
	v_not_b32_e32 v13, v13
	v_not_b32_e32 v12, v12
	s_delay_alu instid0(VALU_DEP_1) | instskip(NEXT) | instid1(VALU_DEP_4)
	v_add_nc_u64_e32 v[12:13], v[14:15], v[12:13]
	v_max_i64 v[10:11], v[10:11], v[6:7]
	s_delay_alu instid0(VALU_DEP_1) | instskip(SKIP_2) | instid1(VALU_DEP_2)
	v_add_nc_u64_e32 v[12:13], v[12:13], v[10:11]
	v_mov_b32_e32 v18, 0
	v_mov_b64_e32 v[10:11], 0
	v_dual_mov_b32 v15, v18 :: v_dual_bitop2_b32 v14, 48, v12 bitop3:0x40
	s_delay_alu instid0(VALU_DEP_1)
	v_cmp_ne_u64_e32 vcc_lo, 48, v[14:15]
	v_mov_b64_e32 v[14:15], 0
	s_and_saveexec_b32 s2, vcc_lo
	s_cbranch_execz .LBB22_31
; %bb.28:
	v_dual_lshrrev_b32 v1, 4, v12 :: v_dual_mov_b32 v11, v18
	v_lshl_add_u64 v[14:15], v[4:5], 2, s[8:9]
	s_mov_b32 s6, 0
	s_delay_alu instid0(VALU_DEP_2) | instskip(NEXT) | instid1(VALU_DEP_1)
	v_dual_mov_b32 v19, v18 :: v_dual_add_nc_u32 v1, 1, v1
	v_and_b32_e32 v10, 3, v1
	s_delay_alu instid0(VALU_DEP_1)
	v_sub_nc_u64_e32 v[16:17], 0, v[10:11]
	v_mov_b32_e32 v10, v18
.LBB22_29:                              ; =>This Inner Loop Header: Depth=1
	global_load_b32 v1, v[14:15], off
	v_add_nc_u64_e32 v[16:17], 1, v[16:17]
	v_add_nc_u64_e32 v[4:5], 16, v[4:5]
	s_wait_xcnt 0x0
	v_add_nc_u64_e32 v[14:15], 64, v[14:15]
	s_delay_alu instid0(VALU_DEP_3) | instskip(SKIP_3) | instid1(VALU_DEP_1)
	v_cmp_eq_u64_e32 vcc_lo, 0, v[16:17]
	s_or_b32 s6, vcc_lo, s6
	s_wait_loadcnt 0x0
	v_subrev_nc_u32_e32 v1, s16, v1
	v_lshlrev_b32_e32 v20, 2, v1
	s_delay_alu instid0(VALU_DEP_1) | instskip(SKIP_1) | instid1(VALU_DEP_1)
	v_ashrrev_i32_e32 v21, 31, v20
	s_wait_kmcnt 0x0
	v_lshl_add_u64 v[40:41], v[20:21], 2, s[4:5]
	s_clause 0x1
	global_load_b128 v[20:23], v[8:9], off offset:16
	global_load_b128 v[24:27], v[8:9], off
	global_load_b128 v[28:31], v[40:41], off
	s_clause 0x1
	global_load_b128 v[32:35], v[8:9], off offset:32
	global_load_b128 v[36:39], v[8:9], off offset:48
	s_wait_xcnt 0x0
	v_add_nc_u64_e32 v[8:9], 0x400, v[8:9]
	s_wait_loadcnt 0x2
	v_pk_fma_f32 v[10:11], v[24:25], v[28:29], v[10:11] op_sel_hi:[1,0,1]
	v_pk_fma_f32 v[18:19], v[26:27], v[28:29], v[18:19] op_sel_hi:[1,0,1]
	s_delay_alu instid0(VALU_DEP_2) | instskip(NEXT) | instid1(VALU_DEP_2)
	v_pk_fma_f32 v[10:11], v[20:21], v[28:29], v[10:11] op_sel:[0,1,0]
	v_pk_fma_f32 v[18:19], v[22:23], v[28:29], v[18:19] op_sel:[0,1,0]
	v_mov_b32_e32 v20, v31
	s_wait_loadcnt 0x1
	s_delay_alu instid0(VALU_DEP_3) | instskip(NEXT) | instid1(VALU_DEP_3)
	v_pk_fma_f32 v[10:11], v[32:33], v[30:31], v[10:11] op_sel_hi:[1,0,1]
	v_pk_fma_f32 v[18:19], v[34:35], v[30:31], v[18:19] op_sel_hi:[1,0,1]
	s_wait_loadcnt 0x0
	s_delay_alu instid0(VALU_DEP_2) | instskip(NEXT) | instid1(VALU_DEP_2)
	v_pk_fma_f32 v[10:11], v[36:37], v[20:21], v[10:11] op_sel_hi:[1,0,1]
	v_pk_fma_f32 v[18:19], v[38:39], v[20:21], v[18:19] op_sel_hi:[1,0,1]
	s_and_not1_b32 exec_lo, exec_lo, s6
	s_cbranch_execnz .LBB22_29
; %bb.30:
	s_or_b32 exec_lo, exec_lo, s6
	s_delay_alu instid0(VALU_DEP_1)
	v_mov_b64_e32 v[14:15], v[18:19]
.LBB22_31:
	s_or_b32 exec_lo, exec_lo, s2
	s_delay_alu instid0(SALU_CYCLE_1)
	s_mov_b32 s2, exec_lo
	v_cmpx_lt_u64_e32 47, v[12:13]
	s_cbranch_execz .LBB22_35
; %bb.32:
	v_lshl_add_u64 v[12:13], v[4:5], 2, s[8:9]
	s_mov_b32 s6, 0
	s_delay_alu instid0(VALU_DEP_1)
	v_add_nc_u64_e32 v[12:13], 0x80, v[12:13]
.LBB22_33:                              ; =>This Inner Loop Header: Depth=1
	s_clause 0x2
	global_load_b32 v1, v[12:13], off offset:-128
	global_load_b32 v3, v[12:13], off offset:-64
	global_load_b32 v46, v[12:13], off
	s_clause 0x2
	global_load_b128 v[16:19], v[8:9], off offset:32
	global_load_b128 v[20:23], v[8:9], off offset:16
	global_load_b128 v[24:27], v[8:9], off
	global_load_b32 v66, v[12:13], off offset:64
	v_add_nc_u64_e32 v[4:5], 64, v[4:5]
	s_wait_xcnt 0x0
	v_add_nc_u64_e32 v[12:13], 0x100, v[12:13]
	s_delay_alu instid0(VALU_DEP_2)
	v_cmp_ge_i64_e32 vcc_lo, v[4:5], v[6:7]
	s_or_b32 s6, vcc_lo, s6
	s_wait_loadcnt 0x6
	v_subrev_nc_u32_e32 v1, s16, v1
	s_wait_loadcnt 0x5
	v_subrev_nc_u32_e32 v3, s16, v3
	s_delay_alu instid0(VALU_DEP_1) | instskip(SKIP_2) | instid1(VALU_DEP_1)
	v_dual_lshlrev_b32 v28, 2, v1 :: v_dual_lshlrev_b32 v40, 2, v3
	s_wait_loadcnt 0x4
	v_subrev_nc_u32_e32 v1, s16, v46
	v_dual_ashrrev_i32 v29, 31, v28 :: v_dual_lshlrev_b32 v60, 2, v1
	s_wait_loadcnt 0x0
	v_subrev_nc_u32_e32 v1, s16, v66
	v_ashrrev_i32_e32 v41, 31, v40
	s_wait_kmcnt 0x0
	v_lshl_add_u64 v[36:37], v[28:29], 2, s[4:5]
	global_load_b128 v[28:31], v[36:37], off
	global_load_b128 v[32:35], v[8:9], off offset:48
	v_lshlrev_b32_e32 v76, 2, v1
	v_lshl_add_u64 v[44:45], v[40:41], 2, s[4:5]
	s_clause 0x2
	global_load_b128 v[36:39], v[8:9], off offset:1040
	global_load_b128 v[40:43], v[8:9], off offset:1024
	;; [unrolled: 1-line block ×3, first 2 shown]
	v_ashrrev_i32_e32 v61, 31, v60
	global_load_b128 v[44:47], v[44:45], off
	s_clause 0x1
	global_load_b128 v[52:55], v[8:9], off offset:1072
	global_load_b128 v[56:59], v[8:9], off offset:2064
	v_ashrrev_i32_e32 v77, 31, v76
	s_wait_loadcnt 0x7
	v_pk_fma_f32 v[10:11], v[24:25], v[28:29], v[10:11] op_sel_hi:[1,0,1]
	v_pk_fma_f32 v[14:15], v[26:27], v[28:29], v[14:15] op_sel_hi:[1,0,1]
	s_delay_alu instid0(VALU_DEP_2) | instskip(NEXT) | instid1(VALU_DEP_2)
	v_pk_fma_f32 v[10:11], v[20:21], v[28:29], v[10:11] op_sel:[0,1,0]
	v_pk_fma_f32 v[14:15], v[22:23], v[28:29], v[14:15] op_sel:[0,1,0]
	v_mov_b32_e32 v28, v31
	v_lshl_add_u64 v[64:65], v[60:61], 2, s[4:5]
	global_load_b128 v[60:63], v[8:9], off offset:2048
	v_pk_fma_f32 v[10:11], v[16:17], v[30:31], v[10:11] op_sel_hi:[1,0,1]
	v_pk_fma_f32 v[18:19], v[18:19], v[30:31], v[14:15] op_sel_hi:[1,0,1]
	global_load_b128 v[64:67], v[64:65], off
	s_clause 0x1
	global_load_b128 v[68:71], v[8:9], off offset:2096
	global_load_b128 v[72:75], v[8:9], off offset:2080
	s_wait_loadcnt 0xa
	v_pk_fma_f32 v[10:11], v[32:33], v[28:29], v[10:11] op_sel_hi:[1,0,1]
	s_wait_loadcnt 0x6
	v_mov_b32_e32 v32, v47
	v_lshl_add_u64 v[80:81], v[76:77], 2, s[4:5]
	s_clause 0x1
	global_load_b128 v[24:27], v[8:9], off offset:3088
	global_load_b128 v[20:23], v[8:9], off offset:3072
	global_load_b128 v[76:79], v[80:81], off
	global_load_b128 v[14:17], v[8:9], off offset:3104
	v_pk_fma_f32 v[18:19], v[34:35], v[28:29], v[18:19] op_sel_hi:[1,0,1]
	global_load_b128 v[28:31], v[8:9], off offset:3120
	v_pk_fma_f32 v[10:11], v[40:41], v[44:45], v[10:11] op_sel_hi:[1,0,1]
	s_wait_xcnt 0x0
	v_add_nc_u64_e32 v[8:9], 0x1000, v[8:9]
	v_pk_fma_f32 v[18:19], v[42:43], v[44:45], v[18:19] op_sel_hi:[1,0,1]
	s_delay_alu instid0(VALU_DEP_3) | instskip(NEXT) | instid1(VALU_DEP_2)
	v_pk_fma_f32 v[10:11], v[36:37], v[44:45], v[10:11] op_sel:[0,1,0]
	v_pk_fma_f32 v[18:19], v[38:39], v[44:45], v[18:19] op_sel:[0,1,0]
	s_delay_alu instid0(VALU_DEP_2) | instskip(NEXT) | instid1(VALU_DEP_2)
	v_pk_fma_f32 v[10:11], v[48:49], v[46:47], v[10:11] op_sel_hi:[1,0,1]
	v_pk_fma_f32 v[18:19], v[50:51], v[46:47], v[18:19] op_sel_hi:[1,0,1]
	s_wait_loadcnt 0xa
	s_delay_alu instid0(VALU_DEP_2) | instskip(NEXT) | instid1(VALU_DEP_2)
	v_pk_fma_f32 v[10:11], v[52:53], v[32:33], v[10:11] op_sel_hi:[1,0,1]
	v_pk_fma_f32 v[18:19], v[54:55], v[32:33], v[18:19] op_sel_hi:[1,0,1]
	s_wait_loadcnt 0x7
	s_delay_alu instid0(VALU_DEP_2) | instskip(NEXT) | instid1(VALU_DEP_2)
	v_pk_fma_f32 v[10:11], v[60:61], v[64:65], v[10:11] op_sel_hi:[1,0,1]
	v_pk_fma_f32 v[18:19], v[62:63], v[64:65], v[18:19] op_sel_hi:[1,0,1]
	v_mov_b32_e32 v32, v67
	s_delay_alu instid0(VALU_DEP_3) | instskip(NEXT) | instid1(VALU_DEP_3)
	v_pk_fma_f32 v[10:11], v[56:57], v[64:65], v[10:11] op_sel:[0,1,0]
	v_pk_fma_f32 v[18:19], v[58:59], v[64:65], v[18:19] op_sel:[0,1,0]
	s_wait_loadcnt 0x5
	s_delay_alu instid0(VALU_DEP_2) | instskip(NEXT) | instid1(VALU_DEP_2)
	v_pk_fma_f32 v[10:11], v[72:73], v[66:67], v[10:11] op_sel_hi:[1,0,1]
	v_pk_fma_f32 v[18:19], v[74:75], v[66:67], v[18:19] op_sel_hi:[1,0,1]
	s_delay_alu instid0(VALU_DEP_2) | instskip(SKIP_1) | instid1(VALU_DEP_1)
	v_pk_fma_f32 v[10:11], v[68:69], v[32:33], v[10:11] op_sel_hi:[1,0,1]
	s_wait_loadcnt 0x2
	v_pk_fma_f32 v[10:11], v[20:21], v[76:77], v[10:11] op_sel_hi:[1,0,1]
	v_mov_b32_e32 v20, v79
	v_pk_fma_f32 v[18:19], v[70:71], v[32:33], v[18:19] op_sel_hi:[1,0,1]
	s_delay_alu instid0(VALU_DEP_3) | instskip(NEXT) | instid1(VALU_DEP_2)
	v_pk_fma_f32 v[10:11], v[24:25], v[76:77], v[10:11] op_sel:[0,1,0]
	v_pk_fma_f32 v[18:19], v[22:23], v[76:77], v[18:19] op_sel_hi:[1,0,1]
	s_wait_loadcnt 0x1
	s_delay_alu instid0(VALU_DEP_2) | instskip(NEXT) | instid1(VALU_DEP_2)
	v_pk_fma_f32 v[10:11], v[14:15], v[78:79], v[10:11] op_sel_hi:[1,0,1]
	v_pk_fma_f32 v[18:19], v[26:27], v[76:77], v[18:19] op_sel:[0,1,0]
	s_wait_loadcnt 0x0
	s_delay_alu instid0(VALU_DEP_2) | instskip(NEXT) | instid1(VALU_DEP_2)
	v_pk_fma_f32 v[10:11], v[28:29], v[20:21], v[10:11] op_sel_hi:[1,0,1]
	v_pk_fma_f32 v[14:15], v[16:17], v[78:79], v[18:19] op_sel_hi:[1,0,1]
	s_delay_alu instid0(VALU_DEP_1)
	v_pk_fma_f32 v[14:15], v[30:31], v[20:21], v[14:15] op_sel_hi:[1,0,1]
	s_and_not1_b32 exec_lo, exec_lo, s6
	s_cbranch_execnz .LBB22_33
; %bb.34:
	s_or_b32 exec_lo, exec_lo, s6
	s_delay_alu instid0(VALU_DEP_1)
	v_dual_mov_b32 v19, v15 :: v_dual_mov_b32 v18, v14
.LBB22_35:
	s_or_b32 exec_lo, exec_lo, s2
.LBB22_36:
	s_delay_alu instid0(SALU_CYCLE_1)
	s_or_b32 exec_lo, exec_lo, s3
.LBB22_37:
	v_mbcnt_lo_u32_b32 v1, -1, 0
	s_mov_b32 s2, -1
	s_delay_alu instid0(VALU_DEP_1) | instskip(NEXT) | instid1(VALU_DEP_1)
	v_xor_b32_e32 v3, 8, v1
	v_cmp_gt_i32_e32 vcc_lo, 32, v3
	v_cndmask_b32_e32 v3, v1, v3, vcc_lo
	s_delay_alu instid0(VALU_DEP_1)
	v_lshlrev_b32_e32 v3, 2, v3
	ds_bpermute_b32 v4, v3, v10
	ds_bpermute_b32 v5, v3, v11
	ds_bpermute_b32 v6, v3, v18
	ds_bpermute_b32 v7, v3, v19
	v_xor_b32_e32 v3, 4, v1
	s_delay_alu instid0(VALU_DEP_1) | instskip(SKIP_1) | instid1(VALU_DEP_1)
	v_cmp_gt_i32_e32 vcc_lo, 32, v3
	v_cndmask_b32_e32 v3, v1, v3, vcc_lo
	v_lshlrev_b32_e32 v3, 2, v3
	s_wait_dscnt 0x2
	v_pk_add_f32 v[4:5], v[10:11], v[4:5]
	s_wait_dscnt 0x0
	v_pk_add_f32 v[6:7], v[18:19], v[6:7]
	ds_bpermute_b32 v8, v3, v4
	ds_bpermute_b32 v9, v3, v5
	;; [unrolled: 1-line block ×4, first 2 shown]
	v_xor_b32_e32 v3, 2, v1
	s_delay_alu instid0(VALU_DEP_1) | instskip(SKIP_1) | instid1(VALU_DEP_1)
	v_cmp_gt_i32_e32 vcc_lo, 32, v3
	v_cndmask_b32_e32 v3, v1, v3, vcc_lo
	v_lshlrev_b32_e32 v3, 2, v3
	s_wait_dscnt 0x2
	v_pk_add_f32 v[4:5], v[4:5], v[8:9]
	s_wait_dscnt 0x0
	v_pk_add_f32 v[6:7], v[6:7], v[10:11]
	ds_bpermute_b32 v8, v3, v4
	ds_bpermute_b32 v9, v3, v5
	;; [unrolled: 1-line block ×4, first 2 shown]
	v_xor_b32_e32 v3, 1, v1
	s_delay_alu instid0(VALU_DEP_1) | instskip(SKIP_2) | instid1(VALU_DEP_2)
	v_cmp_gt_i32_e32 vcc_lo, 32, v3
	v_cndmask_b32_e32 v1, v1, v3, vcc_lo
	v_cmp_eq_u32_e32 vcc_lo, 15, v0
	v_lshlrev_b32_e32 v1, 2, v1
	s_wait_dscnt 0x2
	v_pk_add_f32 v[4:5], v[4:5], v[8:9]
	s_wait_dscnt 0x0
	v_pk_add_f32 v[6:7], v[6:7], v[10:11]
	ds_bpermute_b32 v10, v1, v4
	ds_bpermute_b32 v11, v1, v5
	;; [unrolled: 1-line block ×4, first 2 shown]
	s_and_b32 exec_lo, exec_lo, vcc_lo
	s_cbranch_execz .LBB22_10
; %bb.38:
	s_load_b64 s[0:1], s[0:1], 0x50
	s_wait_dscnt 0x2
	v_pk_add_f32 v[4:5], v[4:5], v[10:11]
	s_wait_dscnt 0x0
	v_pk_add_f32 v[0:1], v[6:7], v[8:9]
	v_lshlrev_b32_e32 v2, 2, v2
	s_cmp_eq_f32 s14, 0
	s_cbranch_scc0 .LBB22_40
; %bb.39:
	s_delay_alu instid0(VALU_DEP_1)
	v_ashrrev_i32_e32 v3, 31, v2
	v_pk_mul_f32 v[6:7], s[12:13], v[4:5] op_sel_hi:[0,1]
	v_pk_mul_f32 v[8:9], s[12:13], v[0:1] op_sel_hi:[0,1]
	s_mov_b32 s2, 0
	s_wait_kmcnt 0x0
	v_lshl_add_u64 v[10:11], v[2:3], 2, s[0:1]
	global_store_b128 v[10:11], v[6:9], off
.LBB22_40:
	s_and_not1_b32 vcc_lo, exec_lo, s2
	s_cbranch_vccnz .LBB22_10
; %bb.41:
	v_ashrrev_i32_e32 v3, 31, v2
	s_wait_kmcnt 0x0
	s_delay_alu instid0(VALU_DEP_1)
	v_lshl_add_u64 v[10:11], v[2:3], 2, s[0:1]
	v_pk_mul_f32 v[2:3], s[12:13], v[4:5] op_sel_hi:[0,1]
	v_pk_mul_f32 v[4:5], s[12:13], v[0:1] op_sel_hi:[0,1]
	global_load_b128 v[6:9], v[10:11], off
	s_wait_loadcnt 0x0
	v_pk_fma_f32 v[0:1], s[14:15], v[6:7], v[2:3] op_sel_hi:[0,1,1]
	v_pk_fma_f32 v[2:3], s[14:15], v[8:9], v[4:5] op_sel_hi:[0,1,1]
	global_store_b128 v[10:11], v[0:3], off
	s_sendmsg sendmsg(MSG_DEALLOC_VGPRS)
	s_endpgm
	.section	.rodata,"a",@progbits
	.p2align	6, 0x0
	.amdhsa_kernel _ZN9rocsparseL18bsrxmvn_4x4_kernelILj128ELj16EflifffEEvT3_20rocsparse_direction_NS_24const_host_device_scalarIT1_EES1_PKS1_PKT2_SA_S7_PKT4_PKT5_S5_PT6_21rocsparse_index_base_b
		.amdhsa_group_segment_fixed_size 0
		.amdhsa_private_segment_fixed_size 0
		.amdhsa_kernarg_size 96
		.amdhsa_user_sgpr_count 2
		.amdhsa_user_sgpr_dispatch_ptr 0
		.amdhsa_user_sgpr_queue_ptr 0
		.amdhsa_user_sgpr_kernarg_segment_ptr 1
		.amdhsa_user_sgpr_dispatch_id 0
		.amdhsa_user_sgpr_kernarg_preload_length 0
		.amdhsa_user_sgpr_kernarg_preload_offset 0
		.amdhsa_user_sgpr_private_segment_size 0
		.amdhsa_wavefront_size32 1
		.amdhsa_uses_dynamic_stack 0
		.amdhsa_enable_private_segment 0
		.amdhsa_system_sgpr_workgroup_id_x 1
		.amdhsa_system_sgpr_workgroup_id_y 0
		.amdhsa_system_sgpr_workgroup_id_z 0
		.amdhsa_system_sgpr_workgroup_info 0
		.amdhsa_system_vgpr_workitem_id 0
		.amdhsa_next_free_vgpr 86
		.amdhsa_next_free_sgpr 18
		.amdhsa_named_barrier_count 0
		.amdhsa_reserve_vcc 1
		.amdhsa_float_round_mode_32 0
		.amdhsa_float_round_mode_16_64 0
		.amdhsa_float_denorm_mode_32 3
		.amdhsa_float_denorm_mode_16_64 3
		.amdhsa_fp16_overflow 0
		.amdhsa_memory_ordered 1
		.amdhsa_forward_progress 1
		.amdhsa_inst_pref_size 32
		.amdhsa_round_robin_scheduling 0
		.amdhsa_exception_fp_ieee_invalid_op 0
		.amdhsa_exception_fp_denorm_src 0
		.amdhsa_exception_fp_ieee_div_zero 0
		.amdhsa_exception_fp_ieee_overflow 0
		.amdhsa_exception_fp_ieee_underflow 0
		.amdhsa_exception_fp_ieee_inexact 0
		.amdhsa_exception_int_div_zero 0
	.end_amdhsa_kernel
	.section	.text._ZN9rocsparseL18bsrxmvn_4x4_kernelILj128ELj16EflifffEEvT3_20rocsparse_direction_NS_24const_host_device_scalarIT1_EES1_PKS1_PKT2_SA_S7_PKT4_PKT5_S5_PT6_21rocsparse_index_base_b,"axG",@progbits,_ZN9rocsparseL18bsrxmvn_4x4_kernelILj128ELj16EflifffEEvT3_20rocsparse_direction_NS_24const_host_device_scalarIT1_EES1_PKS1_PKT2_SA_S7_PKT4_PKT5_S5_PT6_21rocsparse_index_base_b,comdat
.Lfunc_end22:
	.size	_ZN9rocsparseL18bsrxmvn_4x4_kernelILj128ELj16EflifffEEvT3_20rocsparse_direction_NS_24const_host_device_scalarIT1_EES1_PKS1_PKT2_SA_S7_PKT4_PKT5_S5_PT6_21rocsparse_index_base_b, .Lfunc_end22-_ZN9rocsparseL18bsrxmvn_4x4_kernelILj128ELj16EflifffEEvT3_20rocsparse_direction_NS_24const_host_device_scalarIT1_EES1_PKS1_PKT2_SA_S7_PKT4_PKT5_S5_PT6_21rocsparse_index_base_b
                                        ; -- End function
	.set _ZN9rocsparseL18bsrxmvn_4x4_kernelILj128ELj16EflifffEEvT3_20rocsparse_direction_NS_24const_host_device_scalarIT1_EES1_PKS1_PKT2_SA_S7_PKT4_PKT5_S5_PT6_21rocsparse_index_base_b.num_vgpr, 86
	.set _ZN9rocsparseL18bsrxmvn_4x4_kernelILj128ELj16EflifffEEvT3_20rocsparse_direction_NS_24const_host_device_scalarIT1_EES1_PKS1_PKT2_SA_S7_PKT4_PKT5_S5_PT6_21rocsparse_index_base_b.num_agpr, 0
	.set _ZN9rocsparseL18bsrxmvn_4x4_kernelILj128ELj16EflifffEEvT3_20rocsparse_direction_NS_24const_host_device_scalarIT1_EES1_PKS1_PKT2_SA_S7_PKT4_PKT5_S5_PT6_21rocsparse_index_base_b.numbered_sgpr, 18
	.set _ZN9rocsparseL18bsrxmvn_4x4_kernelILj128ELj16EflifffEEvT3_20rocsparse_direction_NS_24const_host_device_scalarIT1_EES1_PKS1_PKT2_SA_S7_PKT4_PKT5_S5_PT6_21rocsparse_index_base_b.num_named_barrier, 0
	.set _ZN9rocsparseL18bsrxmvn_4x4_kernelILj128ELj16EflifffEEvT3_20rocsparse_direction_NS_24const_host_device_scalarIT1_EES1_PKS1_PKT2_SA_S7_PKT4_PKT5_S5_PT6_21rocsparse_index_base_b.private_seg_size, 0
	.set _ZN9rocsparseL18bsrxmvn_4x4_kernelILj128ELj16EflifffEEvT3_20rocsparse_direction_NS_24const_host_device_scalarIT1_EES1_PKS1_PKT2_SA_S7_PKT4_PKT5_S5_PT6_21rocsparse_index_base_b.uses_vcc, 1
	.set _ZN9rocsparseL18bsrxmvn_4x4_kernelILj128ELj16EflifffEEvT3_20rocsparse_direction_NS_24const_host_device_scalarIT1_EES1_PKS1_PKT2_SA_S7_PKT4_PKT5_S5_PT6_21rocsparse_index_base_b.uses_flat_scratch, 0
	.set _ZN9rocsparseL18bsrxmvn_4x4_kernelILj128ELj16EflifffEEvT3_20rocsparse_direction_NS_24const_host_device_scalarIT1_EES1_PKS1_PKT2_SA_S7_PKT4_PKT5_S5_PT6_21rocsparse_index_base_b.has_dyn_sized_stack, 0
	.set _ZN9rocsparseL18bsrxmvn_4x4_kernelILj128ELj16EflifffEEvT3_20rocsparse_direction_NS_24const_host_device_scalarIT1_EES1_PKS1_PKT2_SA_S7_PKT4_PKT5_S5_PT6_21rocsparse_index_base_b.has_recursion, 0
	.set _ZN9rocsparseL18bsrxmvn_4x4_kernelILj128ELj16EflifffEEvT3_20rocsparse_direction_NS_24const_host_device_scalarIT1_EES1_PKS1_PKT2_SA_S7_PKT4_PKT5_S5_PT6_21rocsparse_index_base_b.has_indirect_call, 0
	.section	.AMDGPU.csdata,"",@progbits
; Kernel info:
; codeLenInByte = 3992
; TotalNumSgprs: 20
; NumVgprs: 86
; ScratchSize: 0
; MemoryBound: 1
; FloatMode: 240
; IeeeMode: 1
; LDSByteSize: 0 bytes/workgroup (compile time only)
; SGPRBlocks: 0
; VGPRBlocks: 5
; NumSGPRsForWavesPerEU: 20
; NumVGPRsForWavesPerEU: 86
; NamedBarCnt: 0
; Occupancy: 10
; WaveLimiterHint : 1
; COMPUTE_PGM_RSRC2:SCRATCH_EN: 0
; COMPUTE_PGM_RSRC2:USER_SGPR: 2
; COMPUTE_PGM_RSRC2:TRAP_HANDLER: 0
; COMPUTE_PGM_RSRC2:TGID_X_EN: 1
; COMPUTE_PGM_RSRC2:TGID_Y_EN: 0
; COMPUTE_PGM_RSRC2:TGID_Z_EN: 0
; COMPUTE_PGM_RSRC2:TIDIG_COMP_CNT: 0
	.section	.text._ZN9rocsparseL18bsrxmvn_4x4_kernelILj128ELj32EflifffEEvT3_20rocsparse_direction_NS_24const_host_device_scalarIT1_EES1_PKS1_PKT2_SA_S7_PKT4_PKT5_S5_PT6_21rocsparse_index_base_b,"axG",@progbits,_ZN9rocsparseL18bsrxmvn_4x4_kernelILj128ELj32EflifffEEvT3_20rocsparse_direction_NS_24const_host_device_scalarIT1_EES1_PKS1_PKT2_SA_S7_PKT4_PKT5_S5_PT6_21rocsparse_index_base_b,comdat
	.globl	_ZN9rocsparseL18bsrxmvn_4x4_kernelILj128ELj32EflifffEEvT3_20rocsparse_direction_NS_24const_host_device_scalarIT1_EES1_PKS1_PKT2_SA_S7_PKT4_PKT5_S5_PT6_21rocsparse_index_base_b ; -- Begin function _ZN9rocsparseL18bsrxmvn_4x4_kernelILj128ELj32EflifffEEvT3_20rocsparse_direction_NS_24const_host_device_scalarIT1_EES1_PKS1_PKT2_SA_S7_PKT4_PKT5_S5_PT6_21rocsparse_index_base_b
	.p2align	8
	.type	_ZN9rocsparseL18bsrxmvn_4x4_kernelILj128ELj32EflifffEEvT3_20rocsparse_direction_NS_24const_host_device_scalarIT1_EES1_PKS1_PKT2_SA_S7_PKT4_PKT5_S5_PT6_21rocsparse_index_base_b,@function
_ZN9rocsparseL18bsrxmvn_4x4_kernelILj128ELj32EflifffEEvT3_20rocsparse_direction_NS_24const_host_device_scalarIT1_EES1_PKS1_PKT2_SA_S7_PKT4_PKT5_S5_PT6_21rocsparse_index_base_b: ; @_ZN9rocsparseL18bsrxmvn_4x4_kernelILj128ELj32EflifffEEvT3_20rocsparse_direction_NS_24const_host_device_scalarIT1_EES1_PKS1_PKT2_SA_S7_PKT4_PKT5_S5_PT6_21rocsparse_index_base_b
; %bb.0:
	s_clause 0x2
	s_load_b64 s[16:17], s[0:1], 0x58
	s_load_b64 s[12:13], s[0:1], 0x8
	;; [unrolled: 1-line block ×3, first 2 shown]
	s_wait_kmcnt 0x0
	s_bitcmp1_b32 s17, 0
	s_cselect_b32 s2, -1, 0
	s_delay_alu instid0(SALU_CYCLE_1)
	s_and_b32 vcc_lo, exec_lo, s2
	s_xor_b32 s2, s2, -1
	s_cbranch_vccnz .LBB23_2
; %bb.1:
	s_load_b32 s12, s[12:13], 0x0
.LBB23_2:
	s_and_not1_b32 vcc_lo, exec_lo, s2
	s_cbranch_vccnz .LBB23_4
; %bb.3:
	s_load_b32 s14, s[14:15], 0x0
.LBB23_4:
	s_wait_kmcnt 0x0
	s_cmp_neq_f32 s12, 0
	s_mov_b32 s6, 0
	s_cselect_b32 s2, -1, 0
	s_cmp_neq_f32 s14, 1.0
	s_cselect_b32 s3, -1, 0
	s_delay_alu instid0(SALU_CYCLE_1) | instskip(NEXT) | instid1(SALU_CYCLE_1)
	s_or_b32 s2, s2, s3
	s_and_not1_b32 vcc_lo, exec_lo, s2
	s_cbranch_vccnz .LBB23_10
; %bb.5:
	s_clause 0x1
	s_load_b64 s[4:5], s[0:1], 0x18
	s_load_b64 s[2:3], s[0:1], 0x0
	s_bfe_u32 s7, ttmp6, 0x4000c
	s_and_b32 s8, ttmp6, 15
	s_add_co_i32 s7, s7, 1
	s_getreg_b32 s9, hwreg(HW_REG_IB_STS2, 6, 4)
	s_mul_i32 s7, ttmp9, s7
	v_lshrrev_b32_e32 v1, 5, v0
	s_add_co_i32 s8, s8, s7
	s_cmp_eq_u32 s9, 0
	s_cselect_b32 s7, ttmp9, s8
	s_delay_alu instid0(VALU_DEP_1) | instid1(SALU_CYCLE_1)
	v_lshl_or_b32 v2, s7, 2, v1
	s_wait_kmcnt 0x0
	s_cmp_lg_u64 s[4:5], 0
	s_cbranch_scc0 .LBB23_11
; %bb.6:
	s_load_b32 s6, s[0:1], 0x10
	s_mov_b32 s7, 0
                                        ; implicit-def: $vgpr1
	s_wait_kmcnt 0x0
	v_cmp_gt_i32_e32 vcc_lo, s6, v2
	s_mov_b32 s6, 0
	s_and_saveexec_b32 s8, vcc_lo
	s_delay_alu instid0(SALU_CYCLE_1)
	s_xor_b32 s8, exec_lo, s8
	s_cbranch_execz .LBB23_8
; %bb.7:
	global_load_b32 v1, v2, s[4:5] scale_offset
	s_mov_b32 s6, exec_lo
	s_wait_loadcnt 0x0
	v_subrev_nc_u32_e32 v1, s16, v1
.LBB23_8:
	s_or_b32 exec_lo, exec_lo, s8
	s_delay_alu instid0(SALU_CYCLE_1)
	s_and_b32 vcc_lo, exec_lo, s7
	s_cbranch_vccz .LBB23_12
.LBB23_9:
	v_cmp_gt_i32_e32 vcc_lo, s2, v2
	s_and_not1_b32 s2, s6, exec_lo
	s_and_b32 s4, vcc_lo, exec_lo
	s_delay_alu instid0(SALU_CYCLE_1) | instskip(NEXT) | instid1(SALU_CYCLE_1)
	s_or_b32 s6, s2, s4
	s_and_saveexec_b32 s2, s6
	s_cbranch_execnz .LBB23_13
.LBB23_10:
	s_sendmsg sendmsg(MSG_DEALLOC_VGPRS)
	s_endpgm
.LBB23_11:
                                        ; implicit-def: $vgpr1
	s_cbranch_execnz .LBB23_9
.LBB23_12:
	s_delay_alu instid0(VALU_DEP_1)
	v_mov_b32_e32 v2, v1
	s_and_saveexec_b32 s2, s6
	s_cbranch_execz .LBB23_10
.LBB23_13:
	s_load_b256 s[4:11], s[0:1], 0x20
	s_mov_b32 s17, 0
	v_dual_mov_b32 v1, 0 :: v_dual_bitop2_b32 v0, 31, v0 bitop3:0x40
	s_wait_kmcnt 0x0
	s_cmp_eq_u64 s[6:7], 0
	global_load_b64 v[12:13], v2, s[4:5] scale_offset
	s_cselect_b32 vcc_lo, -1, 0
	v_ashrrev_i32_e32 v3, 31, v2
	s_cmp_eq_u32 s3, 1
	s_delay_alu instid0(VALU_DEP_1) | instskip(NEXT) | instid1(VALU_DEP_1)
	v_lshlrev_b64_e32 v[4:5], 3, v[2:3]
	v_add_nc_u64_e32 v[6:7], s[4:5], v[4:5]
	v_add_nc_u64_e32 v[4:5], s[6:7], v[4:5]
	s_wait_xcnt 0x0
	s_load_b64 s[4:5], s[0:1], 0x40
	s_delay_alu instid0(VALU_DEP_2) | instskip(NEXT) | instid1(VALU_DEP_1)
	v_add_nc_u64_e32 v[6:7], 8, v[6:7]
	v_dual_cndmask_b32 v5, v5, v7 :: v_dual_cndmask_b32 v4, v4, v6
	global_load_b64 v[6:7], v[4:5], off
	s_wait_loadcnt 0x1
	s_wait_xcnt 0x0
	v_sub_nc_u64_e64 v[4:5], v[12:13], s[16:17]
	s_delay_alu instid0(VALU_DEP_1) | instskip(NEXT) | instid1(VALU_DEP_1)
	v_add_nc_u64_e32 v[4:5], v[4:5], v[0:1]
	v_lshlrev_b64_e32 v[8:9], 6, v[4:5]
	s_delay_alu instid0(VALU_DEP_1) | instskip(SKIP_2) | instid1(VALU_DEP_1)
	v_add_nc_u64_e32 v[8:9], s[10:11], v[8:9]
	s_wait_loadcnt 0x0
	v_sub_nc_u64_e64 v[6:7], v[6:7], s[16:17]
	v_cmp_lt_i64_e64 s2, v[4:5], v[6:7]
	s_cbranch_scc1 .LBB23_25
; %bb.14:
	v_dual_mov_b32 v19, v1 :: v_dual_mov_b32 v18, v1
	v_dual_mov_b32 v11, v1 :: v_dual_mov_b32 v10, v1
	s_and_saveexec_b32 s3, s2
	s_cbranch_execz .LBB23_24
; %bb.15:
	v_dual_mov_b32 v11, v1 :: v_dual_bitop2_b32 v10, 32, v0 bitop3:0x54
	v_sub_nc_u64_e32 v[14:15], s[16:17], v[0:1]
	v_not_b32_e32 v17, v13
	v_not_b32_e32 v16, v12
	v_mov_b32_e32 v18, 0
	v_sub_nc_u64_e64 v[10:11], v[10:11], s[16:17]
	v_mov_b64_e32 v[20:21], 0
	s_delay_alu instid0(VALU_DEP_4) | instskip(SKIP_1) | instid1(VALU_DEP_4)
	v_add_nc_u64_e32 v[14:15], v[14:15], v[16:17]
	v_mov_b64_e32 v[16:17], v[8:9]
	v_add_nc_u64_e32 v[10:11], v[10:11], v[12:13]
	s_delay_alu instid0(VALU_DEP_1) | instskip(NEXT) | instid1(VALU_DEP_1)
	v_max_i64 v[10:11], v[10:11], v[6:7]
	v_add_nc_u64_e32 v[22:23], v[14:15], v[10:11]
	v_mov_b32_e32 v15, v18
	v_mov_b64_e32 v[10:11], 0
	s_delay_alu instid0(VALU_DEP_3) | instskip(NEXT) | instid1(VALU_DEP_1)
	v_and_b32_e32 v14, 0x60, v22
	v_cmp_ne_u64_e32 vcc_lo, 0x60, v[14:15]
	v_mov_b64_e32 v[14:15], v[4:5]
	s_and_saveexec_b32 s6, vcc_lo
	s_cbranch_execz .LBB23_19
; %bb.16:
	v_dual_lshrrev_b32 v3, 5, v22 :: v_dual_mov_b32 v11, v18
	v_mov_b64_e32 v[16:17], v[8:9]
	v_mov_b64_e32 v[14:15], v[4:5]
	v_lshl_add_u64 v[20:21], v[4:5], 2, s[8:9]
	s_delay_alu instid0(VALU_DEP_4) | instskip(SKIP_1) | instid1(VALU_DEP_1)
	v_dual_add_nc_u32 v3, 1, v3 :: v_dual_mov_b32 v19, v18
	s_mov_b32 s7, 0
	v_and_b32_e32 v10, 3, v3
	s_delay_alu instid0(VALU_DEP_1)
	v_sub_nc_u64_e32 v[24:25], 0, v[10:11]
	v_mov_b32_e32 v10, v18
.LBB23_17:                              ; =>This Inner Loop Header: Depth=1
	global_load_b32 v3, v[20:21], off
	s_clause 0x3
	global_load_b128 v[26:29], v[16:17], off offset:16
	global_load_b128 v[30:33], v[16:17], off
	global_load_b128 v[34:37], v[16:17], off offset:48
	global_load_b128 v[38:41], v[16:17], off offset:32
	v_add_nc_u64_e32 v[24:25], 1, v[24:25]
	s_wait_xcnt 0x0
	v_add_nc_u64_e32 v[16:17], 0x800, v[16:17]
	v_add_nc_u64_e32 v[14:15], 32, v[14:15]
	;; [unrolled: 1-line block ×3, first 2 shown]
	s_delay_alu instid0(VALU_DEP_4)
	v_cmp_eq_u64_e32 vcc_lo, 0, v[24:25]
	s_or_b32 s7, vcc_lo, s7
	s_wait_loadcnt 0x4
	v_subrev_nc_u32_e32 v3, s16, v3
	s_wait_loadcnt 0x0
	v_dual_mov_b32 v49, v34 :: v_dual_mov_b32 v48, v38
	v_dual_mov_b32 v34, v39 :: v_dual_mov_b32 v38, v40
	s_delay_alu instid0(VALU_DEP_3) | instskip(SKIP_2) | instid1(VALU_DEP_3)
	v_dual_mov_b32 v39, v36 :: v_dual_lshlrev_b32 v42, 2, v3
	v_dual_mov_b32 v46, v30 :: v_dual_mov_b32 v47, v26
	v_dual_mov_b32 v26, v31 :: v_dual_mov_b32 v30, v32
	v_dual_ashrrev_i32 v43, 31, v42 :: v_dual_mov_b32 v31, v28
	v_dual_mov_b32 v28, v33 :: v_dual_mov_b32 v36, v41
	s_wait_kmcnt 0x0
	s_delay_alu instid0(VALU_DEP_2) | instskip(SKIP_4) | instid1(VALU_DEP_2)
	v_lshl_add_u64 v[42:43], v[42:43], 2, s[4:5]
	global_load_b128 v[42:45], v[42:43], off
	s_wait_loadcnt 0x0
	v_pk_fma_f32 v[10:11], v[46:47], v[42:43], v[10:11] op_sel_hi:[1,0,1]
	v_pk_fma_f32 v[18:19], v[48:49], v[42:43], v[18:19] op_sel_hi:[1,0,1]
	v_pk_fma_f32 v[10:11], v[26:27], v[42:43], v[10:11] op_sel:[0,1,0]
	s_delay_alu instid0(VALU_DEP_2) | instskip(SKIP_1) | instid1(VALU_DEP_3)
	v_pk_fma_f32 v[18:19], v[34:35], v[42:43], v[18:19] op_sel:[0,1,0]
	v_mov_b32_e32 v26, v45
	v_pk_fma_f32 v[10:11], v[30:31], v[44:45], v[10:11] op_sel_hi:[1,0,1]
	s_delay_alu instid0(VALU_DEP_3) | instskip(NEXT) | instid1(VALU_DEP_2)
	v_pk_fma_f32 v[18:19], v[38:39], v[44:45], v[18:19] op_sel_hi:[1,0,1]
	v_pk_fma_f32 v[10:11], v[28:29], v[26:27], v[10:11] op_sel_hi:[1,0,1]
	s_delay_alu instid0(VALU_DEP_2)
	v_pk_fma_f32 v[18:19], v[36:37], v[26:27], v[18:19] op_sel_hi:[1,0,1]
	s_and_not1_b32 exec_lo, exec_lo, s7
	s_cbranch_execnz .LBB23_17
; %bb.18:
	s_or_b32 exec_lo, exec_lo, s7
	s_delay_alu instid0(VALU_DEP_1)
	v_mov_b64_e32 v[20:21], v[18:19]
.LBB23_19:
	s_or_b32 exec_lo, exec_lo, s6
	s_delay_alu instid0(SALU_CYCLE_1)
	s_mov_b32 s6, exec_lo
	v_cmpx_lt_u64_e32 0x5f, v[22:23]
	s_cbranch_execz .LBB23_23
; %bb.20:
	v_lshl_add_u64 v[18:19], v[14:15], 2, s[8:9]
	s_mov_b32 s7, 0
	s_delay_alu instid0(VALU_DEP_1)
	v_add_nc_u64_e32 v[18:19], 0x100, v[18:19]
.LBB23_21:                              ; =>This Inner Loop Header: Depth=1
	s_clause 0x3
	global_load_b128 v[22:25], v[16:17], off
	global_load_b128 v[26:29], v[16:17], off offset:16
	global_load_b128 v[30:33], v[16:17], off offset:32
	;; [unrolled: 1-line block ×3, first 2 shown]
	s_clause 0x1
	global_load_b32 v3, v[18:19], off offset:-256
	global_load_b32 v76, v[18:19], off offset:-128
	s_clause 0x5
	global_load_b128 v[38:41], v[16:17], off offset:2048
	global_load_b128 v[42:45], v[16:17], off offset:2064
	;; [unrolled: 1-line block ×6, first 2 shown]
	s_clause 0x1
	global_load_b32 v84, v[18:19], off
	global_load_b32 v85, v[18:19], off offset:128
	s_clause 0x2
	global_load_b128 v[62:65], v[16:17], off offset:6144
	global_load_b128 v[66:69], v[16:17], off offset:4144
	;; [unrolled: 1-line block ×3, first 2 shown]
	v_add_nc_u64_e32 v[14:15], 0x80, v[14:15]
	s_wait_xcnt 0x3
	v_add_nc_u64_e32 v[18:19], 0x200, v[18:19]
	s_delay_alu instid0(VALU_DEP_2)
	v_cmp_ge_i64_e32 vcc_lo, v[14:15], v[6:7]
	s_or_b32 s7, vcc_lo, s7
	s_wait_loadcnt 0xf
	v_dual_mov_b32 v74, v22 :: v_dual_mov_b32 v75, v26
	s_wait_loadcnt 0xd
	v_dual_mov_b32 v80, v30 :: v_dual_mov_b32 v81, v34
	s_wait_loadcnt 0xc
	v_subrev_nc_u32_e32 v3, s16, v3
	s_wait_loadcnt 0xb
	v_subrev_nc_u32_e32 v30, s16, v76
	v_dual_mov_b32 v26, v23 :: v_dual_mov_b32 v78, v24
	v_dual_mov_b32 v79, v28 :: v_dual_mov_b32 v28, v25
	s_delay_alu instid0(VALU_DEP_3) | instskip(SKIP_3) | instid1(VALU_DEP_3)
	v_dual_lshlrev_b32 v22, 2, v3 :: v_dual_lshlrev_b32 v30, 2, v30
	s_wait_loadcnt 0x4
	v_subrev_nc_u32_e32 v3, s16, v84
	v_dual_mov_b32 v34, v31 :: v_dual_mov_b32 v82, v32
	v_ashrrev_i32_e32 v23, 31, v22
	s_wait_loadcnt 0x3
	v_subrev_nc_u32_e32 v84, s16, v85
	v_dual_ashrrev_i32 v31, 31, v30 :: v_dual_mov_b32 v83, v36
	v_mov_b32_e32 v36, v33
	s_wait_kmcnt 0x0
	v_lshl_add_u64 v[22:23], v[22:23], 2, s[4:5]
	v_lshlrev_b32_e32 v84, 2, v84
	v_lshl_add_u64 v[30:31], v[30:31], 2, s[4:5]
	global_load_b128 v[22:25], v[22:23], off
	v_ashrrev_i32_e32 v85, 31, v84
	global_load_b128 v[30:33], v[30:31], off
	s_wait_loadcnt 0x1
	v_pk_fma_f32 v[20:21], v[80:81], v[22:23], v[20:21] op_sel_hi:[1,0,1]
	v_lshlrev_b32_e32 v80, 2, v3
	v_pk_fma_f32 v[10:11], v[74:75], v[22:23], v[10:11] op_sel_hi:[1,0,1]
	global_load_b128 v[74:77], v[16:17], off offset:6176
	v_pk_fma_f32 v[20:21], v[34:35], v[22:23], v[20:21] op_sel:[0,1,0]
	v_ashrrev_i32_e32 v81, 31, v80
	v_pk_fma_f32 v[10:11], v[26:27], v[22:23], v[10:11] op_sel:[0,1,0]
	s_delay_alu instid0(VALU_DEP_3) | instskip(SKIP_1) | instid1(VALU_DEP_4)
	v_pk_fma_f32 v[34:35], v[82:83], v[24:25], v[20:21] op_sel_hi:[1,0,1]
	v_mov_b32_e32 v82, v25
	v_lshl_add_u64 v[80:81], v[80:81], 2, s[4:5]
	s_delay_alu instid0(VALU_DEP_4)
	v_pk_fma_f32 v[10:11], v[78:79], v[24:25], v[10:11] op_sel_hi:[1,0,1]
	s_clause 0x1
	global_load_b128 v[20:23], v[16:17], off offset:6160
	global_load_b128 v[24:27], v[16:17], off offset:6192
	s_wait_xcnt 0x0
	v_add_nc_u64_e32 v[16:17], 0x2000, v[16:17]
	global_load_b128 v[78:81], v[80:81], off
	v_pk_fma_f32 v[10:11], v[28:29], v[82:83], v[10:11] op_sel_hi:[1,0,1]
	v_lshl_add_u64 v[28:29], v[84:85], 2, s[4:5]
	v_pk_fma_f32 v[82:83], v[36:37], v[82:83], v[34:35] op_sel_hi:[1,0,1]
	global_load_b128 v[34:37], v[28:29], off
	s_wait_xcnt 0x0
	v_dual_mov_b32 v28, v38 :: v_dual_mov_b32 v29, v42
	v_dual_mov_b32 v42, v39 :: v_dual_mov_b32 v38, v40
	;; [unrolled: 1-line block ×4, first 2 shown]
	v_mov_b32_e32 v50, v47
	s_wait_loadcnt 0x5
	v_pk_fma_f32 v[10:11], v[28:29], v[30:31], v[10:11] op_sel_hi:[1,0,1]
	s_delay_alu instid0(VALU_DEP_3) | instskip(SKIP_1) | instid1(VALU_DEP_3)
	v_pk_fma_f32 v[28:29], v[40:41], v[30:31], v[82:83] op_sel_hi:[1,0,1]
	v_dual_mov_b32 v40, v48 :: v_dual_mov_b32 v41, v52
	v_pk_fma_f32 v[10:11], v[42:43], v[30:31], v[10:11] op_sel:[0,1,0]
	v_mov_b32_e32 v52, v49
	s_delay_alu instid0(VALU_DEP_4) | instskip(SKIP_1) | instid1(VALU_DEP_4)
	v_pk_fma_f32 v[28:29], v[50:51], v[30:31], v[28:29] op_sel:[0,1,0]
	v_dual_mov_b32 v31, v58 :: v_dual_mov_b32 v42, v33
	v_pk_fma_f32 v[10:11], v[38:39], v[32:33], v[10:11] op_sel_hi:[1,0,1]
	v_mov_b32_e32 v30, v54
	s_delay_alu instid0(VALU_DEP_4) | instskip(SKIP_3) | instid1(VALU_DEP_4)
	v_pk_fma_f32 v[28:29], v[40:41], v[32:33], v[28:29] op_sel_hi:[1,0,1]
	v_dual_mov_b32 v58, v55 :: v_dual_mov_b32 v32, v70
	v_dual_mov_b32 v33, v66 :: v_dual_mov_b32 v38, v56
	v_pk_fma_f32 v[10:11], v[44:45], v[42:43], v[10:11] op_sel_hi:[1,0,1]
	v_pk_fma_f32 v[28:29], v[52:53], v[42:43], v[28:29] op_sel_hi:[1,0,1]
	v_dual_mov_b32 v39, v60 :: v_dual_mov_b32 v66, v71
	v_mov_b32_e32 v60, v57
	s_wait_loadcnt 0x1
	v_pk_fma_f32 v[10:11], v[30:31], v[78:79], v[10:11] op_sel_hi:[1,0,1]
	v_pk_fma_f32 v[28:29], v[32:33], v[78:79], v[28:29] op_sel_hi:[1,0,1]
	v_dual_mov_b32 v30, v72 :: v_dual_mov_b32 v31, v68
	v_mov_b32_e32 v68, v73
	s_delay_alu instid0(VALU_DEP_4) | instskip(NEXT) | instid1(VALU_DEP_4)
	v_pk_fma_f32 v[10:11], v[58:59], v[78:79], v[10:11] op_sel:[0,1,0]
	v_pk_fma_f32 v[28:29], v[66:67], v[78:79], v[28:29] op_sel:[0,1,0]
	v_dual_mov_b32 v32, v62 :: v_dual_mov_b32 v40, v81
	v_mov_b32_e32 v33, v20
	s_delay_alu instid0(VALU_DEP_4) | instskip(NEXT) | instid1(VALU_DEP_4)
	v_pk_fma_f32 v[10:11], v[38:39], v[80:81], v[10:11] op_sel_hi:[1,0,1]
	v_pk_fma_f32 v[28:29], v[30:31], v[80:81], v[28:29] op_sel_hi:[1,0,1]
	v_dual_mov_b32 v30, v74 :: v_dual_mov_b32 v31, v24
	v_mov_b32_e32 v20, v63
	s_delay_alu instid0(VALU_DEP_4) | instskip(NEXT) | instid1(VALU_DEP_4)
	v_pk_fma_f32 v[10:11], v[60:61], v[40:41], v[10:11] op_sel_hi:[1,0,1]
	v_pk_fma_f32 v[28:29], v[68:69], v[40:41], v[28:29] op_sel_hi:[1,0,1]
	v_dual_mov_b32 v38, v64 :: v_dual_mov_b32 v24, v75
	v_mov_b32_e32 v39, v22
	s_wait_loadcnt 0x0
	v_pk_fma_f32 v[10:11], v[32:33], v[34:35], v[10:11] op_sel_hi:[1,0,1]
	v_pk_fma_f32 v[28:29], v[30:31], v[34:35], v[28:29] op_sel_hi:[1,0,1]
	v_dual_mov_b32 v30, v76 :: v_dual_mov_b32 v31, v26
	v_mov_b32_e32 v22, v65
	s_delay_alu instid0(VALU_DEP_4) | instskip(NEXT) | instid1(VALU_DEP_4)
	v_pk_fma_f32 v[10:11], v[20:21], v[34:35], v[10:11] op_sel:[0,1,0]
	v_pk_fma_f32 v[20:21], v[24:25], v[34:35], v[28:29] op_sel:[0,1,0]
	v_dual_mov_b32 v26, v77 :: v_dual_mov_b32 v24, v37
	s_delay_alu instid0(VALU_DEP_3) | instskip(NEXT) | instid1(VALU_DEP_3)
	v_pk_fma_f32 v[10:11], v[38:39], v[36:37], v[10:11] op_sel_hi:[1,0,1]
	v_pk_fma_f32 v[20:21], v[30:31], v[36:37], v[20:21] op_sel_hi:[1,0,1]
	s_delay_alu instid0(VALU_DEP_2) | instskip(NEXT) | instid1(VALU_DEP_2)
	v_pk_fma_f32 v[10:11], v[22:23], v[24:25], v[10:11] op_sel_hi:[1,0,1]
	v_pk_fma_f32 v[20:21], v[26:27], v[24:25], v[20:21] op_sel_hi:[1,0,1]
	s_and_not1_b32 exec_lo, exec_lo, s7
	s_cbranch_execnz .LBB23_21
; %bb.22:
	s_or_b32 exec_lo, exec_lo, s7
	s_delay_alu instid0(VALU_DEP_1)
	v_dual_mov_b32 v19, v21 :: v_dual_mov_b32 v18, v20
.LBB23_23:
	s_or_b32 exec_lo, exec_lo, s6
.LBB23_24:
	s_delay_alu instid0(SALU_CYCLE_1)
	s_or_b32 exec_lo, exec_lo, s3
	s_cbranch_execz .LBB23_26
	s_branch .LBB23_37
.LBB23_25:
                                        ; implicit-def: $vgpr19
                                        ; implicit-def: $vgpr11
.LBB23_26:
	v_dual_mov_b32 v19, 0 :: v_dual_mov_b32 v18, 0
	v_dual_mov_b32 v11, 0 :: v_dual_mov_b32 v10, 0
	s_and_saveexec_b32 s3, s2
	s_cbranch_execz .LBB23_36
; %bb.27:
	v_dual_mov_b32 v11, v1 :: v_dual_bitop2_b32 v10, 32, v0 bitop3:0x54
	v_sub_nc_u64_e32 v[14:15], s[16:17], v[0:1]
	v_mov_b32_e32 v18, 0
	s_delay_alu instid0(VALU_DEP_3) | instskip(NEXT) | instid1(VALU_DEP_1)
	v_sub_nc_u64_e64 v[10:11], v[10:11], s[16:17]
	v_add_nc_u64_e32 v[10:11], v[10:11], v[12:13]
	v_not_b32_e32 v13, v13
	v_not_b32_e32 v12, v12
	s_delay_alu instid0(VALU_DEP_1) | instskip(NEXT) | instid1(VALU_DEP_4)
	v_add_nc_u64_e32 v[12:13], v[14:15], v[12:13]
	v_max_i64 v[10:11], v[10:11], v[6:7]
	v_mov_b32_e32 v15, v18
	s_delay_alu instid0(VALU_DEP_2) | instskip(SKIP_1) | instid1(VALU_DEP_2)
	v_add_nc_u64_e32 v[12:13], v[12:13], v[10:11]
	v_mov_b64_e32 v[10:11], 0
	v_and_b32_e32 v14, 0x60, v12
	s_delay_alu instid0(VALU_DEP_1)
	v_cmp_ne_u64_e32 vcc_lo, 0x60, v[14:15]
	v_mov_b64_e32 v[14:15], 0
	s_and_saveexec_b32 s2, vcc_lo
	s_cbranch_execz .LBB23_31
; %bb.28:
	v_dual_lshrrev_b32 v1, 5, v12 :: v_dual_mov_b32 v11, v18
	v_lshl_add_u64 v[14:15], v[4:5], 2, s[8:9]
	s_mov_b32 s6, 0
	s_delay_alu instid0(VALU_DEP_2) | instskip(NEXT) | instid1(VALU_DEP_1)
	v_dual_mov_b32 v19, v18 :: v_dual_add_nc_u32 v1, 1, v1
	v_and_b32_e32 v10, 3, v1
	s_delay_alu instid0(VALU_DEP_1)
	v_sub_nc_u64_e32 v[16:17], 0, v[10:11]
	v_mov_b32_e32 v10, v18
.LBB23_29:                              ; =>This Inner Loop Header: Depth=1
	global_load_b32 v1, v[14:15], off
	v_add_nc_u64_e32 v[16:17], 1, v[16:17]
	v_add_nc_u64_e32 v[4:5], 32, v[4:5]
	s_wait_xcnt 0x0
	v_add_nc_u64_e32 v[14:15], 0x80, v[14:15]
	s_delay_alu instid0(VALU_DEP_3) | instskip(SKIP_3) | instid1(VALU_DEP_1)
	v_cmp_eq_u64_e32 vcc_lo, 0, v[16:17]
	s_or_b32 s6, vcc_lo, s6
	s_wait_loadcnt 0x0
	v_subrev_nc_u32_e32 v1, s16, v1
	v_lshlrev_b32_e32 v20, 2, v1
	s_delay_alu instid0(VALU_DEP_1) | instskip(SKIP_1) | instid1(VALU_DEP_1)
	v_ashrrev_i32_e32 v21, 31, v20
	s_wait_kmcnt 0x0
	v_lshl_add_u64 v[40:41], v[20:21], 2, s[4:5]
	s_clause 0x1
	global_load_b128 v[20:23], v[8:9], off offset:16
	global_load_b128 v[24:27], v[8:9], off
	global_load_b128 v[28:31], v[40:41], off
	s_clause 0x1
	global_load_b128 v[32:35], v[8:9], off offset:32
	global_load_b128 v[36:39], v[8:9], off offset:48
	s_wait_xcnt 0x0
	v_add_nc_u64_e32 v[8:9], 0x800, v[8:9]
	s_wait_loadcnt 0x2
	v_pk_fma_f32 v[10:11], v[24:25], v[28:29], v[10:11] op_sel_hi:[1,0,1]
	v_pk_fma_f32 v[18:19], v[26:27], v[28:29], v[18:19] op_sel_hi:[1,0,1]
	s_delay_alu instid0(VALU_DEP_2) | instskip(NEXT) | instid1(VALU_DEP_2)
	v_pk_fma_f32 v[10:11], v[20:21], v[28:29], v[10:11] op_sel:[0,1,0]
	v_pk_fma_f32 v[18:19], v[22:23], v[28:29], v[18:19] op_sel:[0,1,0]
	v_mov_b32_e32 v20, v31
	s_wait_loadcnt 0x1
	s_delay_alu instid0(VALU_DEP_3) | instskip(NEXT) | instid1(VALU_DEP_3)
	v_pk_fma_f32 v[10:11], v[32:33], v[30:31], v[10:11] op_sel_hi:[1,0,1]
	v_pk_fma_f32 v[18:19], v[34:35], v[30:31], v[18:19] op_sel_hi:[1,0,1]
	s_wait_loadcnt 0x0
	s_delay_alu instid0(VALU_DEP_2) | instskip(NEXT) | instid1(VALU_DEP_2)
	v_pk_fma_f32 v[10:11], v[36:37], v[20:21], v[10:11] op_sel_hi:[1,0,1]
	v_pk_fma_f32 v[18:19], v[38:39], v[20:21], v[18:19] op_sel_hi:[1,0,1]
	s_and_not1_b32 exec_lo, exec_lo, s6
	s_cbranch_execnz .LBB23_29
; %bb.30:
	s_or_b32 exec_lo, exec_lo, s6
	s_delay_alu instid0(VALU_DEP_1)
	v_mov_b64_e32 v[14:15], v[18:19]
.LBB23_31:
	s_or_b32 exec_lo, exec_lo, s2
	s_delay_alu instid0(SALU_CYCLE_1)
	s_mov_b32 s2, exec_lo
	v_cmpx_lt_u64_e32 0x5f, v[12:13]
	s_cbranch_execz .LBB23_35
; %bb.32:
	v_lshl_add_u64 v[12:13], v[4:5], 2, s[8:9]
	s_mov_b32 s6, 0
	s_delay_alu instid0(VALU_DEP_1)
	v_add_nc_u64_e32 v[12:13], 0x100, v[12:13]
.LBB23_33:                              ; =>This Inner Loop Header: Depth=1
	s_clause 0x2
	global_load_b32 v1, v[12:13], off offset:-256
	global_load_b32 v3, v[12:13], off offset:-128
	global_load_b32 v46, v[12:13], off
	s_clause 0x2
	global_load_b128 v[16:19], v[8:9], off offset:32
	global_load_b128 v[20:23], v[8:9], off offset:16
	global_load_b128 v[24:27], v[8:9], off
	global_load_b32 v66, v[12:13], off offset:128
	v_add_nc_u64_e32 v[4:5], 0x80, v[4:5]
	s_wait_xcnt 0x0
	v_add_nc_u64_e32 v[12:13], 0x200, v[12:13]
	s_delay_alu instid0(VALU_DEP_2)
	v_cmp_ge_i64_e32 vcc_lo, v[4:5], v[6:7]
	s_or_b32 s6, vcc_lo, s6
	s_wait_loadcnt 0x6
	v_subrev_nc_u32_e32 v1, s16, v1
	s_wait_loadcnt 0x5
	v_subrev_nc_u32_e32 v3, s16, v3
	s_delay_alu instid0(VALU_DEP_1) | instskip(SKIP_2) | instid1(VALU_DEP_1)
	v_dual_lshlrev_b32 v28, 2, v1 :: v_dual_lshlrev_b32 v40, 2, v3
	s_wait_loadcnt 0x4
	v_subrev_nc_u32_e32 v1, s16, v46
	v_dual_ashrrev_i32 v29, 31, v28 :: v_dual_lshlrev_b32 v60, 2, v1
	s_wait_loadcnt 0x0
	v_subrev_nc_u32_e32 v1, s16, v66
	v_ashrrev_i32_e32 v41, 31, v40
	s_wait_kmcnt 0x0
	v_lshl_add_u64 v[36:37], v[28:29], 2, s[4:5]
	global_load_b128 v[28:31], v[36:37], off
	global_load_b128 v[32:35], v[8:9], off offset:48
	v_lshlrev_b32_e32 v76, 2, v1
	v_lshl_add_u64 v[44:45], v[40:41], 2, s[4:5]
	s_clause 0x2
	global_load_b128 v[36:39], v[8:9], off offset:2064
	global_load_b128 v[40:43], v[8:9], off offset:2048
	;; [unrolled: 1-line block ×3, first 2 shown]
	v_ashrrev_i32_e32 v61, 31, v60
	global_load_b128 v[44:47], v[44:45], off
	s_clause 0x1
	global_load_b128 v[52:55], v[8:9], off offset:2096
	global_load_b128 v[56:59], v[8:9], off offset:4112
	v_ashrrev_i32_e32 v77, 31, v76
	s_wait_loadcnt 0x7
	v_pk_fma_f32 v[10:11], v[24:25], v[28:29], v[10:11] op_sel_hi:[1,0,1]
	v_pk_fma_f32 v[14:15], v[26:27], v[28:29], v[14:15] op_sel_hi:[1,0,1]
	s_delay_alu instid0(VALU_DEP_2) | instskip(NEXT) | instid1(VALU_DEP_2)
	v_pk_fma_f32 v[10:11], v[20:21], v[28:29], v[10:11] op_sel:[0,1,0]
	v_pk_fma_f32 v[14:15], v[22:23], v[28:29], v[14:15] op_sel:[0,1,0]
	v_mov_b32_e32 v28, v31
	v_lshl_add_u64 v[64:65], v[60:61], 2, s[4:5]
	global_load_b128 v[60:63], v[8:9], off offset:4096
	v_pk_fma_f32 v[10:11], v[16:17], v[30:31], v[10:11] op_sel_hi:[1,0,1]
	v_pk_fma_f32 v[18:19], v[18:19], v[30:31], v[14:15] op_sel_hi:[1,0,1]
	global_load_b128 v[64:67], v[64:65], off
	s_clause 0x1
	global_load_b128 v[68:71], v[8:9], off offset:4144
	global_load_b128 v[72:75], v[8:9], off offset:4128
	s_wait_loadcnt 0xa
	v_pk_fma_f32 v[10:11], v[32:33], v[28:29], v[10:11] op_sel_hi:[1,0,1]
	s_wait_loadcnt 0x6
	v_mov_b32_e32 v32, v47
	v_lshl_add_u64 v[80:81], v[76:77], 2, s[4:5]
	s_clause 0x1
	global_load_b128 v[24:27], v[8:9], off offset:6160
	global_load_b128 v[20:23], v[8:9], off offset:6144
	global_load_b128 v[76:79], v[80:81], off
	global_load_b128 v[14:17], v[8:9], off offset:6176
	v_pk_fma_f32 v[18:19], v[34:35], v[28:29], v[18:19] op_sel_hi:[1,0,1]
	global_load_b128 v[28:31], v[8:9], off offset:6192
	v_pk_fma_f32 v[10:11], v[40:41], v[44:45], v[10:11] op_sel_hi:[1,0,1]
	s_wait_xcnt 0x0
	v_add_nc_u64_e32 v[8:9], 0x2000, v[8:9]
	v_pk_fma_f32 v[18:19], v[42:43], v[44:45], v[18:19] op_sel_hi:[1,0,1]
	s_delay_alu instid0(VALU_DEP_3) | instskip(NEXT) | instid1(VALU_DEP_2)
	v_pk_fma_f32 v[10:11], v[36:37], v[44:45], v[10:11] op_sel:[0,1,0]
	v_pk_fma_f32 v[18:19], v[38:39], v[44:45], v[18:19] op_sel:[0,1,0]
	s_delay_alu instid0(VALU_DEP_2) | instskip(NEXT) | instid1(VALU_DEP_2)
	v_pk_fma_f32 v[10:11], v[48:49], v[46:47], v[10:11] op_sel_hi:[1,0,1]
	v_pk_fma_f32 v[18:19], v[50:51], v[46:47], v[18:19] op_sel_hi:[1,0,1]
	s_wait_loadcnt 0xa
	s_delay_alu instid0(VALU_DEP_2) | instskip(NEXT) | instid1(VALU_DEP_2)
	v_pk_fma_f32 v[10:11], v[52:53], v[32:33], v[10:11] op_sel_hi:[1,0,1]
	v_pk_fma_f32 v[18:19], v[54:55], v[32:33], v[18:19] op_sel_hi:[1,0,1]
	s_wait_loadcnt 0x7
	s_delay_alu instid0(VALU_DEP_2) | instskip(NEXT) | instid1(VALU_DEP_2)
	v_pk_fma_f32 v[10:11], v[60:61], v[64:65], v[10:11] op_sel_hi:[1,0,1]
	v_pk_fma_f32 v[18:19], v[62:63], v[64:65], v[18:19] op_sel_hi:[1,0,1]
	v_mov_b32_e32 v32, v67
	s_delay_alu instid0(VALU_DEP_3) | instskip(NEXT) | instid1(VALU_DEP_3)
	v_pk_fma_f32 v[10:11], v[56:57], v[64:65], v[10:11] op_sel:[0,1,0]
	v_pk_fma_f32 v[18:19], v[58:59], v[64:65], v[18:19] op_sel:[0,1,0]
	s_wait_loadcnt 0x5
	s_delay_alu instid0(VALU_DEP_2) | instskip(NEXT) | instid1(VALU_DEP_2)
	v_pk_fma_f32 v[10:11], v[72:73], v[66:67], v[10:11] op_sel_hi:[1,0,1]
	v_pk_fma_f32 v[18:19], v[74:75], v[66:67], v[18:19] op_sel_hi:[1,0,1]
	s_delay_alu instid0(VALU_DEP_2) | instskip(SKIP_1) | instid1(VALU_DEP_1)
	v_pk_fma_f32 v[10:11], v[68:69], v[32:33], v[10:11] op_sel_hi:[1,0,1]
	s_wait_loadcnt 0x2
	v_pk_fma_f32 v[10:11], v[20:21], v[76:77], v[10:11] op_sel_hi:[1,0,1]
	v_mov_b32_e32 v20, v79
	v_pk_fma_f32 v[18:19], v[70:71], v[32:33], v[18:19] op_sel_hi:[1,0,1]
	s_delay_alu instid0(VALU_DEP_3) | instskip(NEXT) | instid1(VALU_DEP_2)
	v_pk_fma_f32 v[10:11], v[24:25], v[76:77], v[10:11] op_sel:[0,1,0]
	v_pk_fma_f32 v[18:19], v[22:23], v[76:77], v[18:19] op_sel_hi:[1,0,1]
	s_wait_loadcnt 0x1
	s_delay_alu instid0(VALU_DEP_2) | instskip(NEXT) | instid1(VALU_DEP_2)
	v_pk_fma_f32 v[10:11], v[14:15], v[78:79], v[10:11] op_sel_hi:[1,0,1]
	v_pk_fma_f32 v[18:19], v[26:27], v[76:77], v[18:19] op_sel:[0,1,0]
	s_wait_loadcnt 0x0
	s_delay_alu instid0(VALU_DEP_2) | instskip(NEXT) | instid1(VALU_DEP_2)
	v_pk_fma_f32 v[10:11], v[28:29], v[20:21], v[10:11] op_sel_hi:[1,0,1]
	v_pk_fma_f32 v[14:15], v[16:17], v[78:79], v[18:19] op_sel_hi:[1,0,1]
	s_delay_alu instid0(VALU_DEP_1)
	v_pk_fma_f32 v[14:15], v[30:31], v[20:21], v[14:15] op_sel_hi:[1,0,1]
	s_and_not1_b32 exec_lo, exec_lo, s6
	s_cbranch_execnz .LBB23_33
; %bb.34:
	s_or_b32 exec_lo, exec_lo, s6
	s_delay_alu instid0(VALU_DEP_1)
	v_dual_mov_b32 v19, v15 :: v_dual_mov_b32 v18, v14
.LBB23_35:
	s_or_b32 exec_lo, exec_lo, s2
.LBB23_36:
	s_delay_alu instid0(SALU_CYCLE_1)
	s_or_b32 exec_lo, exec_lo, s3
.LBB23_37:
	v_mbcnt_lo_u32_b32 v1, -1, 0
	s_mov_b32 s2, -1
	s_delay_alu instid0(VALU_DEP_1) | instskip(NEXT) | instid1(VALU_DEP_1)
	v_xor_b32_e32 v3, 16, v1
	v_cmp_gt_i32_e32 vcc_lo, 32, v3
	v_cndmask_b32_e32 v3, v1, v3, vcc_lo
	s_delay_alu instid0(VALU_DEP_1)
	v_lshlrev_b32_e32 v3, 2, v3
	ds_bpermute_b32 v4, v3, v10
	ds_bpermute_b32 v5, v3, v11
	ds_bpermute_b32 v6, v3, v18
	ds_bpermute_b32 v7, v3, v19
	v_xor_b32_e32 v3, 8, v1
	s_delay_alu instid0(VALU_DEP_1) | instskip(SKIP_1) | instid1(VALU_DEP_1)
	v_cmp_gt_i32_e32 vcc_lo, 32, v3
	v_cndmask_b32_e32 v3, v1, v3, vcc_lo
	v_lshlrev_b32_e32 v3, 2, v3
	s_wait_dscnt 0x2
	v_pk_add_f32 v[4:5], v[10:11], v[4:5]
	s_wait_dscnt 0x0
	v_pk_add_f32 v[6:7], v[18:19], v[6:7]
	ds_bpermute_b32 v8, v3, v4
	ds_bpermute_b32 v9, v3, v5
	ds_bpermute_b32 v10, v3, v6
	ds_bpermute_b32 v11, v3, v7
	v_xor_b32_e32 v3, 4, v1
	s_delay_alu instid0(VALU_DEP_1) | instskip(SKIP_1) | instid1(VALU_DEP_1)
	v_cmp_gt_i32_e32 vcc_lo, 32, v3
	v_cndmask_b32_e32 v3, v1, v3, vcc_lo
	v_lshlrev_b32_e32 v3, 2, v3
	s_wait_dscnt 0x2
	v_pk_add_f32 v[4:5], v[4:5], v[8:9]
	s_wait_dscnt 0x0
	v_pk_add_f32 v[6:7], v[6:7], v[10:11]
	;; [unrolled: 13-line block ×3, first 2 shown]
	ds_bpermute_b32 v8, v3, v4
	ds_bpermute_b32 v9, v3, v5
	;; [unrolled: 1-line block ×4, first 2 shown]
	v_xor_b32_e32 v3, 1, v1
	s_delay_alu instid0(VALU_DEP_1) | instskip(SKIP_2) | instid1(VALU_DEP_2)
	v_cmp_gt_i32_e32 vcc_lo, 32, v3
	v_cndmask_b32_e32 v1, v1, v3, vcc_lo
	v_cmp_eq_u32_e32 vcc_lo, 31, v0
	v_lshlrev_b32_e32 v1, 2, v1
	s_wait_dscnt 0x2
	v_pk_add_f32 v[4:5], v[4:5], v[8:9]
	s_wait_dscnt 0x0
	v_pk_add_f32 v[6:7], v[6:7], v[10:11]
	ds_bpermute_b32 v10, v1, v4
	ds_bpermute_b32 v11, v1, v5
	ds_bpermute_b32 v8, v1, v6
	ds_bpermute_b32 v9, v1, v7
	s_and_b32 exec_lo, exec_lo, vcc_lo
	s_cbranch_execz .LBB23_10
; %bb.38:
	s_load_b64 s[0:1], s[0:1], 0x50
	s_wait_dscnt 0x2
	v_pk_add_f32 v[4:5], v[4:5], v[10:11]
	s_wait_dscnt 0x0
	v_pk_add_f32 v[0:1], v[6:7], v[8:9]
	v_lshlrev_b32_e32 v2, 2, v2
	s_cmp_eq_f32 s14, 0
	s_cbranch_scc0 .LBB23_40
; %bb.39:
	s_delay_alu instid0(VALU_DEP_1)
	v_ashrrev_i32_e32 v3, 31, v2
	v_pk_mul_f32 v[6:7], s[12:13], v[4:5] op_sel_hi:[0,1]
	v_pk_mul_f32 v[8:9], s[12:13], v[0:1] op_sel_hi:[0,1]
	s_mov_b32 s2, 0
	s_wait_kmcnt 0x0
	v_lshl_add_u64 v[10:11], v[2:3], 2, s[0:1]
	global_store_b128 v[10:11], v[6:9], off
.LBB23_40:
	s_and_not1_b32 vcc_lo, exec_lo, s2
	s_cbranch_vccnz .LBB23_10
; %bb.41:
	v_ashrrev_i32_e32 v3, 31, v2
	s_wait_kmcnt 0x0
	s_delay_alu instid0(VALU_DEP_1)
	v_lshl_add_u64 v[10:11], v[2:3], 2, s[0:1]
	v_pk_mul_f32 v[2:3], s[12:13], v[4:5] op_sel_hi:[0,1]
	v_pk_mul_f32 v[4:5], s[12:13], v[0:1] op_sel_hi:[0,1]
	global_load_b128 v[6:9], v[10:11], off
	s_wait_loadcnt 0x0
	v_pk_fma_f32 v[0:1], s[14:15], v[6:7], v[2:3] op_sel_hi:[0,1,1]
	v_pk_fma_f32 v[2:3], s[14:15], v[8:9], v[4:5] op_sel_hi:[0,1,1]
	global_store_b128 v[10:11], v[0:3], off
	s_sendmsg sendmsg(MSG_DEALLOC_VGPRS)
	s_endpgm
	.section	.rodata,"a",@progbits
	.p2align	6, 0x0
	.amdhsa_kernel _ZN9rocsparseL18bsrxmvn_4x4_kernelILj128ELj32EflifffEEvT3_20rocsparse_direction_NS_24const_host_device_scalarIT1_EES1_PKS1_PKT2_SA_S7_PKT4_PKT5_S5_PT6_21rocsparse_index_base_b
		.amdhsa_group_segment_fixed_size 0
		.amdhsa_private_segment_fixed_size 0
		.amdhsa_kernarg_size 96
		.amdhsa_user_sgpr_count 2
		.amdhsa_user_sgpr_dispatch_ptr 0
		.amdhsa_user_sgpr_queue_ptr 0
		.amdhsa_user_sgpr_kernarg_segment_ptr 1
		.amdhsa_user_sgpr_dispatch_id 0
		.amdhsa_user_sgpr_kernarg_preload_length 0
		.amdhsa_user_sgpr_kernarg_preload_offset 0
		.amdhsa_user_sgpr_private_segment_size 0
		.amdhsa_wavefront_size32 1
		.amdhsa_uses_dynamic_stack 0
		.amdhsa_enable_private_segment 0
		.amdhsa_system_sgpr_workgroup_id_x 1
		.amdhsa_system_sgpr_workgroup_id_y 0
		.amdhsa_system_sgpr_workgroup_id_z 0
		.amdhsa_system_sgpr_workgroup_info 0
		.amdhsa_system_vgpr_workitem_id 0
		.amdhsa_next_free_vgpr 86
		.amdhsa_next_free_sgpr 18
		.amdhsa_named_barrier_count 0
		.amdhsa_reserve_vcc 1
		.amdhsa_float_round_mode_32 0
		.amdhsa_float_round_mode_16_64 0
		.amdhsa_float_denorm_mode_32 3
		.amdhsa_float_denorm_mode_16_64 3
		.amdhsa_fp16_overflow 0
		.amdhsa_memory_ordered 1
		.amdhsa_forward_progress 1
		.amdhsa_inst_pref_size 33
		.amdhsa_round_robin_scheduling 0
		.amdhsa_exception_fp_ieee_invalid_op 0
		.amdhsa_exception_fp_denorm_src 0
		.amdhsa_exception_fp_ieee_div_zero 0
		.amdhsa_exception_fp_ieee_overflow 0
		.amdhsa_exception_fp_ieee_underflow 0
		.amdhsa_exception_fp_ieee_inexact 0
		.amdhsa_exception_int_div_zero 0
	.end_amdhsa_kernel
	.section	.text._ZN9rocsparseL18bsrxmvn_4x4_kernelILj128ELj32EflifffEEvT3_20rocsparse_direction_NS_24const_host_device_scalarIT1_EES1_PKS1_PKT2_SA_S7_PKT4_PKT5_S5_PT6_21rocsparse_index_base_b,"axG",@progbits,_ZN9rocsparseL18bsrxmvn_4x4_kernelILj128ELj32EflifffEEvT3_20rocsparse_direction_NS_24const_host_device_scalarIT1_EES1_PKS1_PKT2_SA_S7_PKT4_PKT5_S5_PT6_21rocsparse_index_base_b,comdat
.Lfunc_end23:
	.size	_ZN9rocsparseL18bsrxmvn_4x4_kernelILj128ELj32EflifffEEvT3_20rocsparse_direction_NS_24const_host_device_scalarIT1_EES1_PKS1_PKT2_SA_S7_PKT4_PKT5_S5_PT6_21rocsparse_index_base_b, .Lfunc_end23-_ZN9rocsparseL18bsrxmvn_4x4_kernelILj128ELj32EflifffEEvT3_20rocsparse_direction_NS_24const_host_device_scalarIT1_EES1_PKS1_PKT2_SA_S7_PKT4_PKT5_S5_PT6_21rocsparse_index_base_b
                                        ; -- End function
	.set _ZN9rocsparseL18bsrxmvn_4x4_kernelILj128ELj32EflifffEEvT3_20rocsparse_direction_NS_24const_host_device_scalarIT1_EES1_PKS1_PKT2_SA_S7_PKT4_PKT5_S5_PT6_21rocsparse_index_base_b.num_vgpr, 86
	.set _ZN9rocsparseL18bsrxmvn_4x4_kernelILj128ELj32EflifffEEvT3_20rocsparse_direction_NS_24const_host_device_scalarIT1_EES1_PKS1_PKT2_SA_S7_PKT4_PKT5_S5_PT6_21rocsparse_index_base_b.num_agpr, 0
	.set _ZN9rocsparseL18bsrxmvn_4x4_kernelILj128ELj32EflifffEEvT3_20rocsparse_direction_NS_24const_host_device_scalarIT1_EES1_PKS1_PKT2_SA_S7_PKT4_PKT5_S5_PT6_21rocsparse_index_base_b.numbered_sgpr, 18
	.set _ZN9rocsparseL18bsrxmvn_4x4_kernelILj128ELj32EflifffEEvT3_20rocsparse_direction_NS_24const_host_device_scalarIT1_EES1_PKS1_PKT2_SA_S7_PKT4_PKT5_S5_PT6_21rocsparse_index_base_b.num_named_barrier, 0
	.set _ZN9rocsparseL18bsrxmvn_4x4_kernelILj128ELj32EflifffEEvT3_20rocsparse_direction_NS_24const_host_device_scalarIT1_EES1_PKS1_PKT2_SA_S7_PKT4_PKT5_S5_PT6_21rocsparse_index_base_b.private_seg_size, 0
	.set _ZN9rocsparseL18bsrxmvn_4x4_kernelILj128ELj32EflifffEEvT3_20rocsparse_direction_NS_24const_host_device_scalarIT1_EES1_PKS1_PKT2_SA_S7_PKT4_PKT5_S5_PT6_21rocsparse_index_base_b.uses_vcc, 1
	.set _ZN9rocsparseL18bsrxmvn_4x4_kernelILj128ELj32EflifffEEvT3_20rocsparse_direction_NS_24const_host_device_scalarIT1_EES1_PKS1_PKT2_SA_S7_PKT4_PKT5_S5_PT6_21rocsparse_index_base_b.uses_flat_scratch, 0
	.set _ZN9rocsparseL18bsrxmvn_4x4_kernelILj128ELj32EflifffEEvT3_20rocsparse_direction_NS_24const_host_device_scalarIT1_EES1_PKS1_PKT2_SA_S7_PKT4_PKT5_S5_PT6_21rocsparse_index_base_b.has_dyn_sized_stack, 0
	.set _ZN9rocsparseL18bsrxmvn_4x4_kernelILj128ELj32EflifffEEvT3_20rocsparse_direction_NS_24const_host_device_scalarIT1_EES1_PKS1_PKT2_SA_S7_PKT4_PKT5_S5_PT6_21rocsparse_index_base_b.has_recursion, 0
	.set _ZN9rocsparseL18bsrxmvn_4x4_kernelILj128ELj32EflifffEEvT3_20rocsparse_direction_NS_24const_host_device_scalarIT1_EES1_PKS1_PKT2_SA_S7_PKT4_PKT5_S5_PT6_21rocsparse_index_base_b.has_indirect_call, 0
	.section	.AMDGPU.csdata,"",@progbits
; Kernel info:
; codeLenInByte = 4100
; TotalNumSgprs: 20
; NumVgprs: 86
; ScratchSize: 0
; MemoryBound: 1
; FloatMode: 240
; IeeeMode: 1
; LDSByteSize: 0 bytes/workgroup (compile time only)
; SGPRBlocks: 0
; VGPRBlocks: 5
; NumSGPRsForWavesPerEU: 20
; NumVGPRsForWavesPerEU: 86
; NamedBarCnt: 0
; Occupancy: 10
; WaveLimiterHint : 1
; COMPUTE_PGM_RSRC2:SCRATCH_EN: 0
; COMPUTE_PGM_RSRC2:USER_SGPR: 2
; COMPUTE_PGM_RSRC2:TRAP_HANDLER: 0
; COMPUTE_PGM_RSRC2:TGID_X_EN: 1
; COMPUTE_PGM_RSRC2:TGID_Y_EN: 0
; COMPUTE_PGM_RSRC2:TGID_Z_EN: 0
; COMPUTE_PGM_RSRC2:TIDIG_COMP_CNT: 0
	.section	.text._ZN9rocsparseL18bsrxmvn_4x4_kernelILj128ELj64EflifffEEvT3_20rocsparse_direction_NS_24const_host_device_scalarIT1_EES1_PKS1_PKT2_SA_S7_PKT4_PKT5_S5_PT6_21rocsparse_index_base_b,"axG",@progbits,_ZN9rocsparseL18bsrxmvn_4x4_kernelILj128ELj64EflifffEEvT3_20rocsparse_direction_NS_24const_host_device_scalarIT1_EES1_PKS1_PKT2_SA_S7_PKT4_PKT5_S5_PT6_21rocsparse_index_base_b,comdat
	.globl	_ZN9rocsparseL18bsrxmvn_4x4_kernelILj128ELj64EflifffEEvT3_20rocsparse_direction_NS_24const_host_device_scalarIT1_EES1_PKS1_PKT2_SA_S7_PKT4_PKT5_S5_PT6_21rocsparse_index_base_b ; -- Begin function _ZN9rocsparseL18bsrxmvn_4x4_kernelILj128ELj64EflifffEEvT3_20rocsparse_direction_NS_24const_host_device_scalarIT1_EES1_PKS1_PKT2_SA_S7_PKT4_PKT5_S5_PT6_21rocsparse_index_base_b
	.p2align	8
	.type	_ZN9rocsparseL18bsrxmvn_4x4_kernelILj128ELj64EflifffEEvT3_20rocsparse_direction_NS_24const_host_device_scalarIT1_EES1_PKS1_PKT2_SA_S7_PKT4_PKT5_S5_PT6_21rocsparse_index_base_b,@function
_ZN9rocsparseL18bsrxmvn_4x4_kernelILj128ELj64EflifffEEvT3_20rocsparse_direction_NS_24const_host_device_scalarIT1_EES1_PKS1_PKT2_SA_S7_PKT4_PKT5_S5_PT6_21rocsparse_index_base_b: ; @_ZN9rocsparseL18bsrxmvn_4x4_kernelILj128ELj64EflifffEEvT3_20rocsparse_direction_NS_24const_host_device_scalarIT1_EES1_PKS1_PKT2_SA_S7_PKT4_PKT5_S5_PT6_21rocsparse_index_base_b
; %bb.0:
	s_clause 0x2
	s_load_b64 s[16:17], s[0:1], 0x58
	s_load_b64 s[12:13], s[0:1], 0x8
	;; [unrolled: 1-line block ×3, first 2 shown]
	s_wait_kmcnt 0x0
	s_bitcmp1_b32 s17, 0
	s_cselect_b32 s2, -1, 0
	s_delay_alu instid0(SALU_CYCLE_1)
	s_and_b32 vcc_lo, exec_lo, s2
	s_xor_b32 s2, s2, -1
	s_cbranch_vccnz .LBB24_2
; %bb.1:
	s_load_b32 s12, s[12:13], 0x0
.LBB24_2:
	s_and_not1_b32 vcc_lo, exec_lo, s2
	s_cbranch_vccnz .LBB24_4
; %bb.3:
	s_load_b32 s14, s[14:15], 0x0
.LBB24_4:
	s_wait_kmcnt 0x0
	s_cmp_neq_f32 s12, 0
	s_mov_b32 s6, 0
	s_cselect_b32 s2, -1, 0
	s_cmp_neq_f32 s14, 1.0
	s_cselect_b32 s3, -1, 0
	s_delay_alu instid0(SALU_CYCLE_1) | instskip(NEXT) | instid1(SALU_CYCLE_1)
	s_or_b32 s2, s2, s3
	s_and_not1_b32 vcc_lo, exec_lo, s2
	s_cbranch_vccnz .LBB24_10
; %bb.5:
	s_clause 0x1
	s_load_b64 s[4:5], s[0:1], 0x18
	s_load_b64 s[2:3], s[0:1], 0x0
	s_bfe_u32 s7, ttmp6, 0x4000c
	s_and_b32 s8, ttmp6, 15
	s_add_co_i32 s7, s7, 1
	s_getreg_b32 s9, hwreg(HW_REG_IB_STS2, 6, 4)
	s_mul_i32 s7, ttmp9, s7
	v_lshrrev_b32_e32 v1, 6, v0
	s_add_co_i32 s8, s8, s7
	s_cmp_eq_u32 s9, 0
	s_cselect_b32 s7, ttmp9, s8
	s_delay_alu instid0(VALU_DEP_1) | instid1(SALU_CYCLE_1)
	v_lshl_or_b32 v2, s7, 1, v1
	s_wait_kmcnt 0x0
	s_cmp_lg_u64 s[4:5], 0
	s_cbranch_scc0 .LBB24_11
; %bb.6:
	s_load_b32 s6, s[0:1], 0x10
	s_mov_b32 s7, 0
                                        ; implicit-def: $vgpr1
	s_wait_kmcnt 0x0
	v_cmp_gt_i32_e32 vcc_lo, s6, v2
	s_mov_b32 s6, 0
	s_and_saveexec_b32 s8, vcc_lo
	s_delay_alu instid0(SALU_CYCLE_1)
	s_xor_b32 s8, exec_lo, s8
	s_cbranch_execz .LBB24_8
; %bb.7:
	global_load_b32 v1, v2, s[4:5] scale_offset
	s_mov_b32 s6, exec_lo
	s_wait_loadcnt 0x0
	v_subrev_nc_u32_e32 v1, s16, v1
.LBB24_8:
	s_or_b32 exec_lo, exec_lo, s8
	s_delay_alu instid0(SALU_CYCLE_1)
	s_and_b32 vcc_lo, exec_lo, s7
	s_cbranch_vccz .LBB24_12
.LBB24_9:
	v_cmp_gt_i32_e32 vcc_lo, s2, v2
	s_and_not1_b32 s2, s6, exec_lo
	s_and_b32 s4, vcc_lo, exec_lo
	s_delay_alu instid0(SALU_CYCLE_1) | instskip(NEXT) | instid1(SALU_CYCLE_1)
	s_or_b32 s6, s2, s4
	s_and_saveexec_b32 s2, s6
	s_cbranch_execnz .LBB24_13
.LBB24_10:
	s_sendmsg sendmsg(MSG_DEALLOC_VGPRS)
	s_endpgm
.LBB24_11:
                                        ; implicit-def: $vgpr1
	s_cbranch_execnz .LBB24_9
.LBB24_12:
	s_delay_alu instid0(VALU_DEP_1)
	v_mov_b32_e32 v2, v1
	s_and_saveexec_b32 s2, s6
	s_cbranch_execz .LBB24_10
.LBB24_13:
	s_load_b256 s[4:11], s[0:1], 0x20
	s_mov_b32 s17, 0
	v_dual_mov_b32 v1, 0 :: v_dual_bitop2_b32 v0, 63, v0 bitop3:0x40
	s_wait_kmcnt 0x0
	s_cmp_eq_u64 s[6:7], 0
	global_load_b64 v[12:13], v2, s[4:5] scale_offset
	s_cselect_b32 vcc_lo, -1, 0
	v_ashrrev_i32_e32 v3, 31, v2
	s_cmp_eq_u32 s3, 1
	s_delay_alu instid0(VALU_DEP_1) | instskip(NEXT) | instid1(VALU_DEP_1)
	v_lshlrev_b64_e32 v[4:5], 3, v[2:3]
	v_add_nc_u64_e32 v[6:7], s[4:5], v[4:5]
	v_add_nc_u64_e32 v[4:5], s[6:7], v[4:5]
	s_wait_xcnt 0x0
	s_load_b64 s[4:5], s[0:1], 0x40
	s_delay_alu instid0(VALU_DEP_2) | instskip(NEXT) | instid1(VALU_DEP_1)
	v_add_nc_u64_e32 v[6:7], 8, v[6:7]
	v_dual_cndmask_b32 v5, v5, v7 :: v_dual_cndmask_b32 v4, v4, v6
	global_load_b64 v[6:7], v[4:5], off
	s_wait_loadcnt 0x1
	s_wait_xcnt 0x0
	v_sub_nc_u64_e64 v[4:5], v[12:13], s[16:17]
	s_delay_alu instid0(VALU_DEP_1) | instskip(NEXT) | instid1(VALU_DEP_1)
	v_add_nc_u64_e32 v[4:5], v[4:5], v[0:1]
	v_lshlrev_b64_e32 v[8:9], 6, v[4:5]
	s_delay_alu instid0(VALU_DEP_1) | instskip(SKIP_2) | instid1(VALU_DEP_1)
	v_add_nc_u64_e32 v[8:9], s[10:11], v[8:9]
	s_wait_loadcnt 0x0
	v_sub_nc_u64_e64 v[6:7], v[6:7], s[16:17]
	v_cmp_lt_i64_e64 s2, v[4:5], v[6:7]
	s_cbranch_scc1 .LBB24_25
; %bb.14:
	v_dual_mov_b32 v19, v1 :: v_dual_mov_b32 v18, v1
	v_dual_mov_b32 v11, v1 :: v_dual_mov_b32 v10, v1
	s_and_saveexec_b32 s3, s2
	s_cbranch_execz .LBB24_24
; %bb.15:
	v_dual_mov_b32 v11, v1 :: v_dual_bitop2_b32 v10, 64, v0 bitop3:0x54
	v_sub_nc_u64_e32 v[14:15], s[16:17], v[0:1]
	v_not_b32_e32 v17, v13
	v_not_b32_e32 v16, v12
	v_mov_b32_e32 v18, 0
	v_sub_nc_u64_e64 v[10:11], v[10:11], s[16:17]
	v_mov_b64_e32 v[20:21], 0
	s_delay_alu instid0(VALU_DEP_4) | instskip(SKIP_1) | instid1(VALU_DEP_4)
	v_add_nc_u64_e32 v[14:15], v[14:15], v[16:17]
	v_mov_b64_e32 v[16:17], v[8:9]
	v_add_nc_u64_e32 v[10:11], v[10:11], v[12:13]
	s_delay_alu instid0(VALU_DEP_1) | instskip(NEXT) | instid1(VALU_DEP_1)
	v_max_i64 v[10:11], v[10:11], v[6:7]
	v_add_nc_u64_e32 v[22:23], v[14:15], v[10:11]
	v_mov_b32_e32 v15, v18
	v_mov_b64_e32 v[10:11], 0
	s_delay_alu instid0(VALU_DEP_3) | instskip(NEXT) | instid1(VALU_DEP_1)
	v_and_b32_e32 v14, 0xc0, v22
	v_cmp_ne_u64_e32 vcc_lo, 0xc0, v[14:15]
	v_mov_b64_e32 v[14:15], v[4:5]
	s_and_saveexec_b32 s6, vcc_lo
	s_cbranch_execz .LBB24_19
; %bb.16:
	v_dual_lshrrev_b32 v3, 6, v22 :: v_dual_mov_b32 v11, v18
	v_mov_b64_e32 v[16:17], v[8:9]
	v_mov_b64_e32 v[14:15], v[4:5]
	v_lshl_add_u64 v[20:21], v[4:5], 2, s[8:9]
	s_delay_alu instid0(VALU_DEP_4) | instskip(SKIP_1) | instid1(VALU_DEP_1)
	v_dual_add_nc_u32 v3, 1, v3 :: v_dual_mov_b32 v19, v18
	s_mov_b32 s7, 0
	v_and_b32_e32 v10, 3, v3
	s_delay_alu instid0(VALU_DEP_1)
	v_sub_nc_u64_e32 v[24:25], 0, v[10:11]
	v_mov_b32_e32 v10, v18
.LBB24_17:                              ; =>This Inner Loop Header: Depth=1
	global_load_b32 v3, v[20:21], off
	s_clause 0x3
	global_load_b128 v[26:29], v[16:17], off offset:16
	global_load_b128 v[30:33], v[16:17], off
	global_load_b128 v[34:37], v[16:17], off offset:48
	global_load_b128 v[38:41], v[16:17], off offset:32
	v_add_nc_u64_e32 v[24:25], 1, v[24:25]
	s_wait_xcnt 0x0
	v_add_nc_u64_e32 v[16:17], 0x1000, v[16:17]
	v_add_nc_u64_e32 v[14:15], 64, v[14:15]
	;; [unrolled: 1-line block ×3, first 2 shown]
	s_delay_alu instid0(VALU_DEP_4)
	v_cmp_eq_u64_e32 vcc_lo, 0, v[24:25]
	s_or_b32 s7, vcc_lo, s7
	s_wait_loadcnt 0x4
	v_subrev_nc_u32_e32 v3, s16, v3
	s_wait_loadcnt 0x0
	v_dual_mov_b32 v49, v34 :: v_dual_mov_b32 v48, v38
	v_dual_mov_b32 v34, v39 :: v_dual_mov_b32 v38, v40
	s_delay_alu instid0(VALU_DEP_3) | instskip(SKIP_2) | instid1(VALU_DEP_3)
	v_dual_mov_b32 v39, v36 :: v_dual_lshlrev_b32 v42, 2, v3
	v_dual_mov_b32 v46, v30 :: v_dual_mov_b32 v47, v26
	v_dual_mov_b32 v26, v31 :: v_dual_mov_b32 v30, v32
	v_dual_ashrrev_i32 v43, 31, v42 :: v_dual_mov_b32 v31, v28
	v_dual_mov_b32 v28, v33 :: v_dual_mov_b32 v36, v41
	s_wait_kmcnt 0x0
	s_delay_alu instid0(VALU_DEP_2) | instskip(SKIP_4) | instid1(VALU_DEP_2)
	v_lshl_add_u64 v[42:43], v[42:43], 2, s[4:5]
	global_load_b128 v[42:45], v[42:43], off
	s_wait_loadcnt 0x0
	v_pk_fma_f32 v[10:11], v[46:47], v[42:43], v[10:11] op_sel_hi:[1,0,1]
	v_pk_fma_f32 v[18:19], v[48:49], v[42:43], v[18:19] op_sel_hi:[1,0,1]
	v_pk_fma_f32 v[10:11], v[26:27], v[42:43], v[10:11] op_sel:[0,1,0]
	s_delay_alu instid0(VALU_DEP_2) | instskip(SKIP_1) | instid1(VALU_DEP_3)
	v_pk_fma_f32 v[18:19], v[34:35], v[42:43], v[18:19] op_sel:[0,1,0]
	v_mov_b32_e32 v26, v45
	v_pk_fma_f32 v[10:11], v[30:31], v[44:45], v[10:11] op_sel_hi:[1,0,1]
	s_delay_alu instid0(VALU_DEP_3) | instskip(NEXT) | instid1(VALU_DEP_2)
	v_pk_fma_f32 v[18:19], v[38:39], v[44:45], v[18:19] op_sel_hi:[1,0,1]
	v_pk_fma_f32 v[10:11], v[28:29], v[26:27], v[10:11] op_sel_hi:[1,0,1]
	s_delay_alu instid0(VALU_DEP_2)
	v_pk_fma_f32 v[18:19], v[36:37], v[26:27], v[18:19] op_sel_hi:[1,0,1]
	s_and_not1_b32 exec_lo, exec_lo, s7
	s_cbranch_execnz .LBB24_17
; %bb.18:
	s_or_b32 exec_lo, exec_lo, s7
	s_delay_alu instid0(VALU_DEP_1)
	v_mov_b64_e32 v[20:21], v[18:19]
.LBB24_19:
	s_or_b32 exec_lo, exec_lo, s6
	s_delay_alu instid0(SALU_CYCLE_1)
	s_mov_b32 s6, exec_lo
	v_cmpx_lt_u64_e32 0xbf, v[22:23]
	s_cbranch_execz .LBB24_23
; %bb.20:
	v_lshl_add_u64 v[18:19], v[14:15], 2, s[8:9]
	s_mov_b32 s7, 0
	s_delay_alu instid0(VALU_DEP_1)
	v_add_nc_u64_e32 v[18:19], 0x200, v[18:19]
.LBB24_21:                              ; =>This Inner Loop Header: Depth=1
	s_clause 0x3
	global_load_b128 v[22:25], v[16:17], off
	global_load_b128 v[26:29], v[16:17], off offset:16
	global_load_b128 v[30:33], v[16:17], off offset:32
	;; [unrolled: 1-line block ×3, first 2 shown]
	s_clause 0x1
	global_load_b32 v3, v[18:19], off offset:-512
	global_load_b32 v76, v[18:19], off offset:-256
	s_clause 0x5
	global_load_b128 v[38:41], v[16:17], off offset:4096
	global_load_b128 v[42:45], v[16:17], off offset:4112
	;; [unrolled: 1-line block ×6, first 2 shown]
	s_clause 0x1
	global_load_b32 v84, v[18:19], off
	global_load_b32 v85, v[18:19], off offset:256
	s_clause 0x2
	global_load_b128 v[62:65], v[16:17], off offset:8240
	global_load_b128 v[66:69], v[16:17], off offset:8224
	;; [unrolled: 1-line block ×3, first 2 shown]
	v_add_nc_u64_e32 v[14:15], 0x100, v[14:15]
	s_wait_xcnt 0x3
	v_add_nc_u64_e32 v[18:19], 0x400, v[18:19]
	s_delay_alu instid0(VALU_DEP_2)
	v_cmp_ge_i64_e32 vcc_lo, v[14:15], v[6:7]
	s_or_b32 s7, vcc_lo, s7
	s_wait_loadcnt 0xf
	v_dual_mov_b32 v74, v22 :: v_dual_mov_b32 v75, v26
	s_wait_loadcnt 0xd
	v_dual_mov_b32 v80, v30 :: v_dual_mov_b32 v81, v34
	s_wait_loadcnt 0xc
	v_subrev_nc_u32_e32 v3, s16, v3
	s_wait_loadcnt 0xb
	v_subrev_nc_u32_e32 v30, s16, v76
	v_dual_mov_b32 v26, v23 :: v_dual_mov_b32 v78, v24
	v_dual_mov_b32 v79, v28 :: v_dual_mov_b32 v28, v25
	s_delay_alu instid0(VALU_DEP_3) | instskip(SKIP_3) | instid1(VALU_DEP_3)
	v_dual_lshlrev_b32 v22, 2, v3 :: v_dual_lshlrev_b32 v30, 2, v30
	s_wait_loadcnt 0x4
	v_subrev_nc_u32_e32 v3, s16, v84
	v_dual_mov_b32 v34, v31 :: v_dual_mov_b32 v82, v32
	v_ashrrev_i32_e32 v23, 31, v22
	s_wait_loadcnt 0x3
	v_subrev_nc_u32_e32 v84, s16, v85
	v_dual_ashrrev_i32 v31, 31, v30 :: v_dual_mov_b32 v83, v36
	v_mov_b32_e32 v36, v33
	s_wait_kmcnt 0x0
	v_lshl_add_u64 v[22:23], v[22:23], 2, s[4:5]
	v_lshlrev_b32_e32 v84, 2, v84
	v_lshl_add_u64 v[30:31], v[30:31], 2, s[4:5]
	global_load_b128 v[22:25], v[22:23], off
	v_ashrrev_i32_e32 v85, 31, v84
	global_load_b128 v[30:33], v[30:31], off
	s_wait_loadcnt 0x1
	v_pk_fma_f32 v[20:21], v[80:81], v[22:23], v[20:21] op_sel_hi:[1,0,1]
	v_lshlrev_b32_e32 v80, 2, v3
	v_pk_fma_f32 v[10:11], v[74:75], v[22:23], v[10:11] op_sel_hi:[1,0,1]
	global_load_b128 v[74:77], v[16:17], off offset:12320
	v_pk_fma_f32 v[20:21], v[34:35], v[22:23], v[20:21] op_sel:[0,1,0]
	v_ashrrev_i32_e32 v81, 31, v80
	v_pk_fma_f32 v[10:11], v[26:27], v[22:23], v[10:11] op_sel:[0,1,0]
	s_delay_alu instid0(VALU_DEP_3) | instskip(SKIP_1) | instid1(VALU_DEP_4)
	v_pk_fma_f32 v[34:35], v[82:83], v[24:25], v[20:21] op_sel_hi:[1,0,1]
	v_mov_b32_e32 v82, v25
	v_lshl_add_u64 v[80:81], v[80:81], 2, s[4:5]
	s_delay_alu instid0(VALU_DEP_4)
	v_pk_fma_f32 v[10:11], v[78:79], v[24:25], v[10:11] op_sel_hi:[1,0,1]
	s_clause 0x1
	global_load_b128 v[20:23], v[16:17], off offset:12304
	global_load_b128 v[24:27], v[16:17], off offset:12336
	s_wait_xcnt 0x0
	v_add_nc_u64_e32 v[16:17], 0x4000, v[16:17]
	global_load_b128 v[78:81], v[80:81], off
	v_pk_fma_f32 v[10:11], v[28:29], v[82:83], v[10:11] op_sel_hi:[1,0,1]
	v_lshl_add_u64 v[28:29], v[84:85], 2, s[4:5]
	v_pk_fma_f32 v[82:83], v[36:37], v[82:83], v[34:35] op_sel_hi:[1,0,1]
	global_load_b128 v[34:37], v[28:29], off
	s_wait_xcnt 0x0
	v_dual_mov_b32 v28, v38 :: v_dual_mov_b32 v29, v42
	v_dual_mov_b32 v42, v39 :: v_dual_mov_b32 v38, v40
	;; [unrolled: 1-line block ×4, first 2 shown]
	v_mov_b32_e32 v50, v47
	s_wait_loadcnt 0x5
	v_pk_fma_f32 v[10:11], v[28:29], v[30:31], v[10:11] op_sel_hi:[1,0,1]
	s_delay_alu instid0(VALU_DEP_3) | instskip(SKIP_1) | instid1(VALU_DEP_3)
	v_pk_fma_f32 v[28:29], v[40:41], v[30:31], v[82:83] op_sel_hi:[1,0,1]
	v_dual_mov_b32 v40, v48 :: v_dual_mov_b32 v41, v52
	v_pk_fma_f32 v[10:11], v[42:43], v[30:31], v[10:11] op_sel:[0,1,0]
	v_mov_b32_e32 v52, v49
	s_delay_alu instid0(VALU_DEP_4) | instskip(SKIP_1) | instid1(VALU_DEP_4)
	v_pk_fma_f32 v[28:29], v[50:51], v[30:31], v[28:29] op_sel:[0,1,0]
	v_dual_mov_b32 v31, v58 :: v_dual_mov_b32 v42, v33
	v_pk_fma_f32 v[10:11], v[38:39], v[32:33], v[10:11] op_sel_hi:[1,0,1]
	v_mov_b32_e32 v30, v54
	s_delay_alu instid0(VALU_DEP_4) | instskip(SKIP_3) | instid1(VALU_DEP_4)
	v_pk_fma_f32 v[28:29], v[40:41], v[32:33], v[28:29] op_sel_hi:[1,0,1]
	v_dual_mov_b32 v58, v55 :: v_dual_mov_b32 v32, v66
	v_dual_mov_b32 v33, v62 :: v_dual_mov_b32 v38, v56
	v_pk_fma_f32 v[10:11], v[44:45], v[42:43], v[10:11] op_sel_hi:[1,0,1]
	v_pk_fma_f32 v[28:29], v[52:53], v[42:43], v[28:29] op_sel_hi:[1,0,1]
	v_dual_mov_b32 v39, v60 :: v_dual_mov_b32 v62, v67
	v_mov_b32_e32 v60, v57
	s_wait_loadcnt 0x1
	v_pk_fma_f32 v[10:11], v[30:31], v[78:79], v[10:11] op_sel_hi:[1,0,1]
	v_pk_fma_f32 v[28:29], v[32:33], v[78:79], v[28:29] op_sel_hi:[1,0,1]
	v_dual_mov_b32 v30, v68 :: v_dual_mov_b32 v31, v64
	v_mov_b32_e32 v64, v69
	s_delay_alu instid0(VALU_DEP_4) | instskip(NEXT) | instid1(VALU_DEP_4)
	v_pk_fma_f32 v[10:11], v[58:59], v[78:79], v[10:11] op_sel:[0,1,0]
	v_pk_fma_f32 v[28:29], v[62:63], v[78:79], v[28:29] op_sel:[0,1,0]
	v_dual_mov_b32 v32, v70 :: v_dual_mov_b32 v40, v81
	v_mov_b32_e32 v33, v20
	s_delay_alu instid0(VALU_DEP_4) | instskip(NEXT) | instid1(VALU_DEP_4)
	v_pk_fma_f32 v[10:11], v[38:39], v[80:81], v[10:11] op_sel_hi:[1,0,1]
	v_pk_fma_f32 v[28:29], v[30:31], v[80:81], v[28:29] op_sel_hi:[1,0,1]
	v_dual_mov_b32 v30, v74 :: v_dual_mov_b32 v31, v24
	v_mov_b32_e32 v20, v71
	s_delay_alu instid0(VALU_DEP_4) | instskip(NEXT) | instid1(VALU_DEP_4)
	v_pk_fma_f32 v[10:11], v[60:61], v[40:41], v[10:11] op_sel_hi:[1,0,1]
	v_pk_fma_f32 v[28:29], v[64:65], v[40:41], v[28:29] op_sel_hi:[1,0,1]
	v_dual_mov_b32 v38, v72 :: v_dual_mov_b32 v24, v75
	v_mov_b32_e32 v39, v22
	s_wait_loadcnt 0x0
	v_pk_fma_f32 v[10:11], v[32:33], v[34:35], v[10:11] op_sel_hi:[1,0,1]
	v_pk_fma_f32 v[28:29], v[30:31], v[34:35], v[28:29] op_sel_hi:[1,0,1]
	v_dual_mov_b32 v30, v76 :: v_dual_mov_b32 v31, v26
	v_mov_b32_e32 v22, v73
	s_delay_alu instid0(VALU_DEP_4) | instskip(NEXT) | instid1(VALU_DEP_4)
	v_pk_fma_f32 v[10:11], v[20:21], v[34:35], v[10:11] op_sel:[0,1,0]
	v_pk_fma_f32 v[20:21], v[24:25], v[34:35], v[28:29] op_sel:[0,1,0]
	v_dual_mov_b32 v26, v77 :: v_dual_mov_b32 v24, v37
	s_delay_alu instid0(VALU_DEP_3) | instskip(NEXT) | instid1(VALU_DEP_3)
	v_pk_fma_f32 v[10:11], v[38:39], v[36:37], v[10:11] op_sel_hi:[1,0,1]
	v_pk_fma_f32 v[20:21], v[30:31], v[36:37], v[20:21] op_sel_hi:[1,0,1]
	s_delay_alu instid0(VALU_DEP_2) | instskip(NEXT) | instid1(VALU_DEP_2)
	v_pk_fma_f32 v[10:11], v[22:23], v[24:25], v[10:11] op_sel_hi:[1,0,1]
	v_pk_fma_f32 v[20:21], v[26:27], v[24:25], v[20:21] op_sel_hi:[1,0,1]
	s_and_not1_b32 exec_lo, exec_lo, s7
	s_cbranch_execnz .LBB24_21
; %bb.22:
	s_or_b32 exec_lo, exec_lo, s7
	s_delay_alu instid0(VALU_DEP_1)
	v_dual_mov_b32 v19, v21 :: v_dual_mov_b32 v18, v20
.LBB24_23:
	s_or_b32 exec_lo, exec_lo, s6
.LBB24_24:
	s_delay_alu instid0(SALU_CYCLE_1)
	s_or_b32 exec_lo, exec_lo, s3
	s_cbranch_execz .LBB24_26
	s_branch .LBB24_37
.LBB24_25:
                                        ; implicit-def: $vgpr19
                                        ; implicit-def: $vgpr11
.LBB24_26:
	v_dual_mov_b32 v19, 0 :: v_dual_mov_b32 v18, 0
	v_dual_mov_b32 v11, 0 :: v_dual_mov_b32 v10, 0
	s_and_saveexec_b32 s3, s2
	s_cbranch_execz .LBB24_36
; %bb.27:
	v_dual_mov_b32 v11, v1 :: v_dual_bitop2_b32 v10, 64, v0 bitop3:0x54
	v_sub_nc_u64_e32 v[14:15], s[16:17], v[0:1]
	v_mov_b32_e32 v18, 0
	s_delay_alu instid0(VALU_DEP_3) | instskip(NEXT) | instid1(VALU_DEP_1)
	v_sub_nc_u64_e64 v[10:11], v[10:11], s[16:17]
	v_add_nc_u64_e32 v[10:11], v[10:11], v[12:13]
	v_not_b32_e32 v13, v13
	v_not_b32_e32 v12, v12
	s_delay_alu instid0(VALU_DEP_1) | instskip(NEXT) | instid1(VALU_DEP_4)
	v_add_nc_u64_e32 v[12:13], v[14:15], v[12:13]
	v_max_i64 v[10:11], v[10:11], v[6:7]
	v_mov_b32_e32 v15, v18
	s_delay_alu instid0(VALU_DEP_2) | instskip(SKIP_1) | instid1(VALU_DEP_2)
	v_add_nc_u64_e32 v[12:13], v[12:13], v[10:11]
	v_mov_b64_e32 v[10:11], 0
	v_and_b32_e32 v14, 0xc0, v12
	s_delay_alu instid0(VALU_DEP_1)
	v_cmp_ne_u64_e32 vcc_lo, 0xc0, v[14:15]
	v_mov_b64_e32 v[14:15], 0
	s_and_saveexec_b32 s2, vcc_lo
	s_cbranch_execz .LBB24_31
; %bb.28:
	v_dual_lshrrev_b32 v1, 6, v12 :: v_dual_mov_b32 v11, v18
	v_lshl_add_u64 v[14:15], v[4:5], 2, s[8:9]
	s_mov_b32 s6, 0
	s_delay_alu instid0(VALU_DEP_2) | instskip(NEXT) | instid1(VALU_DEP_1)
	v_dual_mov_b32 v19, v18 :: v_dual_add_nc_u32 v1, 1, v1
	v_and_b32_e32 v10, 3, v1
	s_delay_alu instid0(VALU_DEP_1)
	v_sub_nc_u64_e32 v[16:17], 0, v[10:11]
	v_mov_b32_e32 v10, v18
.LBB24_29:                              ; =>This Inner Loop Header: Depth=1
	global_load_b32 v1, v[14:15], off
	v_add_nc_u64_e32 v[16:17], 1, v[16:17]
	v_add_nc_u64_e32 v[4:5], 64, v[4:5]
	s_wait_xcnt 0x0
	v_add_nc_u64_e32 v[14:15], 0x100, v[14:15]
	s_delay_alu instid0(VALU_DEP_3) | instskip(SKIP_3) | instid1(VALU_DEP_1)
	v_cmp_eq_u64_e32 vcc_lo, 0, v[16:17]
	s_or_b32 s6, vcc_lo, s6
	s_wait_loadcnt 0x0
	v_subrev_nc_u32_e32 v1, s16, v1
	v_lshlrev_b32_e32 v20, 2, v1
	s_delay_alu instid0(VALU_DEP_1) | instskip(SKIP_1) | instid1(VALU_DEP_1)
	v_ashrrev_i32_e32 v21, 31, v20
	s_wait_kmcnt 0x0
	v_lshl_add_u64 v[40:41], v[20:21], 2, s[4:5]
	s_clause 0x1
	global_load_b128 v[20:23], v[8:9], off offset:16
	global_load_b128 v[24:27], v[8:9], off
	global_load_b128 v[28:31], v[40:41], off
	s_clause 0x1
	global_load_b128 v[32:35], v[8:9], off offset:32
	global_load_b128 v[36:39], v[8:9], off offset:48
	s_wait_xcnt 0x0
	v_add_nc_u64_e32 v[8:9], 0x1000, v[8:9]
	s_wait_loadcnt 0x2
	v_pk_fma_f32 v[10:11], v[24:25], v[28:29], v[10:11] op_sel_hi:[1,0,1]
	v_pk_fma_f32 v[18:19], v[26:27], v[28:29], v[18:19] op_sel_hi:[1,0,1]
	s_delay_alu instid0(VALU_DEP_2) | instskip(NEXT) | instid1(VALU_DEP_2)
	v_pk_fma_f32 v[10:11], v[20:21], v[28:29], v[10:11] op_sel:[0,1,0]
	v_pk_fma_f32 v[18:19], v[22:23], v[28:29], v[18:19] op_sel:[0,1,0]
	v_mov_b32_e32 v20, v31
	s_wait_loadcnt 0x1
	s_delay_alu instid0(VALU_DEP_3) | instskip(NEXT) | instid1(VALU_DEP_3)
	v_pk_fma_f32 v[10:11], v[32:33], v[30:31], v[10:11] op_sel_hi:[1,0,1]
	v_pk_fma_f32 v[18:19], v[34:35], v[30:31], v[18:19] op_sel_hi:[1,0,1]
	s_wait_loadcnt 0x0
	s_delay_alu instid0(VALU_DEP_2) | instskip(NEXT) | instid1(VALU_DEP_2)
	v_pk_fma_f32 v[10:11], v[36:37], v[20:21], v[10:11] op_sel_hi:[1,0,1]
	v_pk_fma_f32 v[18:19], v[38:39], v[20:21], v[18:19] op_sel_hi:[1,0,1]
	s_and_not1_b32 exec_lo, exec_lo, s6
	s_cbranch_execnz .LBB24_29
; %bb.30:
	s_or_b32 exec_lo, exec_lo, s6
	s_delay_alu instid0(VALU_DEP_1)
	v_mov_b64_e32 v[14:15], v[18:19]
.LBB24_31:
	s_or_b32 exec_lo, exec_lo, s2
	s_delay_alu instid0(SALU_CYCLE_1)
	s_mov_b32 s2, exec_lo
	v_cmpx_lt_u64_e32 0xbf, v[12:13]
	s_cbranch_execz .LBB24_35
; %bb.32:
	v_lshl_add_u64 v[12:13], v[4:5], 2, s[8:9]
	s_mov_b32 s6, 0
	s_delay_alu instid0(VALU_DEP_1)
	v_add_nc_u64_e32 v[12:13], 0x200, v[12:13]
.LBB24_33:                              ; =>This Inner Loop Header: Depth=1
	s_clause 0x2
	global_load_b32 v1, v[12:13], off offset:-512
	global_load_b32 v3, v[12:13], off offset:-256
	global_load_b32 v46, v[12:13], off
	s_clause 0x2
	global_load_b128 v[16:19], v[8:9], off offset:32
	global_load_b128 v[20:23], v[8:9], off offset:16
	global_load_b128 v[24:27], v[8:9], off
	global_load_b32 v66, v[12:13], off offset:256
	v_add_nc_u64_e32 v[4:5], 0x100, v[4:5]
	s_wait_xcnt 0x0
	v_add_nc_u64_e32 v[12:13], 0x400, v[12:13]
	s_delay_alu instid0(VALU_DEP_2)
	v_cmp_ge_i64_e32 vcc_lo, v[4:5], v[6:7]
	s_or_b32 s6, vcc_lo, s6
	s_wait_loadcnt 0x6
	v_subrev_nc_u32_e32 v1, s16, v1
	s_wait_loadcnt 0x5
	v_subrev_nc_u32_e32 v3, s16, v3
	s_delay_alu instid0(VALU_DEP_1) | instskip(SKIP_2) | instid1(VALU_DEP_1)
	v_dual_lshlrev_b32 v28, 2, v1 :: v_dual_lshlrev_b32 v40, 2, v3
	s_wait_loadcnt 0x4
	v_subrev_nc_u32_e32 v1, s16, v46
	v_dual_ashrrev_i32 v29, 31, v28 :: v_dual_lshlrev_b32 v60, 2, v1
	s_wait_loadcnt 0x0
	v_subrev_nc_u32_e32 v1, s16, v66
	v_ashrrev_i32_e32 v41, 31, v40
	s_wait_kmcnt 0x0
	v_lshl_add_u64 v[36:37], v[28:29], 2, s[4:5]
	global_load_b128 v[28:31], v[36:37], off
	global_load_b128 v[32:35], v[8:9], off offset:48
	v_lshlrev_b32_e32 v76, 2, v1
	v_lshl_add_u64 v[44:45], v[40:41], 2, s[4:5]
	s_clause 0x2
	global_load_b128 v[36:39], v[8:9], off offset:4112
	global_load_b128 v[40:43], v[8:9], off offset:4096
	;; [unrolled: 1-line block ×3, first 2 shown]
	v_ashrrev_i32_e32 v61, 31, v60
	global_load_b128 v[44:47], v[44:45], off
	s_clause 0x1
	global_load_b128 v[52:55], v[8:9], off offset:4144
	global_load_b128 v[56:59], v[8:9], off offset:8208
	v_ashrrev_i32_e32 v77, 31, v76
	s_wait_loadcnt 0x7
	v_pk_fma_f32 v[10:11], v[24:25], v[28:29], v[10:11] op_sel_hi:[1,0,1]
	v_pk_fma_f32 v[14:15], v[26:27], v[28:29], v[14:15] op_sel_hi:[1,0,1]
	s_delay_alu instid0(VALU_DEP_2) | instskip(NEXT) | instid1(VALU_DEP_2)
	v_pk_fma_f32 v[10:11], v[20:21], v[28:29], v[10:11] op_sel:[0,1,0]
	v_pk_fma_f32 v[14:15], v[22:23], v[28:29], v[14:15] op_sel:[0,1,0]
	v_mov_b32_e32 v28, v31
	v_lshl_add_u64 v[64:65], v[60:61], 2, s[4:5]
	global_load_b128 v[60:63], v[8:9], off offset:8192
	v_pk_fma_f32 v[10:11], v[16:17], v[30:31], v[10:11] op_sel_hi:[1,0,1]
	v_pk_fma_f32 v[18:19], v[18:19], v[30:31], v[14:15] op_sel_hi:[1,0,1]
	global_load_b128 v[64:67], v[64:65], off
	s_clause 0x1
	global_load_b128 v[68:71], v[8:9], off offset:8240
	global_load_b128 v[72:75], v[8:9], off offset:8224
	s_wait_loadcnt 0xa
	v_pk_fma_f32 v[10:11], v[32:33], v[28:29], v[10:11] op_sel_hi:[1,0,1]
	s_wait_loadcnt 0x6
	v_mov_b32_e32 v32, v47
	v_lshl_add_u64 v[80:81], v[76:77], 2, s[4:5]
	s_clause 0x1
	global_load_b128 v[24:27], v[8:9], off offset:12304
	global_load_b128 v[20:23], v[8:9], off offset:12288
	global_load_b128 v[76:79], v[80:81], off
	global_load_b128 v[14:17], v[8:9], off offset:12320
	v_pk_fma_f32 v[18:19], v[34:35], v[28:29], v[18:19] op_sel_hi:[1,0,1]
	global_load_b128 v[28:31], v[8:9], off offset:12336
	v_pk_fma_f32 v[10:11], v[40:41], v[44:45], v[10:11] op_sel_hi:[1,0,1]
	s_wait_xcnt 0x0
	v_add_nc_u64_e32 v[8:9], 0x4000, v[8:9]
	v_pk_fma_f32 v[18:19], v[42:43], v[44:45], v[18:19] op_sel_hi:[1,0,1]
	s_delay_alu instid0(VALU_DEP_3) | instskip(NEXT) | instid1(VALU_DEP_2)
	v_pk_fma_f32 v[10:11], v[36:37], v[44:45], v[10:11] op_sel:[0,1,0]
	v_pk_fma_f32 v[18:19], v[38:39], v[44:45], v[18:19] op_sel:[0,1,0]
	s_delay_alu instid0(VALU_DEP_2) | instskip(NEXT) | instid1(VALU_DEP_2)
	v_pk_fma_f32 v[10:11], v[48:49], v[46:47], v[10:11] op_sel_hi:[1,0,1]
	v_pk_fma_f32 v[18:19], v[50:51], v[46:47], v[18:19] op_sel_hi:[1,0,1]
	s_wait_loadcnt 0xa
	s_delay_alu instid0(VALU_DEP_2) | instskip(NEXT) | instid1(VALU_DEP_2)
	v_pk_fma_f32 v[10:11], v[52:53], v[32:33], v[10:11] op_sel_hi:[1,0,1]
	v_pk_fma_f32 v[18:19], v[54:55], v[32:33], v[18:19] op_sel_hi:[1,0,1]
	s_wait_loadcnt 0x7
	s_delay_alu instid0(VALU_DEP_2) | instskip(NEXT) | instid1(VALU_DEP_2)
	v_pk_fma_f32 v[10:11], v[60:61], v[64:65], v[10:11] op_sel_hi:[1,0,1]
	v_pk_fma_f32 v[18:19], v[62:63], v[64:65], v[18:19] op_sel_hi:[1,0,1]
	v_mov_b32_e32 v32, v67
	s_delay_alu instid0(VALU_DEP_3) | instskip(NEXT) | instid1(VALU_DEP_3)
	v_pk_fma_f32 v[10:11], v[56:57], v[64:65], v[10:11] op_sel:[0,1,0]
	v_pk_fma_f32 v[18:19], v[58:59], v[64:65], v[18:19] op_sel:[0,1,0]
	s_wait_loadcnt 0x5
	s_delay_alu instid0(VALU_DEP_2) | instskip(NEXT) | instid1(VALU_DEP_2)
	v_pk_fma_f32 v[10:11], v[72:73], v[66:67], v[10:11] op_sel_hi:[1,0,1]
	v_pk_fma_f32 v[18:19], v[74:75], v[66:67], v[18:19] op_sel_hi:[1,0,1]
	s_delay_alu instid0(VALU_DEP_2) | instskip(SKIP_1) | instid1(VALU_DEP_1)
	v_pk_fma_f32 v[10:11], v[68:69], v[32:33], v[10:11] op_sel_hi:[1,0,1]
	s_wait_loadcnt 0x2
	v_pk_fma_f32 v[10:11], v[20:21], v[76:77], v[10:11] op_sel_hi:[1,0,1]
	v_mov_b32_e32 v20, v79
	v_pk_fma_f32 v[18:19], v[70:71], v[32:33], v[18:19] op_sel_hi:[1,0,1]
	s_delay_alu instid0(VALU_DEP_3) | instskip(NEXT) | instid1(VALU_DEP_2)
	v_pk_fma_f32 v[10:11], v[24:25], v[76:77], v[10:11] op_sel:[0,1,0]
	v_pk_fma_f32 v[18:19], v[22:23], v[76:77], v[18:19] op_sel_hi:[1,0,1]
	s_wait_loadcnt 0x1
	s_delay_alu instid0(VALU_DEP_2) | instskip(NEXT) | instid1(VALU_DEP_2)
	v_pk_fma_f32 v[10:11], v[14:15], v[78:79], v[10:11] op_sel_hi:[1,0,1]
	v_pk_fma_f32 v[18:19], v[26:27], v[76:77], v[18:19] op_sel:[0,1,0]
	s_wait_loadcnt 0x0
	s_delay_alu instid0(VALU_DEP_2) | instskip(NEXT) | instid1(VALU_DEP_2)
	v_pk_fma_f32 v[10:11], v[28:29], v[20:21], v[10:11] op_sel_hi:[1,0,1]
	v_pk_fma_f32 v[14:15], v[16:17], v[78:79], v[18:19] op_sel_hi:[1,0,1]
	s_delay_alu instid0(VALU_DEP_1)
	v_pk_fma_f32 v[14:15], v[30:31], v[20:21], v[14:15] op_sel_hi:[1,0,1]
	s_and_not1_b32 exec_lo, exec_lo, s6
	s_cbranch_execnz .LBB24_33
; %bb.34:
	s_or_b32 exec_lo, exec_lo, s6
	s_delay_alu instid0(VALU_DEP_1)
	v_dual_mov_b32 v19, v15 :: v_dual_mov_b32 v18, v14
.LBB24_35:
	s_or_b32 exec_lo, exec_lo, s2
.LBB24_36:
	s_delay_alu instid0(SALU_CYCLE_1)
	s_or_b32 exec_lo, exec_lo, s3
.LBB24_37:
	v_mbcnt_lo_u32_b32 v1, -1, 0
	s_mov_b32 s2, -1
	s_delay_alu instid0(VALU_DEP_1) | instskip(NEXT) | instid1(VALU_DEP_1)
	v_or_b32_e32 v3, 32, v1
	v_cmp_gt_i32_e32 vcc_lo, 32, v3
	v_cndmask_b32_e32 v3, v1, v3, vcc_lo
	s_delay_alu instid0(VALU_DEP_1)
	v_lshlrev_b32_e32 v3, 2, v3
	ds_bpermute_b32 v4, v3, v10
	ds_bpermute_b32 v5, v3, v11
	ds_bpermute_b32 v6, v3, v18
	ds_bpermute_b32 v7, v3, v19
	v_xor_b32_e32 v3, 16, v1
	s_delay_alu instid0(VALU_DEP_1) | instskip(SKIP_1) | instid1(VALU_DEP_1)
	v_cmp_gt_i32_e32 vcc_lo, 32, v3
	v_cndmask_b32_e32 v3, v1, v3, vcc_lo
	v_lshlrev_b32_e32 v3, 2, v3
	s_wait_dscnt 0x2
	v_pk_add_f32 v[4:5], v[10:11], v[4:5]
	s_wait_dscnt 0x0
	v_pk_add_f32 v[6:7], v[18:19], v[6:7]
	ds_bpermute_b32 v8, v3, v4
	ds_bpermute_b32 v9, v3, v5
	ds_bpermute_b32 v10, v3, v6
	ds_bpermute_b32 v11, v3, v7
	v_xor_b32_e32 v3, 8, v1
	s_delay_alu instid0(VALU_DEP_1) | instskip(SKIP_1) | instid1(VALU_DEP_1)
	v_cmp_gt_i32_e32 vcc_lo, 32, v3
	v_cndmask_b32_e32 v3, v1, v3, vcc_lo
	v_lshlrev_b32_e32 v3, 2, v3
	s_wait_dscnt 0x2
	v_pk_add_f32 v[4:5], v[4:5], v[8:9]
	s_wait_dscnt 0x0
	v_pk_add_f32 v[6:7], v[6:7], v[10:11]
	;; [unrolled: 13-line block ×4, first 2 shown]
	ds_bpermute_b32 v8, v3, v4
	ds_bpermute_b32 v9, v3, v5
	;; [unrolled: 1-line block ×4, first 2 shown]
	v_xor_b32_e32 v3, 1, v1
	s_delay_alu instid0(VALU_DEP_1) | instskip(SKIP_2) | instid1(VALU_DEP_2)
	v_cmp_gt_i32_e32 vcc_lo, 32, v3
	v_cndmask_b32_e32 v1, v1, v3, vcc_lo
	v_cmp_eq_u32_e32 vcc_lo, 63, v0
	v_lshlrev_b32_e32 v1, 2, v1
	s_wait_dscnt 0x2
	v_pk_add_f32 v[4:5], v[4:5], v[8:9]
	s_wait_dscnt 0x0
	v_pk_add_f32 v[6:7], v[6:7], v[10:11]
	ds_bpermute_b32 v10, v1, v4
	ds_bpermute_b32 v11, v1, v5
	;; [unrolled: 1-line block ×4, first 2 shown]
	s_and_b32 exec_lo, exec_lo, vcc_lo
	s_cbranch_execz .LBB24_10
; %bb.38:
	s_load_b64 s[0:1], s[0:1], 0x50
	s_wait_dscnt 0x2
	v_pk_add_f32 v[4:5], v[4:5], v[10:11]
	s_wait_dscnt 0x0
	v_pk_add_f32 v[0:1], v[6:7], v[8:9]
	v_lshlrev_b32_e32 v2, 2, v2
	s_cmp_eq_f32 s14, 0
	s_cbranch_scc0 .LBB24_40
; %bb.39:
	s_delay_alu instid0(VALU_DEP_1)
	v_ashrrev_i32_e32 v3, 31, v2
	v_pk_mul_f32 v[6:7], s[12:13], v[4:5] op_sel_hi:[0,1]
	v_pk_mul_f32 v[8:9], s[12:13], v[0:1] op_sel_hi:[0,1]
	s_mov_b32 s2, 0
	s_wait_kmcnt 0x0
	v_lshl_add_u64 v[10:11], v[2:3], 2, s[0:1]
	global_store_b128 v[10:11], v[6:9], off
.LBB24_40:
	s_and_not1_b32 vcc_lo, exec_lo, s2
	s_cbranch_vccnz .LBB24_10
; %bb.41:
	v_ashrrev_i32_e32 v3, 31, v2
	s_wait_kmcnt 0x0
	s_delay_alu instid0(VALU_DEP_1)
	v_lshl_add_u64 v[10:11], v[2:3], 2, s[0:1]
	v_pk_mul_f32 v[2:3], s[12:13], v[4:5] op_sel_hi:[0,1]
	v_pk_mul_f32 v[4:5], s[12:13], v[0:1] op_sel_hi:[0,1]
	global_load_b128 v[6:9], v[10:11], off
	s_wait_loadcnt 0x0
	v_pk_fma_f32 v[0:1], s[14:15], v[6:7], v[2:3] op_sel_hi:[0,1,1]
	v_pk_fma_f32 v[2:3], s[14:15], v[8:9], v[4:5] op_sel_hi:[0,1,1]
	global_store_b128 v[10:11], v[0:3], off
	s_sendmsg sendmsg(MSG_DEALLOC_VGPRS)
	s_endpgm
	.section	.rodata,"a",@progbits
	.p2align	6, 0x0
	.amdhsa_kernel _ZN9rocsparseL18bsrxmvn_4x4_kernelILj128ELj64EflifffEEvT3_20rocsparse_direction_NS_24const_host_device_scalarIT1_EES1_PKS1_PKT2_SA_S7_PKT4_PKT5_S5_PT6_21rocsparse_index_base_b
		.amdhsa_group_segment_fixed_size 0
		.amdhsa_private_segment_fixed_size 0
		.amdhsa_kernarg_size 96
		.amdhsa_user_sgpr_count 2
		.amdhsa_user_sgpr_dispatch_ptr 0
		.amdhsa_user_sgpr_queue_ptr 0
		.amdhsa_user_sgpr_kernarg_segment_ptr 1
		.amdhsa_user_sgpr_dispatch_id 0
		.amdhsa_user_sgpr_kernarg_preload_length 0
		.amdhsa_user_sgpr_kernarg_preload_offset 0
		.amdhsa_user_sgpr_private_segment_size 0
		.amdhsa_wavefront_size32 1
		.amdhsa_uses_dynamic_stack 0
		.amdhsa_enable_private_segment 0
		.amdhsa_system_sgpr_workgroup_id_x 1
		.amdhsa_system_sgpr_workgroup_id_y 0
		.amdhsa_system_sgpr_workgroup_id_z 0
		.amdhsa_system_sgpr_workgroup_info 0
		.amdhsa_system_vgpr_workitem_id 0
		.amdhsa_next_free_vgpr 86
		.amdhsa_next_free_sgpr 18
		.amdhsa_named_barrier_count 0
		.amdhsa_reserve_vcc 1
		.amdhsa_float_round_mode_32 0
		.amdhsa_float_round_mode_16_64 0
		.amdhsa_float_denorm_mode_32 3
		.amdhsa_float_denorm_mode_16_64 3
		.amdhsa_fp16_overflow 0
		.amdhsa_memory_ordered 1
		.amdhsa_forward_progress 1
		.amdhsa_inst_pref_size 33
		.amdhsa_round_robin_scheduling 0
		.amdhsa_exception_fp_ieee_invalid_op 0
		.amdhsa_exception_fp_denorm_src 0
		.amdhsa_exception_fp_ieee_div_zero 0
		.amdhsa_exception_fp_ieee_overflow 0
		.amdhsa_exception_fp_ieee_underflow 0
		.amdhsa_exception_fp_ieee_inexact 0
		.amdhsa_exception_int_div_zero 0
	.end_amdhsa_kernel
	.section	.text._ZN9rocsparseL18bsrxmvn_4x4_kernelILj128ELj64EflifffEEvT3_20rocsparse_direction_NS_24const_host_device_scalarIT1_EES1_PKS1_PKT2_SA_S7_PKT4_PKT5_S5_PT6_21rocsparse_index_base_b,"axG",@progbits,_ZN9rocsparseL18bsrxmvn_4x4_kernelILj128ELj64EflifffEEvT3_20rocsparse_direction_NS_24const_host_device_scalarIT1_EES1_PKS1_PKT2_SA_S7_PKT4_PKT5_S5_PT6_21rocsparse_index_base_b,comdat
.Lfunc_end24:
	.size	_ZN9rocsparseL18bsrxmvn_4x4_kernelILj128ELj64EflifffEEvT3_20rocsparse_direction_NS_24const_host_device_scalarIT1_EES1_PKS1_PKT2_SA_S7_PKT4_PKT5_S5_PT6_21rocsparse_index_base_b, .Lfunc_end24-_ZN9rocsparseL18bsrxmvn_4x4_kernelILj128ELj64EflifffEEvT3_20rocsparse_direction_NS_24const_host_device_scalarIT1_EES1_PKS1_PKT2_SA_S7_PKT4_PKT5_S5_PT6_21rocsparse_index_base_b
                                        ; -- End function
	.set _ZN9rocsparseL18bsrxmvn_4x4_kernelILj128ELj64EflifffEEvT3_20rocsparse_direction_NS_24const_host_device_scalarIT1_EES1_PKS1_PKT2_SA_S7_PKT4_PKT5_S5_PT6_21rocsparse_index_base_b.num_vgpr, 86
	.set _ZN9rocsparseL18bsrxmvn_4x4_kernelILj128ELj64EflifffEEvT3_20rocsparse_direction_NS_24const_host_device_scalarIT1_EES1_PKS1_PKT2_SA_S7_PKT4_PKT5_S5_PT6_21rocsparse_index_base_b.num_agpr, 0
	.set _ZN9rocsparseL18bsrxmvn_4x4_kernelILj128ELj64EflifffEEvT3_20rocsparse_direction_NS_24const_host_device_scalarIT1_EES1_PKS1_PKT2_SA_S7_PKT4_PKT5_S5_PT6_21rocsparse_index_base_b.numbered_sgpr, 18
	.set _ZN9rocsparseL18bsrxmvn_4x4_kernelILj128ELj64EflifffEEvT3_20rocsparse_direction_NS_24const_host_device_scalarIT1_EES1_PKS1_PKT2_SA_S7_PKT4_PKT5_S5_PT6_21rocsparse_index_base_b.num_named_barrier, 0
	.set _ZN9rocsparseL18bsrxmvn_4x4_kernelILj128ELj64EflifffEEvT3_20rocsparse_direction_NS_24const_host_device_scalarIT1_EES1_PKS1_PKT2_SA_S7_PKT4_PKT5_S5_PT6_21rocsparse_index_base_b.private_seg_size, 0
	.set _ZN9rocsparseL18bsrxmvn_4x4_kernelILj128ELj64EflifffEEvT3_20rocsparse_direction_NS_24const_host_device_scalarIT1_EES1_PKS1_PKT2_SA_S7_PKT4_PKT5_S5_PT6_21rocsparse_index_base_b.uses_vcc, 1
	.set _ZN9rocsparseL18bsrxmvn_4x4_kernelILj128ELj64EflifffEEvT3_20rocsparse_direction_NS_24const_host_device_scalarIT1_EES1_PKS1_PKT2_SA_S7_PKT4_PKT5_S5_PT6_21rocsparse_index_base_b.uses_flat_scratch, 0
	.set _ZN9rocsparseL18bsrxmvn_4x4_kernelILj128ELj64EflifffEEvT3_20rocsparse_direction_NS_24const_host_device_scalarIT1_EES1_PKS1_PKT2_SA_S7_PKT4_PKT5_S5_PT6_21rocsparse_index_base_b.has_dyn_sized_stack, 0
	.set _ZN9rocsparseL18bsrxmvn_4x4_kernelILj128ELj64EflifffEEvT3_20rocsparse_direction_NS_24const_host_device_scalarIT1_EES1_PKS1_PKT2_SA_S7_PKT4_PKT5_S5_PT6_21rocsparse_index_base_b.has_recursion, 0
	.set _ZN9rocsparseL18bsrxmvn_4x4_kernelILj128ELj64EflifffEEvT3_20rocsparse_direction_NS_24const_host_device_scalarIT1_EES1_PKS1_PKT2_SA_S7_PKT4_PKT5_S5_PT6_21rocsparse_index_base_b.has_indirect_call, 0
	.section	.AMDGPU.csdata,"",@progbits
; Kernel info:
; codeLenInByte = 4176
; TotalNumSgprs: 20
; NumVgprs: 86
; ScratchSize: 0
; MemoryBound: 1
; FloatMode: 240
; IeeeMode: 1
; LDSByteSize: 0 bytes/workgroup (compile time only)
; SGPRBlocks: 0
; VGPRBlocks: 5
; NumSGPRsForWavesPerEU: 20
; NumVGPRsForWavesPerEU: 86
; NamedBarCnt: 0
; Occupancy: 10
; WaveLimiterHint : 1
; COMPUTE_PGM_RSRC2:SCRATCH_EN: 0
; COMPUTE_PGM_RSRC2:USER_SGPR: 2
; COMPUTE_PGM_RSRC2:TRAP_HANDLER: 0
; COMPUTE_PGM_RSRC2:TGID_X_EN: 1
; COMPUTE_PGM_RSRC2:TGID_Y_EN: 0
; COMPUTE_PGM_RSRC2:TGID_Z_EN: 0
; COMPUTE_PGM_RSRC2:TIDIG_COMP_CNT: 0
	.section	.text._ZN9rocsparseL18bsrxmvn_4x4_kernelILj128ELj4EdlidddEEvT3_20rocsparse_direction_NS_24const_host_device_scalarIT1_EES1_PKS1_PKT2_SA_S7_PKT4_PKT5_S5_PT6_21rocsparse_index_base_b,"axG",@progbits,_ZN9rocsparseL18bsrxmvn_4x4_kernelILj128ELj4EdlidddEEvT3_20rocsparse_direction_NS_24const_host_device_scalarIT1_EES1_PKS1_PKT2_SA_S7_PKT4_PKT5_S5_PT6_21rocsparse_index_base_b,comdat
	.globl	_ZN9rocsparseL18bsrxmvn_4x4_kernelILj128ELj4EdlidddEEvT3_20rocsparse_direction_NS_24const_host_device_scalarIT1_EES1_PKS1_PKT2_SA_S7_PKT4_PKT5_S5_PT6_21rocsparse_index_base_b ; -- Begin function _ZN9rocsparseL18bsrxmvn_4x4_kernelILj128ELj4EdlidddEEvT3_20rocsparse_direction_NS_24const_host_device_scalarIT1_EES1_PKS1_PKT2_SA_S7_PKT4_PKT5_S5_PT6_21rocsparse_index_base_b
	.p2align	8
	.type	_ZN9rocsparseL18bsrxmvn_4x4_kernelILj128ELj4EdlidddEEvT3_20rocsparse_direction_NS_24const_host_device_scalarIT1_EES1_PKS1_PKT2_SA_S7_PKT4_PKT5_S5_PT6_21rocsparse_index_base_b,@function
_ZN9rocsparseL18bsrxmvn_4x4_kernelILj128ELj4EdlidddEEvT3_20rocsparse_direction_NS_24const_host_device_scalarIT1_EES1_PKS1_PKT2_SA_S7_PKT4_PKT5_S5_PT6_21rocsparse_index_base_b: ; @_ZN9rocsparseL18bsrxmvn_4x4_kernelILj128ELj4EdlidddEEvT3_20rocsparse_direction_NS_24const_host_device_scalarIT1_EES1_PKS1_PKT2_SA_S7_PKT4_PKT5_S5_PT6_21rocsparse_index_base_b
; %bb.0:
	s_clause 0x2
	s_load_b64 s[12:13], s[0:1], 0x58
	s_load_b64 s[4:5], s[0:1], 0x8
	;; [unrolled: 1-line block ×3, first 2 shown]
	s_wait_kmcnt 0x0
	s_bitcmp1_b32 s13, 0
	v_mov_b64_e32 v[2:3], s[4:5]
	s_cselect_b32 s6, -1, 0
	s_delay_alu instid0(SALU_CYCLE_1)
	s_and_b32 vcc_lo, exec_lo, s6
	s_xor_b32 s6, s6, -1
	s_cbranch_vccnz .LBB25_2
; %bb.1:
	v_mov_b32_e32 v1, 0
	flat_load_b64 v[2:3], v1, s[4:5]
.LBB25_2:
	v_mov_b64_e32 v[8:9], s[2:3]
	s_and_not1_b32 vcc_lo, exec_lo, s6
	s_cbranch_vccnz .LBB25_4
; %bb.3:
	s_wait_xcnt 0x0
	v_mov_b32_e32 v1, 0
	flat_load_b64 v[8:9], v1, s[2:3]
.LBB25_4:
	s_wait_loadcnt_dscnt 0x0
	v_cmp_neq_f64_e32 vcc_lo, 0, v[2:3]
	s_delay_alu instid0(VALU_DEP_2) | instskip(SKIP_1) | instid1(SALU_CYCLE_1)
	v_cmp_neq_f64_e64 s2, 1.0, v[8:9]
	s_or_b32 s2, vcc_lo, s2
	s_and_saveexec_b32 s3, s2
	s_cbranch_execz .LBB25_10
; %bb.5:
	s_clause 0x1
	s_load_b64 s[4:5], s[0:1], 0x18
	s_load_b64 s[2:3], s[0:1], 0x0
	s_bfe_u32 s6, ttmp6, 0x4000c
	s_and_b32 s7, ttmp6, 15
	s_add_co_i32 s6, s6, 1
	s_getreg_b32 s8, hwreg(HW_REG_IB_STS2, 6, 4)
	s_mul_i32 s6, ttmp9, s6
	v_lshrrev_b32_e32 v1, 2, v0
	s_add_co_i32 s7, s7, s6
	s_cmp_eq_u32 s8, 0
	s_cselect_b32 s6, ttmp9, s7
	s_delay_alu instid0(VALU_DEP_1) | instid1(SALU_CYCLE_1)
	v_lshl_or_b32 v10, s6, 5, v1
	s_mov_b32 s6, 0
	s_wait_kmcnt 0x0
	s_cmp_lg_u64 s[4:5], 0
	s_cbranch_scc0 .LBB25_11
; %bb.6:
	s_load_b32 s6, s[0:1], 0x10
	s_mov_b32 s7, 0
                                        ; implicit-def: $vgpr1
	s_wait_kmcnt 0x0
	v_cmp_gt_i32_e32 vcc_lo, s6, v10
	s_mov_b32 s6, 0
	s_and_saveexec_b32 s8, vcc_lo
	s_delay_alu instid0(SALU_CYCLE_1)
	s_xor_b32 s8, exec_lo, s8
	s_cbranch_execz .LBB25_8
; %bb.7:
	global_load_b32 v1, v10, s[4:5] scale_offset
	s_mov_b32 s6, exec_lo
	s_wait_loadcnt 0x0
	v_subrev_nc_u32_e32 v1, s12, v1
.LBB25_8:
	s_or_b32 exec_lo, exec_lo, s8
	s_delay_alu instid0(SALU_CYCLE_1)
	s_and_b32 vcc_lo, exec_lo, s7
	s_cbranch_vccz .LBB25_12
.LBB25_9:
	v_cmp_gt_i32_e32 vcc_lo, s2, v10
	s_and_not1_b32 s2, s6, exec_lo
	s_and_b32 s4, vcc_lo, exec_lo
	s_delay_alu instid0(SALU_CYCLE_1) | instskip(NEXT) | instid1(SALU_CYCLE_1)
	s_or_b32 s6, s2, s4
	s_and_b32 exec_lo, exec_lo, s6
	s_cbranch_execnz .LBB25_13
.LBB25_10:
	s_sendmsg sendmsg(MSG_DEALLOC_VGPRS)
	s_endpgm
.LBB25_11:
                                        ; implicit-def: $vgpr1
	s_cbranch_execnz .LBB25_9
.LBB25_12:
	s_delay_alu instid0(VALU_DEP_1)
	v_mov_b32_e32 v10, v1
	s_and_b32 exec_lo, exec_lo, s6
	s_cbranch_execz .LBB25_10
.LBB25_13:
	s_load_b256 s[4:11], s[0:1], 0x20
	s_mov_b32 s13, 0
	v_dual_mov_b32 v1, 0 :: v_dual_bitop2_b32 v0, 3, v0 bitop3:0x40
	s_wait_kmcnt 0x0
	s_cmp_eq_u64 s[6:7], 0
	global_load_b64 v[22:23], v10, s[4:5] scale_offset
	s_cselect_b32 vcc_lo, -1, 0
	v_ashrrev_i32_e32 v11, 31, v10
	s_cmp_eq_u32 s3, 1
	s_delay_alu instid0(VALU_DEP_1) | instskip(NEXT) | instid1(VALU_DEP_1)
	v_lshlrev_b64_e32 v[4:5], 3, v[10:11]
	v_add_nc_u64_e32 v[6:7], s[4:5], v[4:5]
	v_add_nc_u64_e32 v[4:5], s[6:7], v[4:5]
	s_wait_xcnt 0x0
	s_load_b64 s[4:5], s[0:1], 0x40
	s_delay_alu instid0(VALU_DEP_2) | instskip(NEXT) | instid1(VALU_DEP_1)
	v_add_nc_u64_e32 v[6:7], 8, v[6:7]
	v_dual_cndmask_b32 v5, v5, v7 :: v_dual_cndmask_b32 v4, v4, v6
	global_load_b64 v[6:7], v[4:5], off
	s_wait_loadcnt 0x1
	s_wait_xcnt 0x0
	v_sub_nc_u64_e64 v[4:5], v[22:23], s[12:13]
	s_delay_alu instid0(VALU_DEP_1) | instskip(NEXT) | instid1(VALU_DEP_1)
	v_add_nc_u64_e32 v[4:5], v[4:5], v[0:1]
	v_lshlrev_b64_e32 v[12:13], 7, v[4:5]
	s_delay_alu instid0(VALU_DEP_1) | instskip(SKIP_2) | instid1(VALU_DEP_1)
	v_add_nc_u64_e32 v[12:13], s[10:11], v[12:13]
	s_wait_loadcnt 0x0
	v_sub_nc_u64_e64 v[6:7], v[6:7], s[12:13]
	v_cmp_lt_i64_e64 s2, v[4:5], v[6:7]
	s_cbranch_scc1 .LBB25_25
; %bb.14:
	v_mov_b64_e32 v[14:15], 0
	v_mov_b64_e32 v[16:17], 0
	;; [unrolled: 1-line block ×4, first 2 shown]
	s_and_saveexec_b32 s3, s2
	s_cbranch_execz .LBB25_24
; %bb.15:
	v_dual_mov_b32 v15, v1 :: v_dual_bitop2_b32 v14, 4, v0 bitop3:0x54
	v_sub_nc_u64_e32 v[16:17], s[12:13], v[0:1]
	v_not_b32_e32 v19, v23
	v_not_b32_e32 v18, v22
	v_mov_b64_e32 v[20:21], 0
	v_sub_nc_u64_e64 v[14:15], v[14:15], s[12:13]
	v_mov_b64_e32 v[24:25], v[4:5]
	v_mov_b64_e32 v[26:27], v[12:13]
	v_add_nc_u64_e32 v[16:17], v[16:17], v[18:19]
	v_mov_b64_e32 v[18:19], 0
	s_mov_b32 s6, exec_lo
	v_add_nc_u64_e32 v[14:15], v[14:15], v[22:23]
	s_delay_alu instid0(VALU_DEP_1) | instskip(NEXT) | instid1(VALU_DEP_1)
	v_max_i64 v[14:15], v[14:15], v[6:7]
	v_add_nc_u64_e32 v[28:29], v[16:17], v[14:15]
	v_mov_b64_e32 v[16:17], 0
	v_mov_b64_e32 v[14:15], 0
	s_delay_alu instid0(VALU_DEP_3) | instskip(NEXT) | instid1(VALU_DEP_1)
	v_dual_mov_b32 v33, 0 :: v_dual_bitop2_b32 v32, 12, v28 bitop3:0x40
	v_cmpx_ne_u64_e32 12, v[32:33]
	s_cbranch_execz .LBB25_19
; %bb.16:
	v_lshrrev_b32_e32 v11, 2, v28
	v_mov_b64_e32 v[14:15], 0
	v_mov_b64_e32 v[16:17], 0
	v_mov_b64_e32 v[20:21], 0
	v_mov_b64_e32 v[18:19], 0
	v_add_nc_u32_e32 v11, 1, v11
	v_mov_b64_e32 v[26:27], v[12:13]
	v_mov_b64_e32 v[24:25], v[4:5]
	v_lshl_add_u64 v[30:31], v[4:5], 2, s[8:9]
	s_mov_b32 s7, 0
	v_and_b32_e32 v32, 3, v11
	s_delay_alu instid0(VALU_DEP_1)
	v_sub_nc_u64_e32 v[32:33], 0, v[32:33]
.LBB25_17:                              ; =>This Inner Loop Header: Depth=1
	global_load_b32 v11, v[30:31], off
	s_clause 0x6
	global_load_b128 v[34:37], v[26:27], off offset:48
	global_load_b128 v[38:41], v[26:27], off offset:32
	;; [unrolled: 1-line block ×3, first 2 shown]
	global_load_b128 v[46:49], v[26:27], off
	global_load_b128 v[54:57], v[26:27], off offset:96
	global_load_b128 v[58:61], v[26:27], off offset:80
	;; [unrolled: 1-line block ×3, first 2 shown]
	v_add_nc_u64_e32 v[32:33], 1, v[32:33]
	v_add_nc_u64_e32 v[24:25], 4, v[24:25]
	s_wait_xcnt 0x7
	v_add_nc_u64_e32 v[30:31], 16, v[30:31]
	s_delay_alu instid0(VALU_DEP_3) | instskip(SKIP_3) | instid1(VALU_DEP_1)
	v_cmp_eq_u64_e32 vcc_lo, 0, v[32:33]
	s_or_b32 s7, vcc_lo, s7
	s_wait_loadcnt 0x7
	v_subrev_nc_u32_e32 v11, s12, v11
	v_lshlrev_b32_e32 v62, 2, v11
	s_delay_alu instid0(VALU_DEP_1) | instskip(SKIP_1) | instid1(VALU_DEP_1)
	v_ashrrev_i32_e32 v63, 31, v62
	s_wait_kmcnt 0x0
	v_lshl_add_u64 v[74:75], v[62:63], 3, s[4:5]
	global_load_b128 v[62:65], v[26:27], off offset:64
	s_clause 0x1
	global_load_b128 v[66:69], v[74:75], off
	global_load_b128 v[70:73], v[74:75], off offset:16
	s_wait_xcnt 0x2
	v_add_nc_u64_e32 v[26:27], 0x200, v[26:27]
	s_wait_loadcnt 0x1
	v_fmac_f64_e32 v[18:19], v[46:47], v[66:67]
	v_fmac_f64_e32 v[20:21], v[38:39], v[66:67]
	;; [unrolled: 1-line block ×4, first 2 shown]
	s_delay_alu instid0(VALU_DEP_4) | instskip(NEXT) | instid1(VALU_DEP_4)
	v_fmac_f64_e32 v[18:19], v[48:49], v[68:69]
	v_fmac_f64_e32 v[20:21], v[40:41], v[68:69]
	s_delay_alu instid0(VALU_DEP_4) | instskip(NEXT) | instid1(VALU_DEP_4)
	v_fmac_f64_e32 v[16:17], v[64:65], v[68:69]
	v_fmac_f64_e32 v[14:15], v[56:57], v[68:69]
	s_wait_loadcnt 0x0
	s_delay_alu instid0(VALU_DEP_4) | instskip(NEXT) | instid1(VALU_DEP_4)
	v_fmac_f64_e32 v[18:19], v[42:43], v[70:71]
	v_fmac_f64_e32 v[20:21], v[34:35], v[70:71]
	s_delay_alu instid0(VALU_DEP_4) | instskip(NEXT) | instid1(VALU_DEP_4)
	v_fmac_f64_e32 v[16:17], v[58:59], v[70:71]
	v_fmac_f64_e32 v[14:15], v[50:51], v[70:71]
	;; [unrolled: 3-line block ×4, first 2 shown]
	s_and_not1_b32 exec_lo, exec_lo, s7
	s_cbranch_execnz .LBB25_17
; %bb.18:
	s_or_b32 exec_lo, exec_lo, s7
.LBB25_19:
	s_delay_alu instid0(SALU_CYCLE_1) | instskip(NEXT) | instid1(SALU_CYCLE_1)
	s_or_b32 exec_lo, exec_lo, s6
	s_mov_b32 s6, exec_lo
	v_cmpx_lt_u64_e32 11, v[28:29]
	s_cbranch_execz .LBB25_23
; %bb.20:
	v_lshl_add_u64 v[28:29], v[24:25], 2, s[8:9]
	s_mov_b32 s7, 0
	s_delay_alu instid0(VALU_DEP_1)
	v_add_nc_u64_e32 v[28:29], 32, v[28:29]
.LBB25_21:                              ; =>This Inner Loop Header: Depth=1
	global_load_b32 v11, v[28:29], off offset:-32
	s_clause 0xf
	global_load_b128 v[30:33], v[26:27], off offset:48
	global_load_b128 v[34:37], v[26:27], off offset:32
	;; [unrolled: 1-line block ×3, first 2 shown]
	global_load_b128 v[42:45], v[26:27], off
	global_load_b128 v[46:49], v[26:27], off offset:112
	global_load_b128 v[50:53], v[26:27], off offset:96
	;; [unrolled: 1-line block ×12, first 2 shown]
	s_clause 0x2
	global_load_b32 v136, v[28:29], off offset:-16
	global_load_b32 v137, v[28:29], off
	global_load_b32 v138, v[28:29], off offset:16
	s_clause 0x7
	global_load_b128 v[94:97], v[26:27], off offset:1072
	global_load_b128 v[98:101], v[26:27], off offset:1056
	;; [unrolled: 1-line block ×8, first 2 shown]
	v_add_nc_u64_e32 v[24:25], 16, v[24:25]
	s_wait_xcnt 0x8
	v_add_nc_u64_e32 v[28:29], 64, v[28:29]
	s_delay_alu instid0(VALU_DEP_2) | instskip(SKIP_3) | instid1(VALU_DEP_1)
	v_cmp_ge_i64_e32 vcc_lo, v[24:25], v[6:7]
	s_or_b32 s7, vcc_lo, s7
	s_wait_loadcnt 0x1b
	v_subrev_nc_u32_e32 v11, s12, v11
	v_lshlrev_b32_e32 v126, 2, v11
	s_delay_alu instid0(VALU_DEP_1) | instskip(SKIP_1) | instid1(VALU_DEP_1)
	v_ashrrev_i32_e32 v127, 31, v126
	s_wait_kmcnt 0x0
	v_lshl_add_u64 v[134:135], v[126:127], 3, s[4:5]
	s_clause 0x1
	global_load_b128 v[126:129], v[134:135], off
	global_load_b128 v[130:133], v[134:135], off offset:16
	s_wait_loadcnt 0xc
	v_subrev_nc_u32_e32 v11, s12, v136
	s_wait_xcnt 0x0
	s_delay_alu instid0(VALU_DEP_1)
	v_lshlrev_b32_e32 v134, 2, v11
	s_wait_loadcnt 0xb
	v_subrev_nc_u32_e32 v11, s12, v137
	s_wait_loadcnt 0x1
	v_fmac_f64_e32 v[20:21], v[34:35], v[126:127]
	v_fmac_f64_e32 v[18:19], v[42:43], v[126:127]
	v_fmac_f64_e32 v[16:17], v[58:59], v[126:127]
	v_fmac_f64_e32 v[14:15], v[50:51], v[126:127]
	v_lshlrev_b32_e32 v126, 2, v11
	v_subrev_nc_u32_e32 v11, s12, v138
	v_ashrrev_i32_e32 v135, 31, v134
	s_delay_alu instid0(VALU_DEP_3) | instskip(NEXT) | instid1(VALU_DEP_2)
	v_ashrrev_i32_e32 v127, 31, v126
	v_lshl_add_u64 v[134:135], v[134:135], 3, s[4:5]
	s_delay_alu instid0(VALU_DEP_2)
	v_lshl_add_u64 v[136:137], v[126:127], 3, s[4:5]
	v_fmac_f64_e32 v[20:21], v[36:37], v[128:129]
	global_load_b128 v[34:37], v[134:135], off
	v_fmac_f64_e32 v[18:19], v[44:45], v[128:129]
	v_fmac_f64_e32 v[16:17], v[60:61], v[128:129]
	;; [unrolled: 1-line block ×3, first 2 shown]
	global_load_b128 v[126:129], v[134:135], off offset:16
	s_wait_xcnt 0x0
	v_lshlrev_b32_e32 v134, 2, v11
	s_clause 0x2
	global_load_b128 v[42:45], v[26:27], off offset:1584
	global_load_b128 v[58:61], v[26:27], off offset:1568
	;; [unrolled: 1-line block ×3, first 2 shown]
	v_ashrrev_i32_e32 v135, 31, v134
	s_delay_alu instid0(VALU_DEP_1)
	v_lshl_add_u64 v[138:139], v[134:135], 3, s[4:5]
	s_wait_loadcnt 0x5
	v_fmac_f64_e32 v[20:21], v[30:31], v[130:131]
	v_fmac_f64_e32 v[18:19], v[38:39], v[130:131]
	;; [unrolled: 1-line block ×4, first 2 shown]
	s_delay_alu instid0(VALU_DEP_4)
	v_fmac_f64_e32 v[20:21], v[32:33], v[132:133]
	global_load_b128 v[30:33], v[26:27], off offset:1536
	v_fmac_f64_e32 v[18:19], v[40:41], v[132:133]
	global_load_b128 v[38:41], v[136:137], off
	v_fmac_f64_e32 v[16:17], v[56:57], v[132:133]
	global_load_b128 v[54:57], v[136:137], off offset:16
	v_fmac_f64_e32 v[14:15], v[48:49], v[132:133]
	s_clause 0x1
	global_load_b128 v[46:49], v[26:27], off offset:1632
	global_load_b128 v[130:133], v[26:27], off offset:1600
	s_wait_loadcnt 0x9
	v_fmac_f64_e32 v[18:19], v[74:75], v[34:35]
	v_fmac_f64_e32 v[20:21], v[66:67], v[34:35]
	v_fmac_f64_e32 v[16:17], v[90:91], v[34:35]
	v_fmac_f64_e32 v[14:15], v[82:83], v[34:35]
	s_delay_alu instid0(VALU_DEP_4)
	v_fmac_f64_e32 v[18:19], v[76:77], v[36:37]
	global_load_b128 v[74:77], v[138:139], off
	v_fmac_f64_e32 v[20:21], v[68:69], v[36:37]
	global_load_b128 v[66:69], v[26:27], off offset:1648
	v_fmac_f64_e32 v[16:17], v[92:93], v[36:37]
	global_load_b128 v[90:93], v[26:27], off offset:1616
	global_load_b128 v[134:137], v[138:139], off offset:16
	v_fmac_f64_e32 v[14:15], v[84:85], v[36:37]
	s_wait_xcnt 0x1
	v_add_nc_u64_e32 v[26:27], 0x800, v[26:27]
	s_wait_loadcnt 0xc
	v_fmac_f64_e32 v[18:19], v[70:71], v[126:127]
	v_fmac_f64_e32 v[20:21], v[62:63], v[126:127]
	;; [unrolled: 1-line block ×4, first 2 shown]
	s_delay_alu instid0(VALU_DEP_4) | instskip(NEXT) | instid1(VALU_DEP_4)
	v_fmac_f64_e32 v[18:19], v[72:73], v[128:129]
	v_fmac_f64_e32 v[20:21], v[64:65], v[128:129]
	s_delay_alu instid0(VALU_DEP_4) | instskip(NEXT) | instid1(VALU_DEP_4)
	v_fmac_f64_e32 v[16:17], v[88:89], v[128:129]
	v_fmac_f64_e32 v[14:15], v[80:81], v[128:129]
	s_wait_loadcnt 0x7
	s_delay_alu instid0(VALU_DEP_4) | instskip(NEXT) | instid1(VALU_DEP_4)
	v_fmac_f64_e32 v[18:19], v[106:107], v[38:39]
	v_fmac_f64_e32 v[20:21], v[98:99], v[38:39]
	s_delay_alu instid0(VALU_DEP_4) | instskip(NEXT) | instid1(VALU_DEP_4)
	v_fmac_f64_e32 v[16:17], v[122:123], v[38:39]
	v_fmac_f64_e32 v[14:15], v[114:115], v[38:39]
	s_delay_alu instid0(VALU_DEP_4) | instskip(NEXT) | instid1(VALU_DEP_4)
	v_fmac_f64_e32 v[18:19], v[108:109], v[40:41]
	v_fmac_f64_e32 v[20:21], v[100:101], v[40:41]
	s_delay_alu instid0(VALU_DEP_4) | instskip(NEXT) | instid1(VALU_DEP_4)
	v_fmac_f64_e32 v[16:17], v[124:125], v[40:41]
	v_fmac_f64_e32 v[14:15], v[116:117], v[40:41]
	s_wait_loadcnt 0x6
	s_delay_alu instid0(VALU_DEP_4) | instskip(NEXT) | instid1(VALU_DEP_4)
	v_fmac_f64_e32 v[18:19], v[102:103], v[54:55]
	v_fmac_f64_e32 v[20:21], v[94:95], v[54:55]
	s_delay_alu instid0(VALU_DEP_4) | instskip(NEXT) | instid1(VALU_DEP_4)
	v_fmac_f64_e32 v[16:17], v[118:119], v[54:55]
	v_fmac_f64_e32 v[14:15], v[110:111], v[54:55]
	;; [unrolled: 13-line block ×4, first 2 shown]
	s_delay_alu instid0(VALU_DEP_4) | instskip(NEXT) | instid1(VALU_DEP_4)
	v_fmac_f64_e32 v[18:19], v[52:53], v[136:137]
	v_fmac_f64_e32 v[20:21], v[44:45], v[136:137]
	s_delay_alu instid0(VALU_DEP_4) | instskip(NEXT) | instid1(VALU_DEP_4)
	v_fmac_f64_e32 v[16:17], v[92:93], v[136:137]
	v_fmac_f64_e32 v[14:15], v[68:69], v[136:137]
	s_and_not1_b32 exec_lo, exec_lo, s7
	s_cbranch_execnz .LBB25_21
; %bb.22:
	s_or_b32 exec_lo, exec_lo, s7
.LBB25_23:
	s_delay_alu instid0(SALU_CYCLE_1)
	s_or_b32 exec_lo, exec_lo, s6
.LBB25_24:
	s_delay_alu instid0(SALU_CYCLE_1)
	s_or_b32 exec_lo, exec_lo, s3
	s_cbranch_execz .LBB25_26
	s_branch .LBB25_37
.LBB25_25:
                                        ; implicit-def: $vgpr14_vgpr15
                                        ; implicit-def: $vgpr16_vgpr17
                                        ; implicit-def: $vgpr20_vgpr21
                                        ; implicit-def: $vgpr18_vgpr19
.LBB25_26:
	v_mov_b64_e32 v[14:15], 0
	v_mov_b64_e32 v[16:17], 0
	;; [unrolled: 1-line block ×4, first 2 shown]
	s_and_saveexec_b32 s3, s2
	s_cbranch_execz .LBB25_36
; %bb.27:
	v_dual_mov_b32 v15, v1 :: v_dual_bitop2_b32 v14, 4, v0 bitop3:0x54
	v_sub_nc_u64_e32 v[16:17], s[12:13], v[0:1]
	v_not_b32_e32 v19, v23
	v_not_b32_e32 v18, v22
	v_mov_b64_e32 v[20:21], 0
	v_sub_nc_u64_e64 v[14:15], v[14:15], s[12:13]
	s_mov_b32 s2, exec_lo
	s_delay_alu instid0(VALU_DEP_3) | instskip(SKIP_1) | instid1(VALU_DEP_3)
	v_add_nc_u64_e32 v[16:17], v[16:17], v[18:19]
	v_mov_b64_e32 v[18:19], 0
	v_add_nc_u64_e32 v[14:15], v[14:15], v[22:23]
	s_delay_alu instid0(VALU_DEP_1) | instskip(NEXT) | instid1(VALU_DEP_1)
	v_max_i64 v[14:15], v[14:15], v[6:7]
	v_add_nc_u64_e32 v[22:23], v[16:17], v[14:15]
	v_mov_b64_e32 v[16:17], 0
	v_mov_b64_e32 v[14:15], 0
	s_delay_alu instid0(VALU_DEP_3) | instskip(NEXT) | instid1(VALU_DEP_1)
	v_dual_mov_b32 v25, 0 :: v_dual_bitop2_b32 v24, 12, v22 bitop3:0x40
	v_cmpx_ne_u64_e32 12, v[24:25]
	s_cbranch_execz .LBB25_31
; %bb.28:
	v_lshrrev_b32_e32 v1, 2, v22
	v_mov_b64_e32 v[14:15], 0
	v_mov_b64_e32 v[16:17], 0
	;; [unrolled: 1-line block ×4, first 2 shown]
	v_add_nc_u32_e32 v1, 1, v1
	v_lshl_add_u64 v[26:27], v[4:5], 2, s[8:9]
	s_mov_b32 s6, 0
	s_delay_alu instid0(VALU_DEP_2) | instskip(NEXT) | instid1(VALU_DEP_1)
	v_and_b32_e32 v24, 3, v1
	v_sub_nc_u64_e32 v[24:25], 0, v[24:25]
.LBB25_29:                              ; =>This Inner Loop Header: Depth=1
	global_load_b32 v1, v[26:27], off
	global_load_b128 v[28:31], v[12:13], off offset:16
	v_add_nc_u64_e32 v[24:25], 1, v[24:25]
	v_add_nc_u64_e32 v[4:5], 4, v[4:5]
	s_wait_xcnt 0x1
	v_add_nc_u64_e32 v[26:27], 16, v[26:27]
	s_delay_alu instid0(VALU_DEP_3) | instskip(SKIP_3) | instid1(VALU_DEP_1)
	v_cmp_eq_u64_e32 vcc_lo, 0, v[24:25]
	s_or_b32 s6, vcc_lo, s6
	s_wait_loadcnt 0x1
	v_subrev_nc_u32_e32 v1, s12, v1
	v_lshlrev_b32_e32 v32, 2, v1
	s_delay_alu instid0(VALU_DEP_1) | instskip(SKIP_1) | instid1(VALU_DEP_1)
	v_ashrrev_i32_e32 v33, 31, v32
	s_wait_kmcnt 0x0
	v_lshl_add_u64 v[68:69], v[32:33], 3, s[4:5]
	global_load_b128 v[32:35], v[12:13], off
	s_clause 0x1
	global_load_b128 v[36:39], v[68:69], off
	global_load_b128 v[40:43], v[68:69], off offset:16
	s_clause 0x5
	global_load_b128 v[44:47], v[12:13], off offset:32
	global_load_b128 v[48:51], v[12:13], off offset:48
	;; [unrolled: 1-line block ×6, first 2 shown]
	s_wait_xcnt 0x0
	v_add_nc_u64_e32 v[12:13], 0x200, v[12:13]
	s_wait_loadcnt 0x7
	v_fmac_f64_e32 v[18:19], v[32:33], v[36:37]
	v_fmac_f64_e32 v[20:21], v[34:35], v[36:37]
	;; [unrolled: 1-line block ×4, first 2 shown]
	s_wait_loadcnt 0x5
	s_delay_alu instid0(VALU_DEP_4) | instskip(NEXT) | instid1(VALU_DEP_4)
	v_fmac_f64_e32 v[18:19], v[44:45], v[38:39]
	v_fmac_f64_e32 v[20:21], v[46:47], v[38:39]
	s_wait_loadcnt 0x4
	s_delay_alu instid0(VALU_DEP_4) | instskip(NEXT) | instid1(VALU_DEP_4)
	v_fmac_f64_e32 v[16:17], v[48:49], v[38:39]
	v_fmac_f64_e32 v[14:15], v[50:51], v[38:39]
	;; [unrolled: 4-line block ×6, first 2 shown]
	s_and_not1_b32 exec_lo, exec_lo, s6
	s_cbranch_execnz .LBB25_29
; %bb.30:
	s_or_b32 exec_lo, exec_lo, s6
.LBB25_31:
	s_delay_alu instid0(SALU_CYCLE_1) | instskip(NEXT) | instid1(SALU_CYCLE_1)
	s_or_b32 exec_lo, exec_lo, s2
	s_mov_b32 s2, exec_lo
	v_cmpx_lt_u64_e32 11, v[22:23]
	s_cbranch_execz .LBB25_35
; %bb.32:
	v_lshl_add_u64 v[22:23], v[4:5], 2, s[8:9]
	s_mov_b32 s6, 0
	s_delay_alu instid0(VALU_DEP_1)
	v_add_nc_u64_e32 v[22:23], 32, v[22:23]
.LBB25_33:                              ; =>This Inner Loop Header: Depth=1
	s_clause 0x1
	global_load_b32 v1, v[22:23], off offset:-32
	global_load_b32 v11, v[22:23], off offset:-16
	s_clause 0xa
	global_load_b128 v[24:27], v[12:13], off offset:48
	global_load_b128 v[28:31], v[12:13], off offset:32
	;; [unrolled: 1-line block ×3, first 2 shown]
	global_load_b128 v[36:39], v[12:13], off
	global_load_b128 v[40:43], v[12:13], off offset:112
	global_load_b128 v[44:47], v[12:13], off offset:96
	;; [unrolled: 1-line block ×7, first 2 shown]
	s_clause 0x1
	global_load_b32 v108, v[22:23], off
	global_load_b32 v114, v[22:23], off offset:16
	v_add_nc_u64_e32 v[4:5], 16, v[4:5]
	s_wait_xcnt 0x0
	v_add_nc_u64_e32 v[22:23], 64, v[22:23]
	s_delay_alu instid0(VALU_DEP_2)
	v_cmp_ge_i64_e32 vcc_lo, v[4:5], v[6:7]
	s_or_b32 s6, vcc_lo, s6
	s_wait_loadcnt 0xe
	v_subrev_nc_u32_e32 v1, s12, v1
	s_wait_loadcnt 0xd
	v_subrev_nc_u32_e32 v11, s12, v11
	s_delay_alu instid0(VALU_DEP_1) | instskip(NEXT) | instid1(VALU_DEP_1)
	v_dual_lshlrev_b32 v68, 2, v1 :: v_dual_lshlrev_b32 v70, 2, v11
	v_dual_ashrrev_i32 v69, 31, v68 :: v_dual_ashrrev_i32 v71, 31, v70
	s_wait_loadcnt 0x1
	v_subrev_nc_u32_e32 v1, s12, v108
	s_wait_kmcnt 0x0
	s_delay_alu instid0(VALU_DEP_2)
	v_lshl_add_u64 v[104:105], v[68:69], 3, s[4:5]
	v_lshl_add_u64 v[106:107], v[70:71], 3, s[4:5]
	s_clause 0x2
	global_load_b128 v[68:71], v[104:105], off
	global_load_b128 v[72:75], v[104:105], off offset:16
	global_load_b128 v[76:79], v[106:107], off
	s_clause 0x2
	global_load_b128 v[80:83], v[12:13], off offset:560
	global_load_b128 v[84:87], v[12:13], off offset:592
	;; [unrolled: 1-line block ×4, first 2 shown]
	s_clause 0x1
	global_load_b128 v[96:99], v[12:13], off offset:608
	global_load_b128 v[100:103], v[12:13], off offset:624
	v_lshlrev_b32_e32 v112, 2, v1
	s_wait_loadcnt 0x9
	v_subrev_nc_u32_e32 v1, s12, v114
	s_clause 0x1
	global_load_b128 v[104:107], v[12:13], off offset:1040
	global_load_b128 v[108:111], v[12:13], off offset:1024
	v_ashrrev_i32_e32 v113, 31, v112
	s_delay_alu instid0(VALU_DEP_1)
	v_lshl_add_u64 v[112:113], v[112:113], 3, s[4:5]
	s_wait_loadcnt 0xa
	v_fmac_f64_e32 v[18:19], v[36:37], v[68:69]
	v_fmac_f64_e32 v[20:21], v[38:39], v[68:69]
	global_load_b128 v[36:39], v[112:113], off
	v_fmac_f64_e32 v[16:17], v[32:33], v[68:69]
	v_fmac_f64_e32 v[14:15], v[34:35], v[68:69]
	global_load_b128 v[32:35], v[12:13], off offset:1056
	v_fmac_f64_e32 v[18:19], v[28:29], v[70:71]
	v_fmac_f64_e32 v[20:21], v[30:31], v[70:71]
	global_load_b128 v[28:31], v[12:13], off offset:1072
	v_fmac_f64_e32 v[16:17], v[24:25], v[70:71]
	v_fmac_f64_e32 v[14:15], v[26:27], v[70:71]
	s_clause 0x1
	global_load_b128 v[24:27], v[12:13], off offset:1088
	global_load_b128 v[68:71], v[12:13], off offset:1104
	s_wait_loadcnt 0xe
	v_fmac_f64_e32 v[18:19], v[52:53], v[72:73]
	v_fmac_f64_e32 v[20:21], v[54:55], v[72:73]
	global_load_b128 v[52:55], v[112:113], off offset:16
	v_fmac_f64_e32 v[16:17], v[48:49], v[72:73]
	v_fmac_f64_e32 v[14:15], v[50:51], v[72:73]
	global_load_b128 v[48:51], v[12:13], off offset:1120
	s_wait_xcnt 0x1
	v_lshlrev_b32_e32 v112, 2, v1
	s_delay_alu instid0(VALU_DEP_1) | instskip(NEXT) | instid1(VALU_DEP_1)
	v_ashrrev_i32_e32 v113, 31, v112
	v_lshl_add_u64 v[116:117], v[112:113], 3, s[4:5]
	v_fmac_f64_e32 v[18:19], v[44:45], v[74:75]
	v_fmac_f64_e32 v[20:21], v[46:47], v[74:75]
	global_load_b128 v[44:47], v[12:13], off offset:1136
	v_fmac_f64_e32 v[16:17], v[40:41], v[74:75]
	v_fmac_f64_e32 v[14:15], v[42:43], v[74:75]
	s_clause 0x1
	global_load_b128 v[40:43], v[12:13], off offset:1552
	global_load_b128 v[72:75], v[12:13], off offset:1536
	s_wait_loadcnt 0x12
	v_fmac_f64_e32 v[18:19], v[64:65], v[76:77]
	v_fmac_f64_e32 v[20:21], v[66:67], v[76:77]
	global_load_b128 v[64:67], v[116:117], off
	v_fmac_f64_e32 v[16:17], v[60:61], v[76:77]
	v_fmac_f64_e32 v[14:15], v[62:63], v[76:77]
	global_load_b128 v[60:63], v[12:13], off offset:1568
	v_fmac_f64_e32 v[18:19], v[56:57], v[78:79]
	v_fmac_f64_e32 v[20:21], v[58:59], v[78:79]
	global_load_b128 v[56:59], v[12:13], off offset:1584
	s_wait_loadcnt 0x14
	v_fmac_f64_e32 v[16:17], v[80:81], v[78:79]
	v_fmac_f64_e32 v[14:15], v[82:83], v[78:79]
	s_clause 0x1
	global_load_b128 v[76:79], v[12:13], off offset:1600
	global_load_b128 v[80:83], v[12:13], off offset:1616
	;; [unrolled: 1-line block ×3, first 2 shown]
	s_wait_loadcnt 0x14
	v_fmac_f64_e32 v[18:19], v[88:89], v[92:93]
	v_fmac_f64_e32 v[20:21], v[90:91], v[92:93]
	global_load_b128 v[88:91], v[12:13], off offset:1632
	v_fmac_f64_e32 v[16:17], v[84:85], v[92:93]
	v_fmac_f64_e32 v[14:15], v[86:87], v[92:93]
	global_load_b128 v[84:87], v[12:13], off offset:1648
	s_wait_xcnt 0x0
	v_add_nc_u64_e32 v[12:13], 0x800, v[12:13]
	s_wait_loadcnt 0x15
	v_fmac_f64_e32 v[18:19], v[96:97], v[94:95]
	v_fmac_f64_e32 v[20:21], v[98:99], v[94:95]
	s_wait_loadcnt 0x14
	v_fmac_f64_e32 v[16:17], v[100:101], v[94:95]
	v_fmac_f64_e32 v[14:15], v[102:103], v[94:95]
	s_wait_loadcnt 0x11
	s_delay_alu instid0(VALU_DEP_4) | instskip(NEXT) | instid1(VALU_DEP_4)
	v_fmac_f64_e32 v[18:19], v[108:109], v[36:37]
	v_fmac_f64_e32 v[20:21], v[110:111], v[36:37]
	s_delay_alu instid0(VALU_DEP_4) | instskip(NEXT) | instid1(VALU_DEP_4)
	v_fmac_f64_e32 v[16:17], v[104:105], v[36:37]
	v_fmac_f64_e32 v[14:15], v[106:107], v[36:37]
	s_wait_loadcnt 0x10
	s_delay_alu instid0(VALU_DEP_4) | instskip(NEXT) | instid1(VALU_DEP_4)
	v_fmac_f64_e32 v[18:19], v[32:33], v[38:39]
	v_fmac_f64_e32 v[20:21], v[34:35], v[38:39]
	s_wait_loadcnt 0xf
	s_delay_alu instid0(VALU_DEP_4) | instskip(NEXT) | instid1(VALU_DEP_4)
	v_fmac_f64_e32 v[16:17], v[28:29], v[38:39]
	v_fmac_f64_e32 v[14:15], v[30:31], v[38:39]
	s_wait_loadcnt 0xc
	s_delay_alu instid0(VALU_DEP_4) | instskip(NEXT) | instid1(VALU_DEP_4)
	v_fmac_f64_e32 v[18:19], v[24:25], v[52:53]
	v_fmac_f64_e32 v[20:21], v[26:27], v[52:53]
	s_delay_alu instid0(VALU_DEP_4) | instskip(NEXT) | instid1(VALU_DEP_4)
	v_fmac_f64_e32 v[16:17], v[68:69], v[52:53]
	v_fmac_f64_e32 v[14:15], v[70:71], v[52:53]
	s_wait_loadcnt 0xb
	s_delay_alu instid0(VALU_DEP_4) | instskip(NEXT) | instid1(VALU_DEP_4)
	v_fmac_f64_e32 v[18:19], v[48:49], v[54:55]
	v_fmac_f64_e32 v[20:21], v[50:51], v[54:55]
	s_wait_loadcnt 0xa
	s_delay_alu instid0(VALU_DEP_4) | instskip(NEXT) | instid1(VALU_DEP_4)
	;; [unrolled: 15-line block ×4, first 2 shown]
	v_fmac_f64_e32 v[16:17], v[84:85], v[114:115]
	v_fmac_f64_e32 v[14:15], v[86:87], v[114:115]
	s_and_not1_b32 exec_lo, exec_lo, s6
	s_cbranch_execnz .LBB25_33
; %bb.34:
	s_or_b32 exec_lo, exec_lo, s6
.LBB25_35:
	s_delay_alu instid0(SALU_CYCLE_1)
	s_or_b32 exec_lo, exec_lo, s2
.LBB25_36:
	s_delay_alu instid0(SALU_CYCLE_1)
	s_or_b32 exec_lo, exec_lo, s3
.LBB25_37:
	v_mbcnt_lo_u32_b32 v1, -1, 0
	s_delay_alu instid0(VALU_DEP_1) | instskip(NEXT) | instid1(VALU_DEP_1)
	v_xor_b32_e32 v4, 2, v1
	v_cmp_gt_i32_e32 vcc_lo, 32, v4
	v_cndmask_b32_e32 v4, v1, v4, vcc_lo
	s_delay_alu instid0(VALU_DEP_1)
	v_lshlrev_b32_e32 v11, 2, v4
	ds_bpermute_b32 v4, v11, v18
	ds_bpermute_b32 v5, v11, v19
	;; [unrolled: 1-line block ×4, first 2 shown]
	s_wait_dscnt 0x2
	v_add_f64_e32 v[18:19], v[18:19], v[4:5]
	s_wait_dscnt 0x0
	v_add_f64_e32 v[4:5], v[16:17], v[22:23]
	ds_bpermute_b32 v6, v11, v20
	ds_bpermute_b32 v7, v11, v21
	;; [unrolled: 1-line block ×4, first 2 shown]
	v_xor_b32_e32 v11, 1, v1
	s_delay_alu instid0(VALU_DEP_1) | instskip(SKIP_3) | instid1(VALU_DEP_2)
	v_cmp_gt_i32_e32 vcc_lo, 32, v11
	v_cndmask_b32_e32 v1, v1, v11, vcc_lo
	v_cmp_eq_u32_e32 vcc_lo, 3, v0
	s_wait_dscnt 0x2
	v_dual_add_f64 v[12:13], v[20:21], v[6:7] :: v_dual_lshlrev_b32 v1, 2, v1
	s_wait_dscnt 0x0
	v_add_f64_e32 v[6:7], v[14:15], v[24:25]
	ds_bpermute_b32 v22, v1, v18
	ds_bpermute_b32 v23, v1, v19
	;; [unrolled: 1-line block ×8, first 2 shown]
	s_and_b32 exec_lo, exec_lo, vcc_lo
	s_cbranch_execz .LBB25_10
; %bb.38:
	s_wait_dscnt 0x6
	v_add_f64_e32 v[0:1], v[18:19], v[22:23]
	s_wait_dscnt 0x2
	v_dual_add_f64 v[12:13], v[12:13], v[20:21] :: v_dual_lshlrev_b32 v10, 2, v10
	v_add_f64_e32 v[16:17], v[4:5], v[16:17]
	s_wait_dscnt 0x0
	v_add_f64_e32 v[14:15], v[6:7], v[14:15]
	s_load_b64 s[0:1], s[0:1], 0x50
	s_mov_b32 s2, exec_lo
	s_delay_alu instid0(VALU_DEP_4) | instskip(NEXT) | instid1(VALU_DEP_4)
	v_mul_f64_e32 v[4:5], v[2:3], v[0:1]
	v_mul_f64_e32 v[6:7], v[2:3], v[12:13]
	s_delay_alu instid0(VALU_DEP_4) | instskip(NEXT) | instid1(VALU_DEP_4)
	v_mul_f64_e32 v[0:1], v[2:3], v[16:17]
	v_mul_f64_e32 v[2:3], v[2:3], v[14:15]
	v_cmpx_eq_f64_e32 0, v[8:9]
	s_xor_b32 s2, exec_lo, s2
	s_cbranch_execz .LBB25_40
; %bb.39:
	v_ashrrev_i32_e32 v11, 31, v10
	s_wait_kmcnt 0x0
	s_delay_alu instid0(VALU_DEP_1)
	v_lshl_add_u64 v[8:9], v[10:11], 3, s[0:1]
                                        ; implicit-def: $vgpr10
	s_clause 0x1
	global_store_b128 v[8:9], v[4:7], off
	global_store_b128 v[8:9], v[0:3], off offset:16
                                        ; implicit-def: $vgpr8_vgpr9
                                        ; implicit-def: $vgpr4_vgpr5
                                        ; implicit-def: $vgpr0_vgpr1
.LBB25_40:
	s_wait_xcnt 0x0
	s_and_not1_saveexec_b32 s2, s2
	s_cbranch_execz .LBB25_10
; %bb.41:
	v_ashrrev_i32_e32 v11, 31, v10
	s_wait_kmcnt 0x0
	s_delay_alu instid0(VALU_DEP_1)
	v_lshl_add_u64 v[18:19], v[10:11], 3, s[0:1]
	s_clause 0x1
	global_load_b128 v[10:13], v[18:19], off
	global_load_b128 v[14:17], v[18:19], off offset:16
	s_wait_loadcnt 0x1
	v_fmac_f64_e32 v[4:5], v[8:9], v[10:11]
	v_fmac_f64_e32 v[6:7], v[8:9], v[12:13]
	s_wait_loadcnt 0x0
	v_fmac_f64_e32 v[0:1], v[8:9], v[14:15]
	v_fmac_f64_e32 v[2:3], v[8:9], v[16:17]
	s_clause 0x1
	global_store_b128 v[18:19], v[4:7], off
	global_store_b128 v[18:19], v[0:3], off offset:16
	s_sendmsg sendmsg(MSG_DEALLOC_VGPRS)
	s_endpgm
	.section	.rodata,"a",@progbits
	.p2align	6, 0x0
	.amdhsa_kernel _ZN9rocsparseL18bsrxmvn_4x4_kernelILj128ELj4EdlidddEEvT3_20rocsparse_direction_NS_24const_host_device_scalarIT1_EES1_PKS1_PKT2_SA_S7_PKT4_PKT5_S5_PT6_21rocsparse_index_base_b
		.amdhsa_group_segment_fixed_size 0
		.amdhsa_private_segment_fixed_size 0
		.amdhsa_kernarg_size 96
		.amdhsa_user_sgpr_count 2
		.amdhsa_user_sgpr_dispatch_ptr 0
		.amdhsa_user_sgpr_queue_ptr 0
		.amdhsa_user_sgpr_kernarg_segment_ptr 1
		.amdhsa_user_sgpr_dispatch_id 0
		.amdhsa_user_sgpr_kernarg_preload_length 0
		.amdhsa_user_sgpr_kernarg_preload_offset 0
		.amdhsa_user_sgpr_private_segment_size 0
		.amdhsa_wavefront_size32 1
		.amdhsa_uses_dynamic_stack 0
		.amdhsa_enable_private_segment 0
		.amdhsa_system_sgpr_workgroup_id_x 1
		.amdhsa_system_sgpr_workgroup_id_y 0
		.amdhsa_system_sgpr_workgroup_id_z 0
		.amdhsa_system_sgpr_workgroup_info 0
		.amdhsa_system_vgpr_workitem_id 0
		.amdhsa_next_free_vgpr 140
		.amdhsa_next_free_sgpr 14
		.amdhsa_named_barrier_count 0
		.amdhsa_reserve_vcc 1
		.amdhsa_float_round_mode_32 0
		.amdhsa_float_round_mode_16_64 0
		.amdhsa_float_denorm_mode_32 3
		.amdhsa_float_denorm_mode_16_64 3
		.amdhsa_fp16_overflow 0
		.amdhsa_memory_ordered 1
		.amdhsa_forward_progress 1
		.amdhsa_inst_pref_size 35
		.amdhsa_round_robin_scheduling 0
		.amdhsa_exception_fp_ieee_invalid_op 0
		.amdhsa_exception_fp_denorm_src 0
		.amdhsa_exception_fp_ieee_div_zero 0
		.amdhsa_exception_fp_ieee_overflow 0
		.amdhsa_exception_fp_ieee_underflow 0
		.amdhsa_exception_fp_ieee_inexact 0
		.amdhsa_exception_int_div_zero 0
	.end_amdhsa_kernel
	.section	.text._ZN9rocsparseL18bsrxmvn_4x4_kernelILj128ELj4EdlidddEEvT3_20rocsparse_direction_NS_24const_host_device_scalarIT1_EES1_PKS1_PKT2_SA_S7_PKT4_PKT5_S5_PT6_21rocsparse_index_base_b,"axG",@progbits,_ZN9rocsparseL18bsrxmvn_4x4_kernelILj128ELj4EdlidddEEvT3_20rocsparse_direction_NS_24const_host_device_scalarIT1_EES1_PKS1_PKT2_SA_S7_PKT4_PKT5_S5_PT6_21rocsparse_index_base_b,comdat
.Lfunc_end25:
	.size	_ZN9rocsparseL18bsrxmvn_4x4_kernelILj128ELj4EdlidddEEvT3_20rocsparse_direction_NS_24const_host_device_scalarIT1_EES1_PKS1_PKT2_SA_S7_PKT4_PKT5_S5_PT6_21rocsparse_index_base_b, .Lfunc_end25-_ZN9rocsparseL18bsrxmvn_4x4_kernelILj128ELj4EdlidddEEvT3_20rocsparse_direction_NS_24const_host_device_scalarIT1_EES1_PKS1_PKT2_SA_S7_PKT4_PKT5_S5_PT6_21rocsparse_index_base_b
                                        ; -- End function
	.set _ZN9rocsparseL18bsrxmvn_4x4_kernelILj128ELj4EdlidddEEvT3_20rocsparse_direction_NS_24const_host_device_scalarIT1_EES1_PKS1_PKT2_SA_S7_PKT4_PKT5_S5_PT6_21rocsparse_index_base_b.num_vgpr, 140
	.set _ZN9rocsparseL18bsrxmvn_4x4_kernelILj128ELj4EdlidddEEvT3_20rocsparse_direction_NS_24const_host_device_scalarIT1_EES1_PKS1_PKT2_SA_S7_PKT4_PKT5_S5_PT6_21rocsparse_index_base_b.num_agpr, 0
	.set _ZN9rocsparseL18bsrxmvn_4x4_kernelILj128ELj4EdlidddEEvT3_20rocsparse_direction_NS_24const_host_device_scalarIT1_EES1_PKS1_PKT2_SA_S7_PKT4_PKT5_S5_PT6_21rocsparse_index_base_b.numbered_sgpr, 14
	.set _ZN9rocsparseL18bsrxmvn_4x4_kernelILj128ELj4EdlidddEEvT3_20rocsparse_direction_NS_24const_host_device_scalarIT1_EES1_PKS1_PKT2_SA_S7_PKT4_PKT5_S5_PT6_21rocsparse_index_base_b.num_named_barrier, 0
	.set _ZN9rocsparseL18bsrxmvn_4x4_kernelILj128ELj4EdlidddEEvT3_20rocsparse_direction_NS_24const_host_device_scalarIT1_EES1_PKS1_PKT2_SA_S7_PKT4_PKT5_S5_PT6_21rocsparse_index_base_b.private_seg_size, 0
	.set _ZN9rocsparseL18bsrxmvn_4x4_kernelILj128ELj4EdlidddEEvT3_20rocsparse_direction_NS_24const_host_device_scalarIT1_EES1_PKS1_PKT2_SA_S7_PKT4_PKT5_S5_PT6_21rocsparse_index_base_b.uses_vcc, 1
	.set _ZN9rocsparseL18bsrxmvn_4x4_kernelILj128ELj4EdlidddEEvT3_20rocsparse_direction_NS_24const_host_device_scalarIT1_EES1_PKS1_PKT2_SA_S7_PKT4_PKT5_S5_PT6_21rocsparse_index_base_b.uses_flat_scratch, 0
	.set _ZN9rocsparseL18bsrxmvn_4x4_kernelILj128ELj4EdlidddEEvT3_20rocsparse_direction_NS_24const_host_device_scalarIT1_EES1_PKS1_PKT2_SA_S7_PKT4_PKT5_S5_PT6_21rocsparse_index_base_b.has_dyn_sized_stack, 0
	.set _ZN9rocsparseL18bsrxmvn_4x4_kernelILj128ELj4EdlidddEEvT3_20rocsparse_direction_NS_24const_host_device_scalarIT1_EES1_PKS1_PKT2_SA_S7_PKT4_PKT5_S5_PT6_21rocsparse_index_base_b.has_recursion, 0
	.set _ZN9rocsparseL18bsrxmvn_4x4_kernelILj128ELj4EdlidddEEvT3_20rocsparse_direction_NS_24const_host_device_scalarIT1_EES1_PKS1_PKT2_SA_S7_PKT4_PKT5_S5_PT6_21rocsparse_index_base_b.has_indirect_call, 0
	.section	.AMDGPU.csdata,"",@progbits
; Kernel info:
; codeLenInByte = 4392
; TotalNumSgprs: 16
; NumVgprs: 140
; ScratchSize: 0
; MemoryBound: 1
; FloatMode: 240
; IeeeMode: 1
; LDSByteSize: 0 bytes/workgroup (compile time only)
; SGPRBlocks: 0
; VGPRBlocks: 8
; NumSGPRsForWavesPerEU: 16
; NumVGPRsForWavesPerEU: 140
; NamedBarCnt: 0
; Occupancy: 7
; WaveLimiterHint : 1
; COMPUTE_PGM_RSRC2:SCRATCH_EN: 0
; COMPUTE_PGM_RSRC2:USER_SGPR: 2
; COMPUTE_PGM_RSRC2:TRAP_HANDLER: 0
; COMPUTE_PGM_RSRC2:TGID_X_EN: 1
; COMPUTE_PGM_RSRC2:TGID_Y_EN: 0
; COMPUTE_PGM_RSRC2:TGID_Z_EN: 0
; COMPUTE_PGM_RSRC2:TIDIG_COMP_CNT: 0
	.section	.text._ZN9rocsparseL18bsrxmvn_4x4_kernelILj128ELj8EdlidddEEvT3_20rocsparse_direction_NS_24const_host_device_scalarIT1_EES1_PKS1_PKT2_SA_S7_PKT4_PKT5_S5_PT6_21rocsparse_index_base_b,"axG",@progbits,_ZN9rocsparseL18bsrxmvn_4x4_kernelILj128ELj8EdlidddEEvT3_20rocsparse_direction_NS_24const_host_device_scalarIT1_EES1_PKS1_PKT2_SA_S7_PKT4_PKT5_S5_PT6_21rocsparse_index_base_b,comdat
	.globl	_ZN9rocsparseL18bsrxmvn_4x4_kernelILj128ELj8EdlidddEEvT3_20rocsparse_direction_NS_24const_host_device_scalarIT1_EES1_PKS1_PKT2_SA_S7_PKT4_PKT5_S5_PT6_21rocsparse_index_base_b ; -- Begin function _ZN9rocsparseL18bsrxmvn_4x4_kernelILj128ELj8EdlidddEEvT3_20rocsparse_direction_NS_24const_host_device_scalarIT1_EES1_PKS1_PKT2_SA_S7_PKT4_PKT5_S5_PT6_21rocsparse_index_base_b
	.p2align	8
	.type	_ZN9rocsparseL18bsrxmvn_4x4_kernelILj128ELj8EdlidddEEvT3_20rocsparse_direction_NS_24const_host_device_scalarIT1_EES1_PKS1_PKT2_SA_S7_PKT4_PKT5_S5_PT6_21rocsparse_index_base_b,@function
_ZN9rocsparseL18bsrxmvn_4x4_kernelILj128ELj8EdlidddEEvT3_20rocsparse_direction_NS_24const_host_device_scalarIT1_EES1_PKS1_PKT2_SA_S7_PKT4_PKT5_S5_PT6_21rocsparse_index_base_b: ; @_ZN9rocsparseL18bsrxmvn_4x4_kernelILj128ELj8EdlidddEEvT3_20rocsparse_direction_NS_24const_host_device_scalarIT1_EES1_PKS1_PKT2_SA_S7_PKT4_PKT5_S5_PT6_21rocsparse_index_base_b
; %bb.0:
	s_clause 0x2
	s_load_b64 s[12:13], s[0:1], 0x58
	s_load_b64 s[4:5], s[0:1], 0x8
	;; [unrolled: 1-line block ×3, first 2 shown]
	s_wait_kmcnt 0x0
	s_bitcmp1_b32 s13, 0
	v_mov_b64_e32 v[2:3], s[4:5]
	s_cselect_b32 s6, -1, 0
	s_delay_alu instid0(SALU_CYCLE_1)
	s_and_b32 vcc_lo, exec_lo, s6
	s_xor_b32 s6, s6, -1
	s_cbranch_vccnz .LBB26_2
; %bb.1:
	v_mov_b32_e32 v1, 0
	flat_load_b64 v[2:3], v1, s[4:5]
.LBB26_2:
	v_mov_b64_e32 v[8:9], s[2:3]
	s_and_not1_b32 vcc_lo, exec_lo, s6
	s_cbranch_vccnz .LBB26_4
; %bb.3:
	s_wait_xcnt 0x0
	v_mov_b32_e32 v1, 0
	flat_load_b64 v[8:9], v1, s[2:3]
.LBB26_4:
	s_wait_loadcnt_dscnt 0x0
	v_cmp_neq_f64_e32 vcc_lo, 0, v[2:3]
	s_delay_alu instid0(VALU_DEP_2) | instskip(SKIP_1) | instid1(SALU_CYCLE_1)
	v_cmp_neq_f64_e64 s2, 1.0, v[8:9]
	s_or_b32 s2, vcc_lo, s2
	s_and_saveexec_b32 s3, s2
	s_cbranch_execz .LBB26_10
; %bb.5:
	s_clause 0x1
	s_load_b64 s[4:5], s[0:1], 0x18
	s_load_b64 s[2:3], s[0:1], 0x0
	s_bfe_u32 s6, ttmp6, 0x4000c
	s_and_b32 s7, ttmp6, 15
	s_add_co_i32 s6, s6, 1
	s_getreg_b32 s8, hwreg(HW_REG_IB_STS2, 6, 4)
	s_mul_i32 s6, ttmp9, s6
	v_lshrrev_b32_e32 v1, 3, v0
	s_add_co_i32 s7, s7, s6
	s_cmp_eq_u32 s8, 0
	s_cselect_b32 s6, ttmp9, s7
	s_delay_alu instid0(VALU_DEP_1) | instid1(SALU_CYCLE_1)
	v_lshl_or_b32 v10, s6, 4, v1
	s_mov_b32 s6, 0
	s_wait_kmcnt 0x0
	s_cmp_lg_u64 s[4:5], 0
	s_cbranch_scc0 .LBB26_11
; %bb.6:
	s_load_b32 s6, s[0:1], 0x10
	s_mov_b32 s7, 0
                                        ; implicit-def: $vgpr1
	s_wait_kmcnt 0x0
	v_cmp_gt_i32_e32 vcc_lo, s6, v10
	s_mov_b32 s6, 0
	s_and_saveexec_b32 s8, vcc_lo
	s_delay_alu instid0(SALU_CYCLE_1)
	s_xor_b32 s8, exec_lo, s8
	s_cbranch_execz .LBB26_8
; %bb.7:
	global_load_b32 v1, v10, s[4:5] scale_offset
	s_mov_b32 s6, exec_lo
	s_wait_loadcnt 0x0
	v_subrev_nc_u32_e32 v1, s12, v1
.LBB26_8:
	s_or_b32 exec_lo, exec_lo, s8
	s_delay_alu instid0(SALU_CYCLE_1)
	s_and_b32 vcc_lo, exec_lo, s7
	s_cbranch_vccz .LBB26_12
.LBB26_9:
	v_cmp_gt_i32_e32 vcc_lo, s2, v10
	s_and_not1_b32 s2, s6, exec_lo
	s_and_b32 s4, vcc_lo, exec_lo
	s_delay_alu instid0(SALU_CYCLE_1) | instskip(NEXT) | instid1(SALU_CYCLE_1)
	s_or_b32 s6, s2, s4
	s_and_b32 exec_lo, exec_lo, s6
	s_cbranch_execnz .LBB26_13
.LBB26_10:
	s_sendmsg sendmsg(MSG_DEALLOC_VGPRS)
	s_endpgm
.LBB26_11:
                                        ; implicit-def: $vgpr1
	s_cbranch_execnz .LBB26_9
.LBB26_12:
	s_delay_alu instid0(VALU_DEP_1)
	v_mov_b32_e32 v10, v1
	s_and_b32 exec_lo, exec_lo, s6
	s_cbranch_execz .LBB26_10
.LBB26_13:
	s_load_b256 s[4:11], s[0:1], 0x20
	s_mov_b32 s13, 0
	v_dual_mov_b32 v1, 0 :: v_dual_bitop2_b32 v0, 7, v0 bitop3:0x40
	s_wait_kmcnt 0x0
	s_cmp_eq_u64 s[6:7], 0
	global_load_b64 v[22:23], v10, s[4:5] scale_offset
	s_cselect_b32 vcc_lo, -1, 0
	v_ashrrev_i32_e32 v11, 31, v10
	s_cmp_eq_u32 s3, 1
	s_delay_alu instid0(VALU_DEP_1) | instskip(NEXT) | instid1(VALU_DEP_1)
	v_lshlrev_b64_e32 v[4:5], 3, v[10:11]
	v_add_nc_u64_e32 v[6:7], s[4:5], v[4:5]
	v_add_nc_u64_e32 v[4:5], s[6:7], v[4:5]
	s_wait_xcnt 0x0
	s_load_b64 s[4:5], s[0:1], 0x40
	s_delay_alu instid0(VALU_DEP_2) | instskip(NEXT) | instid1(VALU_DEP_1)
	v_add_nc_u64_e32 v[6:7], 8, v[6:7]
	v_dual_cndmask_b32 v5, v5, v7 :: v_dual_cndmask_b32 v4, v4, v6
	global_load_b64 v[6:7], v[4:5], off
	s_wait_loadcnt 0x1
	s_wait_xcnt 0x0
	v_sub_nc_u64_e64 v[4:5], v[22:23], s[12:13]
	s_delay_alu instid0(VALU_DEP_1) | instskip(NEXT) | instid1(VALU_DEP_1)
	v_add_nc_u64_e32 v[4:5], v[4:5], v[0:1]
	v_lshlrev_b64_e32 v[14:15], 7, v[4:5]
	s_delay_alu instid0(VALU_DEP_1) | instskip(SKIP_2) | instid1(VALU_DEP_1)
	v_add_nc_u64_e32 v[14:15], s[10:11], v[14:15]
	s_wait_loadcnt 0x0
	v_sub_nc_u64_e64 v[12:13], v[6:7], s[12:13]
	v_cmp_lt_i64_e64 s2, v[4:5], v[12:13]
	s_cbranch_scc1 .LBB26_25
; %bb.14:
	v_mov_b64_e32 v[6:7], 0
	v_mov_b64_e32 v[16:17], 0
	;; [unrolled: 1-line block ×4, first 2 shown]
	s_and_saveexec_b32 s3, s2
	s_cbranch_execz .LBB26_24
; %bb.15:
	v_dual_mov_b32 v7, v1 :: v_dual_bitop2_b32 v6, 8, v0 bitop3:0x54
	v_sub_nc_u64_e32 v[16:17], s[12:13], v[0:1]
	v_not_b32_e32 v19, v23
	v_not_b32_e32 v18, v22
	v_mov_b64_e32 v[20:21], 0
	v_sub_nc_u64_e64 v[6:7], v[6:7], s[12:13]
	v_mov_b64_e32 v[24:25], v[4:5]
	v_mov_b64_e32 v[26:27], v[14:15]
	v_add_nc_u64_e32 v[16:17], v[16:17], v[18:19]
	v_mov_b64_e32 v[18:19], 0
	s_mov_b32 s6, exec_lo
	v_add_nc_u64_e32 v[6:7], v[6:7], v[22:23]
	s_delay_alu instid0(VALU_DEP_1) | instskip(NEXT) | instid1(VALU_DEP_1)
	v_max_i64 v[6:7], v[6:7], v[12:13]
	v_add_nc_u64_e32 v[28:29], v[16:17], v[6:7]
	v_mov_b64_e32 v[16:17], 0
	v_mov_b64_e32 v[6:7], 0
	s_delay_alu instid0(VALU_DEP_3) | instskip(NEXT) | instid1(VALU_DEP_1)
	v_dual_mov_b32 v33, 0 :: v_dual_bitop2_b32 v32, 24, v28 bitop3:0x40
	v_cmpx_ne_u64_e32 24, v[32:33]
	s_cbranch_execz .LBB26_19
; %bb.16:
	v_lshrrev_b32_e32 v6, 3, v28
	v_mov_b64_e32 v[16:17], 0
	v_mov_b64_e32 v[20:21], 0
	v_mov_b64_e32 v[18:19], 0
	v_mov_b64_e32 v[26:27], v[14:15]
	v_add_nc_u32_e32 v6, 1, v6
	v_mov_b64_e32 v[24:25], v[4:5]
	v_lshl_add_u64 v[30:31], v[4:5], 2, s[8:9]
	s_mov_b32 s7, 0
	s_delay_alu instid0(VALU_DEP_3) | instskip(SKIP_1) | instid1(VALU_DEP_2)
	v_and_b32_e32 v32, 3, v6
	v_mov_b64_e32 v[6:7], 0
	v_sub_nc_u64_e32 v[32:33], 0, v[32:33]
.LBB26_17:                              ; =>This Inner Loop Header: Depth=1
	global_load_b32 v11, v[30:31], off
	s_clause 0x6
	global_load_b128 v[34:37], v[26:27], off offset:48
	global_load_b128 v[38:41], v[26:27], off offset:32
	;; [unrolled: 1-line block ×3, first 2 shown]
	global_load_b128 v[46:49], v[26:27], off
	global_load_b128 v[54:57], v[26:27], off offset:96
	global_load_b128 v[58:61], v[26:27], off offset:80
	global_load_b128 v[50:53], v[26:27], off offset:112
	v_add_nc_u64_e32 v[32:33], 1, v[32:33]
	v_add_nc_u64_e32 v[24:25], 8, v[24:25]
	s_wait_xcnt 0x7
	v_add_nc_u64_e32 v[30:31], 32, v[30:31]
	s_delay_alu instid0(VALU_DEP_3) | instskip(SKIP_3) | instid1(VALU_DEP_1)
	v_cmp_eq_u64_e32 vcc_lo, 0, v[32:33]
	s_or_b32 s7, vcc_lo, s7
	s_wait_loadcnt 0x7
	v_subrev_nc_u32_e32 v11, s12, v11
	v_lshlrev_b32_e32 v62, 2, v11
	s_delay_alu instid0(VALU_DEP_1) | instskip(SKIP_1) | instid1(VALU_DEP_1)
	v_ashrrev_i32_e32 v63, 31, v62
	s_wait_kmcnt 0x0
	v_lshl_add_u64 v[74:75], v[62:63], 3, s[4:5]
	global_load_b128 v[62:65], v[26:27], off offset:64
	s_clause 0x1
	global_load_b128 v[66:69], v[74:75], off
	global_load_b128 v[70:73], v[74:75], off offset:16
	s_wait_xcnt 0x2
	v_add_nc_u64_e32 v[26:27], 0x400, v[26:27]
	s_wait_loadcnt 0x1
	v_fmac_f64_e32 v[18:19], v[46:47], v[66:67]
	v_fmac_f64_e32 v[20:21], v[38:39], v[66:67]
	;; [unrolled: 1-line block ×4, first 2 shown]
	s_delay_alu instid0(VALU_DEP_4) | instskip(NEXT) | instid1(VALU_DEP_4)
	v_fmac_f64_e32 v[18:19], v[48:49], v[68:69]
	v_fmac_f64_e32 v[20:21], v[40:41], v[68:69]
	s_delay_alu instid0(VALU_DEP_4) | instskip(NEXT) | instid1(VALU_DEP_4)
	v_fmac_f64_e32 v[16:17], v[64:65], v[68:69]
	v_fmac_f64_e32 v[6:7], v[56:57], v[68:69]
	s_wait_loadcnt 0x0
	s_delay_alu instid0(VALU_DEP_4) | instskip(NEXT) | instid1(VALU_DEP_4)
	v_fmac_f64_e32 v[18:19], v[42:43], v[70:71]
	v_fmac_f64_e32 v[20:21], v[34:35], v[70:71]
	s_delay_alu instid0(VALU_DEP_4) | instskip(NEXT) | instid1(VALU_DEP_4)
	v_fmac_f64_e32 v[16:17], v[58:59], v[70:71]
	v_fmac_f64_e32 v[6:7], v[50:51], v[70:71]
	s_delay_alu instid0(VALU_DEP_4) | instskip(NEXT) | instid1(VALU_DEP_4)
	v_fmac_f64_e32 v[18:19], v[44:45], v[72:73]
	v_fmac_f64_e32 v[20:21], v[36:37], v[72:73]
	s_delay_alu instid0(VALU_DEP_4) | instskip(NEXT) | instid1(VALU_DEP_4)
	v_fmac_f64_e32 v[16:17], v[60:61], v[72:73]
	v_fmac_f64_e32 v[6:7], v[52:53], v[72:73]
	s_and_not1_b32 exec_lo, exec_lo, s7
	s_cbranch_execnz .LBB26_17
; %bb.18:
	s_or_b32 exec_lo, exec_lo, s7
.LBB26_19:
	s_delay_alu instid0(SALU_CYCLE_1) | instskip(NEXT) | instid1(SALU_CYCLE_1)
	s_or_b32 exec_lo, exec_lo, s6
	s_mov_b32 s6, exec_lo
	v_cmpx_lt_u64_e32 23, v[28:29]
	s_cbranch_execz .LBB26_23
; %bb.20:
	v_lshl_add_u64 v[28:29], v[24:25], 2, s[8:9]
	s_mov_b32 s7, 0
	s_delay_alu instid0(VALU_DEP_1)
	v_add_nc_u64_e32 v[28:29], 64, v[28:29]
.LBB26_21:                              ; =>This Inner Loop Header: Depth=1
	global_load_b32 v11, v[28:29], off offset:-64
	s_clause 0xf
	global_load_b128 v[30:33], v[26:27], off offset:48
	global_load_b128 v[34:37], v[26:27], off offset:32
	global_load_b128 v[38:41], v[26:27], off offset:16
	global_load_b128 v[42:45], v[26:27], off
	global_load_b128 v[46:49], v[26:27], off offset:112
	global_load_b128 v[50:53], v[26:27], off offset:96
	;; [unrolled: 1-line block ×12, first 2 shown]
	s_clause 0x2
	global_load_b32 v136, v[28:29], off offset:-32
	global_load_b32 v137, v[28:29], off
	global_load_b32 v138, v[28:29], off offset:32
	s_clause 0x7
	global_load_b128 v[94:97], v[26:27], off offset:2096
	global_load_b128 v[98:101], v[26:27], off offset:2080
	;; [unrolled: 1-line block ×8, first 2 shown]
	v_add_nc_u64_e32 v[24:25], 32, v[24:25]
	s_wait_xcnt 0x8
	v_add_nc_u64_e32 v[28:29], 0x80, v[28:29]
	s_delay_alu instid0(VALU_DEP_2) | instskip(SKIP_3) | instid1(VALU_DEP_1)
	v_cmp_ge_i64_e32 vcc_lo, v[24:25], v[12:13]
	s_or_b32 s7, vcc_lo, s7
	s_wait_loadcnt 0x1b
	v_subrev_nc_u32_e32 v11, s12, v11
	v_lshlrev_b32_e32 v126, 2, v11
	s_delay_alu instid0(VALU_DEP_1) | instskip(SKIP_1) | instid1(VALU_DEP_1)
	v_ashrrev_i32_e32 v127, 31, v126
	s_wait_kmcnt 0x0
	v_lshl_add_u64 v[134:135], v[126:127], 3, s[4:5]
	s_clause 0x1
	global_load_b128 v[126:129], v[134:135], off
	global_load_b128 v[130:133], v[134:135], off offset:16
	s_wait_loadcnt 0xc
	v_subrev_nc_u32_e32 v11, s12, v136
	s_wait_xcnt 0x0
	s_delay_alu instid0(VALU_DEP_1)
	v_lshlrev_b32_e32 v134, 2, v11
	s_wait_loadcnt 0xb
	v_subrev_nc_u32_e32 v11, s12, v137
	s_wait_loadcnt 0x1
	v_fmac_f64_e32 v[20:21], v[34:35], v[126:127]
	v_fmac_f64_e32 v[18:19], v[42:43], v[126:127]
	;; [unrolled: 1-line block ×4, first 2 shown]
	v_lshlrev_b32_e32 v126, 2, v11
	v_subrev_nc_u32_e32 v11, s12, v138
	v_ashrrev_i32_e32 v135, 31, v134
	s_delay_alu instid0(VALU_DEP_3) | instskip(NEXT) | instid1(VALU_DEP_2)
	v_ashrrev_i32_e32 v127, 31, v126
	v_lshl_add_u64 v[134:135], v[134:135], 3, s[4:5]
	s_delay_alu instid0(VALU_DEP_2)
	v_lshl_add_u64 v[136:137], v[126:127], 3, s[4:5]
	v_fmac_f64_e32 v[20:21], v[36:37], v[128:129]
	global_load_b128 v[34:37], v[134:135], off
	v_fmac_f64_e32 v[18:19], v[44:45], v[128:129]
	v_fmac_f64_e32 v[16:17], v[60:61], v[128:129]
	;; [unrolled: 1-line block ×3, first 2 shown]
	global_load_b128 v[126:129], v[134:135], off offset:16
	s_wait_xcnt 0x0
	v_lshlrev_b32_e32 v134, 2, v11
	s_clause 0x2
	global_load_b128 v[42:45], v[26:27], off offset:3120
	global_load_b128 v[58:61], v[26:27], off offset:3104
	;; [unrolled: 1-line block ×3, first 2 shown]
	v_ashrrev_i32_e32 v135, 31, v134
	s_delay_alu instid0(VALU_DEP_1)
	v_lshl_add_u64 v[138:139], v[134:135], 3, s[4:5]
	s_wait_loadcnt 0x5
	v_fmac_f64_e32 v[20:21], v[30:31], v[130:131]
	v_fmac_f64_e32 v[18:19], v[38:39], v[130:131]
	;; [unrolled: 1-line block ×4, first 2 shown]
	s_delay_alu instid0(VALU_DEP_4)
	v_fmac_f64_e32 v[20:21], v[32:33], v[132:133]
	global_load_b128 v[30:33], v[26:27], off offset:3072
	v_fmac_f64_e32 v[18:19], v[40:41], v[132:133]
	global_load_b128 v[38:41], v[136:137], off
	v_fmac_f64_e32 v[16:17], v[56:57], v[132:133]
	global_load_b128 v[54:57], v[136:137], off offset:16
	v_fmac_f64_e32 v[6:7], v[48:49], v[132:133]
	s_clause 0x1
	global_load_b128 v[46:49], v[26:27], off offset:3168
	global_load_b128 v[130:133], v[26:27], off offset:3136
	s_wait_loadcnt 0x9
	v_fmac_f64_e32 v[18:19], v[74:75], v[34:35]
	v_fmac_f64_e32 v[20:21], v[66:67], v[34:35]
	;; [unrolled: 1-line block ×4, first 2 shown]
	s_delay_alu instid0(VALU_DEP_4)
	v_fmac_f64_e32 v[18:19], v[76:77], v[36:37]
	global_load_b128 v[74:77], v[138:139], off
	v_fmac_f64_e32 v[20:21], v[68:69], v[36:37]
	global_load_b128 v[66:69], v[26:27], off offset:3184
	v_fmac_f64_e32 v[16:17], v[92:93], v[36:37]
	global_load_b128 v[90:93], v[26:27], off offset:3152
	global_load_b128 v[134:137], v[138:139], off offset:16
	v_fmac_f64_e32 v[6:7], v[84:85], v[36:37]
	s_wait_xcnt 0x1
	v_add_nc_u64_e32 v[26:27], 0x1000, v[26:27]
	s_wait_loadcnt 0xc
	v_fmac_f64_e32 v[18:19], v[70:71], v[126:127]
	v_fmac_f64_e32 v[20:21], v[62:63], v[126:127]
	;; [unrolled: 1-line block ×4, first 2 shown]
	s_delay_alu instid0(VALU_DEP_4) | instskip(NEXT) | instid1(VALU_DEP_4)
	v_fmac_f64_e32 v[18:19], v[72:73], v[128:129]
	v_fmac_f64_e32 v[20:21], v[64:65], v[128:129]
	s_delay_alu instid0(VALU_DEP_4) | instskip(NEXT) | instid1(VALU_DEP_4)
	v_fmac_f64_e32 v[16:17], v[88:89], v[128:129]
	v_fmac_f64_e32 v[6:7], v[80:81], v[128:129]
	s_wait_loadcnt 0x7
	s_delay_alu instid0(VALU_DEP_4) | instskip(NEXT) | instid1(VALU_DEP_4)
	v_fmac_f64_e32 v[18:19], v[106:107], v[38:39]
	v_fmac_f64_e32 v[20:21], v[98:99], v[38:39]
	s_delay_alu instid0(VALU_DEP_4) | instskip(NEXT) | instid1(VALU_DEP_4)
	v_fmac_f64_e32 v[16:17], v[122:123], v[38:39]
	v_fmac_f64_e32 v[6:7], v[114:115], v[38:39]
	s_delay_alu instid0(VALU_DEP_4) | instskip(NEXT) | instid1(VALU_DEP_4)
	v_fmac_f64_e32 v[18:19], v[108:109], v[40:41]
	v_fmac_f64_e32 v[20:21], v[100:101], v[40:41]
	s_delay_alu instid0(VALU_DEP_4) | instskip(NEXT) | instid1(VALU_DEP_4)
	v_fmac_f64_e32 v[16:17], v[124:125], v[40:41]
	v_fmac_f64_e32 v[6:7], v[116:117], v[40:41]
	s_wait_loadcnt 0x6
	s_delay_alu instid0(VALU_DEP_4) | instskip(NEXT) | instid1(VALU_DEP_4)
	v_fmac_f64_e32 v[18:19], v[102:103], v[54:55]
	v_fmac_f64_e32 v[20:21], v[94:95], v[54:55]
	s_delay_alu instid0(VALU_DEP_4) | instskip(NEXT) | instid1(VALU_DEP_4)
	v_fmac_f64_e32 v[16:17], v[118:119], v[54:55]
	v_fmac_f64_e32 v[6:7], v[110:111], v[54:55]
	;; [unrolled: 13-line block ×4, first 2 shown]
	s_delay_alu instid0(VALU_DEP_4) | instskip(NEXT) | instid1(VALU_DEP_4)
	v_fmac_f64_e32 v[18:19], v[52:53], v[136:137]
	v_fmac_f64_e32 v[20:21], v[44:45], v[136:137]
	s_delay_alu instid0(VALU_DEP_4) | instskip(NEXT) | instid1(VALU_DEP_4)
	v_fmac_f64_e32 v[16:17], v[92:93], v[136:137]
	v_fmac_f64_e32 v[6:7], v[68:69], v[136:137]
	s_and_not1_b32 exec_lo, exec_lo, s7
	s_cbranch_execnz .LBB26_21
; %bb.22:
	s_or_b32 exec_lo, exec_lo, s7
.LBB26_23:
	s_delay_alu instid0(SALU_CYCLE_1)
	s_or_b32 exec_lo, exec_lo, s6
.LBB26_24:
	s_delay_alu instid0(SALU_CYCLE_1)
	s_or_b32 exec_lo, exec_lo, s3
	s_cbranch_execz .LBB26_26
	s_branch .LBB26_37
.LBB26_25:
                                        ; implicit-def: $vgpr6_vgpr7
                                        ; implicit-def: $vgpr16_vgpr17
                                        ; implicit-def: $vgpr20_vgpr21
                                        ; implicit-def: $vgpr18_vgpr19
.LBB26_26:
	v_mov_b64_e32 v[6:7], 0
	v_mov_b64_e32 v[16:17], 0
	;; [unrolled: 1-line block ×4, first 2 shown]
	s_and_saveexec_b32 s3, s2
	s_cbranch_execz .LBB26_36
; %bb.27:
	v_dual_mov_b32 v7, v1 :: v_dual_bitop2_b32 v6, 8, v0 bitop3:0x54
	v_sub_nc_u64_e32 v[16:17], s[12:13], v[0:1]
	v_not_b32_e32 v19, v23
	v_not_b32_e32 v18, v22
	v_mov_b64_e32 v[20:21], 0
	v_sub_nc_u64_e64 v[6:7], v[6:7], s[12:13]
	s_mov_b32 s2, exec_lo
	s_delay_alu instid0(VALU_DEP_3) | instskip(SKIP_1) | instid1(VALU_DEP_3)
	v_add_nc_u64_e32 v[16:17], v[16:17], v[18:19]
	v_mov_b64_e32 v[18:19], 0
	v_add_nc_u64_e32 v[6:7], v[6:7], v[22:23]
	s_delay_alu instid0(VALU_DEP_1) | instskip(NEXT) | instid1(VALU_DEP_1)
	v_max_i64 v[6:7], v[6:7], v[12:13]
	v_add_nc_u64_e32 v[22:23], v[16:17], v[6:7]
	v_mov_b64_e32 v[16:17], 0
	v_mov_b64_e32 v[6:7], 0
	s_delay_alu instid0(VALU_DEP_3) | instskip(NEXT) | instid1(VALU_DEP_1)
	v_dual_mov_b32 v25, 0 :: v_dual_bitop2_b32 v24, 24, v22 bitop3:0x40
	v_cmpx_ne_u64_e32 24, v[24:25]
	s_cbranch_execz .LBB26_31
; %bb.28:
	v_lshrrev_b32_e32 v1, 3, v22
	v_mov_b64_e32 v[6:7], 0
	v_mov_b64_e32 v[16:17], 0
	;; [unrolled: 1-line block ×4, first 2 shown]
	v_add_nc_u32_e32 v1, 1, v1
	v_lshl_add_u64 v[26:27], v[4:5], 2, s[8:9]
	s_mov_b32 s6, 0
	s_delay_alu instid0(VALU_DEP_2) | instskip(NEXT) | instid1(VALU_DEP_1)
	v_and_b32_e32 v24, 3, v1
	v_sub_nc_u64_e32 v[24:25], 0, v[24:25]
.LBB26_29:                              ; =>This Inner Loop Header: Depth=1
	global_load_b32 v1, v[26:27], off
	global_load_b128 v[28:31], v[14:15], off offset:16
	v_add_nc_u64_e32 v[24:25], 1, v[24:25]
	v_add_nc_u64_e32 v[4:5], 8, v[4:5]
	s_wait_xcnt 0x1
	v_add_nc_u64_e32 v[26:27], 32, v[26:27]
	s_delay_alu instid0(VALU_DEP_3) | instskip(SKIP_3) | instid1(VALU_DEP_1)
	v_cmp_eq_u64_e32 vcc_lo, 0, v[24:25]
	s_or_b32 s6, vcc_lo, s6
	s_wait_loadcnt 0x1
	v_subrev_nc_u32_e32 v1, s12, v1
	v_lshlrev_b32_e32 v32, 2, v1
	s_delay_alu instid0(VALU_DEP_1) | instskip(SKIP_1) | instid1(VALU_DEP_1)
	v_ashrrev_i32_e32 v33, 31, v32
	s_wait_kmcnt 0x0
	v_lshl_add_u64 v[68:69], v[32:33], 3, s[4:5]
	global_load_b128 v[32:35], v[14:15], off
	s_clause 0x1
	global_load_b128 v[36:39], v[68:69], off
	global_load_b128 v[40:43], v[68:69], off offset:16
	s_clause 0x5
	global_load_b128 v[44:47], v[14:15], off offset:32
	global_load_b128 v[48:51], v[14:15], off offset:48
	;; [unrolled: 1-line block ×6, first 2 shown]
	s_wait_xcnt 0x0
	v_add_nc_u64_e32 v[14:15], 0x400, v[14:15]
	s_wait_loadcnt 0x7
	v_fmac_f64_e32 v[18:19], v[32:33], v[36:37]
	v_fmac_f64_e32 v[20:21], v[34:35], v[36:37]
	v_fmac_f64_e32 v[16:17], v[28:29], v[36:37]
	v_fmac_f64_e32 v[6:7], v[30:31], v[36:37]
	s_wait_loadcnt 0x5
	s_delay_alu instid0(VALU_DEP_4) | instskip(NEXT) | instid1(VALU_DEP_4)
	v_fmac_f64_e32 v[18:19], v[44:45], v[38:39]
	v_fmac_f64_e32 v[20:21], v[46:47], v[38:39]
	s_wait_loadcnt 0x4
	s_delay_alu instid0(VALU_DEP_4) | instskip(NEXT) | instid1(VALU_DEP_4)
	v_fmac_f64_e32 v[16:17], v[48:49], v[38:39]
	v_fmac_f64_e32 v[6:7], v[50:51], v[38:39]
	;; [unrolled: 4-line block ×6, first 2 shown]
	s_and_not1_b32 exec_lo, exec_lo, s6
	s_cbranch_execnz .LBB26_29
; %bb.30:
	s_or_b32 exec_lo, exec_lo, s6
.LBB26_31:
	s_delay_alu instid0(SALU_CYCLE_1) | instskip(NEXT) | instid1(SALU_CYCLE_1)
	s_or_b32 exec_lo, exec_lo, s2
	s_mov_b32 s2, exec_lo
	v_cmpx_lt_u64_e32 23, v[22:23]
	s_cbranch_execz .LBB26_35
; %bb.32:
	v_lshl_add_u64 v[22:23], v[4:5], 2, s[8:9]
	s_mov_b32 s6, 0
	s_delay_alu instid0(VALU_DEP_1)
	v_add_nc_u64_e32 v[22:23], 64, v[22:23]
.LBB26_33:                              ; =>This Inner Loop Header: Depth=1
	s_clause 0x1
	global_load_b32 v1, v[22:23], off offset:-64
	global_load_b32 v11, v[22:23], off offset:-32
	s_clause 0xa
	global_load_b128 v[24:27], v[14:15], off offset:48
	global_load_b128 v[28:31], v[14:15], off offset:32
	;; [unrolled: 1-line block ×3, first 2 shown]
	global_load_b128 v[36:39], v[14:15], off
	global_load_b128 v[40:43], v[14:15], off offset:112
	global_load_b128 v[44:47], v[14:15], off offset:96
	;; [unrolled: 1-line block ×7, first 2 shown]
	s_clause 0x1
	global_load_b32 v108, v[22:23], off
	global_load_b32 v114, v[22:23], off offset:32
	v_add_nc_u64_e32 v[4:5], 32, v[4:5]
	s_wait_xcnt 0x0
	v_add_nc_u64_e32 v[22:23], 0x80, v[22:23]
	s_delay_alu instid0(VALU_DEP_2)
	v_cmp_ge_i64_e32 vcc_lo, v[4:5], v[12:13]
	s_or_b32 s6, vcc_lo, s6
	s_wait_loadcnt 0xe
	v_subrev_nc_u32_e32 v1, s12, v1
	s_wait_loadcnt 0xd
	v_subrev_nc_u32_e32 v11, s12, v11
	s_delay_alu instid0(VALU_DEP_1) | instskip(NEXT) | instid1(VALU_DEP_1)
	v_dual_lshlrev_b32 v68, 2, v1 :: v_dual_lshlrev_b32 v70, 2, v11
	v_dual_ashrrev_i32 v69, 31, v68 :: v_dual_ashrrev_i32 v71, 31, v70
	s_wait_loadcnt 0x1
	v_subrev_nc_u32_e32 v1, s12, v108
	s_wait_kmcnt 0x0
	s_delay_alu instid0(VALU_DEP_2)
	v_lshl_add_u64 v[104:105], v[68:69], 3, s[4:5]
	v_lshl_add_u64 v[106:107], v[70:71], 3, s[4:5]
	s_clause 0x2
	global_load_b128 v[68:71], v[104:105], off
	global_load_b128 v[72:75], v[104:105], off offset:16
	global_load_b128 v[76:79], v[106:107], off
	s_clause 0x2
	global_load_b128 v[80:83], v[14:15], off offset:1072
	global_load_b128 v[84:87], v[14:15], off offset:1104
	;; [unrolled: 1-line block ×4, first 2 shown]
	s_clause 0x1
	global_load_b128 v[96:99], v[14:15], off offset:1120
	global_load_b128 v[100:103], v[14:15], off offset:1136
	v_lshlrev_b32_e32 v112, 2, v1
	s_wait_loadcnt 0x9
	v_subrev_nc_u32_e32 v1, s12, v114
	s_clause 0x1
	global_load_b128 v[104:107], v[14:15], off offset:2064
	global_load_b128 v[108:111], v[14:15], off offset:2048
	v_ashrrev_i32_e32 v113, 31, v112
	s_delay_alu instid0(VALU_DEP_1)
	v_lshl_add_u64 v[112:113], v[112:113], 3, s[4:5]
	s_wait_loadcnt 0xa
	v_fmac_f64_e32 v[18:19], v[36:37], v[68:69]
	v_fmac_f64_e32 v[20:21], v[38:39], v[68:69]
	global_load_b128 v[36:39], v[112:113], off
	v_fmac_f64_e32 v[16:17], v[32:33], v[68:69]
	v_fmac_f64_e32 v[6:7], v[34:35], v[68:69]
	global_load_b128 v[32:35], v[14:15], off offset:2080
	v_fmac_f64_e32 v[18:19], v[28:29], v[70:71]
	v_fmac_f64_e32 v[20:21], v[30:31], v[70:71]
	global_load_b128 v[28:31], v[14:15], off offset:2096
	v_fmac_f64_e32 v[16:17], v[24:25], v[70:71]
	v_fmac_f64_e32 v[6:7], v[26:27], v[70:71]
	s_clause 0x1
	global_load_b128 v[24:27], v[14:15], off offset:2112
	global_load_b128 v[68:71], v[14:15], off offset:2128
	s_wait_loadcnt 0xe
	v_fmac_f64_e32 v[18:19], v[52:53], v[72:73]
	v_fmac_f64_e32 v[20:21], v[54:55], v[72:73]
	global_load_b128 v[52:55], v[112:113], off offset:16
	v_fmac_f64_e32 v[16:17], v[48:49], v[72:73]
	v_fmac_f64_e32 v[6:7], v[50:51], v[72:73]
	global_load_b128 v[48:51], v[14:15], off offset:2144
	s_wait_xcnt 0x1
	v_lshlrev_b32_e32 v112, 2, v1
	s_delay_alu instid0(VALU_DEP_1) | instskip(NEXT) | instid1(VALU_DEP_1)
	v_ashrrev_i32_e32 v113, 31, v112
	v_lshl_add_u64 v[116:117], v[112:113], 3, s[4:5]
	v_fmac_f64_e32 v[18:19], v[44:45], v[74:75]
	v_fmac_f64_e32 v[20:21], v[46:47], v[74:75]
	global_load_b128 v[44:47], v[14:15], off offset:2160
	v_fmac_f64_e32 v[16:17], v[40:41], v[74:75]
	v_fmac_f64_e32 v[6:7], v[42:43], v[74:75]
	s_clause 0x1
	global_load_b128 v[40:43], v[14:15], off offset:3088
	global_load_b128 v[72:75], v[14:15], off offset:3072
	s_wait_loadcnt 0x12
	v_fmac_f64_e32 v[18:19], v[64:65], v[76:77]
	v_fmac_f64_e32 v[20:21], v[66:67], v[76:77]
	global_load_b128 v[64:67], v[116:117], off
	v_fmac_f64_e32 v[16:17], v[60:61], v[76:77]
	v_fmac_f64_e32 v[6:7], v[62:63], v[76:77]
	global_load_b128 v[60:63], v[14:15], off offset:3104
	v_fmac_f64_e32 v[18:19], v[56:57], v[78:79]
	v_fmac_f64_e32 v[20:21], v[58:59], v[78:79]
	global_load_b128 v[56:59], v[14:15], off offset:3120
	s_wait_loadcnt 0x14
	v_fmac_f64_e32 v[16:17], v[80:81], v[78:79]
	v_fmac_f64_e32 v[6:7], v[82:83], v[78:79]
	s_clause 0x1
	global_load_b128 v[76:79], v[14:15], off offset:3136
	global_load_b128 v[80:83], v[14:15], off offset:3152
	;; [unrolled: 1-line block ×3, first 2 shown]
	s_wait_loadcnt 0x14
	v_fmac_f64_e32 v[18:19], v[88:89], v[92:93]
	v_fmac_f64_e32 v[20:21], v[90:91], v[92:93]
	global_load_b128 v[88:91], v[14:15], off offset:3168
	v_fmac_f64_e32 v[16:17], v[84:85], v[92:93]
	v_fmac_f64_e32 v[6:7], v[86:87], v[92:93]
	global_load_b128 v[84:87], v[14:15], off offset:3184
	s_wait_xcnt 0x0
	v_add_nc_u64_e32 v[14:15], 0x1000, v[14:15]
	s_wait_loadcnt 0x15
	v_fmac_f64_e32 v[18:19], v[96:97], v[94:95]
	v_fmac_f64_e32 v[20:21], v[98:99], v[94:95]
	s_wait_loadcnt 0x14
	v_fmac_f64_e32 v[16:17], v[100:101], v[94:95]
	v_fmac_f64_e32 v[6:7], v[102:103], v[94:95]
	s_wait_loadcnt 0x11
	s_delay_alu instid0(VALU_DEP_4) | instskip(NEXT) | instid1(VALU_DEP_4)
	v_fmac_f64_e32 v[18:19], v[108:109], v[36:37]
	v_fmac_f64_e32 v[20:21], v[110:111], v[36:37]
	s_delay_alu instid0(VALU_DEP_4) | instskip(NEXT) | instid1(VALU_DEP_4)
	v_fmac_f64_e32 v[16:17], v[104:105], v[36:37]
	v_fmac_f64_e32 v[6:7], v[106:107], v[36:37]
	s_wait_loadcnt 0x10
	s_delay_alu instid0(VALU_DEP_4) | instskip(NEXT) | instid1(VALU_DEP_4)
	v_fmac_f64_e32 v[18:19], v[32:33], v[38:39]
	v_fmac_f64_e32 v[20:21], v[34:35], v[38:39]
	s_wait_loadcnt 0xf
	s_delay_alu instid0(VALU_DEP_4) | instskip(NEXT) | instid1(VALU_DEP_4)
	v_fmac_f64_e32 v[16:17], v[28:29], v[38:39]
	v_fmac_f64_e32 v[6:7], v[30:31], v[38:39]
	s_wait_loadcnt 0xc
	s_delay_alu instid0(VALU_DEP_4) | instskip(NEXT) | instid1(VALU_DEP_4)
	v_fmac_f64_e32 v[18:19], v[24:25], v[52:53]
	v_fmac_f64_e32 v[20:21], v[26:27], v[52:53]
	s_delay_alu instid0(VALU_DEP_4) | instskip(NEXT) | instid1(VALU_DEP_4)
	v_fmac_f64_e32 v[16:17], v[68:69], v[52:53]
	v_fmac_f64_e32 v[6:7], v[70:71], v[52:53]
	s_wait_loadcnt 0xb
	s_delay_alu instid0(VALU_DEP_4) | instskip(NEXT) | instid1(VALU_DEP_4)
	v_fmac_f64_e32 v[18:19], v[48:49], v[54:55]
	v_fmac_f64_e32 v[20:21], v[50:51], v[54:55]
	s_wait_loadcnt 0xa
	s_delay_alu instid0(VALU_DEP_4) | instskip(NEXT) | instid1(VALU_DEP_4)
	;; [unrolled: 15-line block ×4, first 2 shown]
	v_fmac_f64_e32 v[16:17], v[84:85], v[114:115]
	v_fmac_f64_e32 v[6:7], v[86:87], v[114:115]
	s_and_not1_b32 exec_lo, exec_lo, s6
	s_cbranch_execnz .LBB26_33
; %bb.34:
	s_or_b32 exec_lo, exec_lo, s6
.LBB26_35:
	s_delay_alu instid0(SALU_CYCLE_1)
	s_or_b32 exec_lo, exec_lo, s2
.LBB26_36:
	s_delay_alu instid0(SALU_CYCLE_1)
	s_or_b32 exec_lo, exec_lo, s3
.LBB26_37:
	v_mbcnt_lo_u32_b32 v1, -1, 0
	s_delay_alu instid0(VALU_DEP_1) | instskip(NEXT) | instid1(VALU_DEP_1)
	v_xor_b32_e32 v4, 4, v1
	v_cmp_gt_i32_e32 vcc_lo, 32, v4
	v_cndmask_b32_e32 v4, v1, v4, vcc_lo
	s_delay_alu instid0(VALU_DEP_1)
	v_lshlrev_b32_e32 v11, 2, v4
	ds_bpermute_b32 v4, v11, v18
	ds_bpermute_b32 v5, v11, v19
	;; [unrolled: 1-line block ×8, first 2 shown]
	v_xor_b32_e32 v11, 2, v1
	s_delay_alu instid0(VALU_DEP_1) | instskip(SKIP_3) | instid1(VALU_DEP_1)
	v_cmp_gt_i32_e32 vcc_lo, 32, v11
	s_wait_dscnt 0x6
	v_dual_add_f64 v[4:5], v[18:19], v[4:5] :: v_dual_cndmask_b32 v11, v1, v11, vcc_lo
	s_wait_dscnt 0x4
	v_dual_add_f64 v[12:13], v[20:21], v[12:13] :: v_dual_lshlrev_b32 v11, 2, v11
	s_wait_dscnt 0x2
	v_add_f64_e32 v[16:17], v[16:17], v[14:15]
	s_wait_dscnt 0x0
	v_add_f64_e32 v[6:7], v[6:7], v[22:23]
	ds_bpermute_b32 v14, v11, v4
	ds_bpermute_b32 v15, v11, v5
	;; [unrolled: 1-line block ×8, first 2 shown]
	v_xor_b32_e32 v11, 1, v1
	s_delay_alu instid0(VALU_DEP_1)
	v_cmp_gt_i32_e32 vcc_lo, 32, v11
	v_cndmask_b32_e32 v1, v1, v11, vcc_lo
	v_cmp_eq_u32_e32 vcc_lo, 7, v0
	s_wait_dscnt 0x6
	v_add_f64_e32 v[14:15], v[4:5], v[14:15]
	s_wait_dscnt 0x4
	v_dual_add_f64 v[12:13], v[12:13], v[18:19] :: v_dual_lshlrev_b32 v1, 2, v1
	s_wait_dscnt 0x2
	v_add_f64_e32 v[4:5], v[16:17], v[20:21]
	s_wait_dscnt 0x0
	v_add_f64_e32 v[6:7], v[6:7], v[22:23]
	ds_bpermute_b32 v22, v1, v14
	ds_bpermute_b32 v23, v1, v15
	;; [unrolled: 1-line block ×8, first 2 shown]
	s_and_b32 exec_lo, exec_lo, vcc_lo
	s_cbranch_execz .LBB26_10
; %bb.38:
	s_wait_dscnt 0x6
	v_add_f64_e32 v[0:1], v[14:15], v[22:23]
	s_wait_dscnt 0x4
	v_dual_add_f64 v[12:13], v[12:13], v[20:21] :: v_dual_lshlrev_b32 v10, 2, v10
	s_wait_dscnt 0x2
	v_add_f64_e32 v[14:15], v[4:5], v[18:19]
	s_wait_dscnt 0x0
	v_add_f64_e32 v[16:17], v[6:7], v[16:17]
	s_load_b64 s[0:1], s[0:1], 0x50
	s_mov_b32 s2, exec_lo
	s_delay_alu instid0(VALU_DEP_4) | instskip(NEXT) | instid1(VALU_DEP_4)
	v_mul_f64_e32 v[4:5], v[2:3], v[0:1]
	v_mul_f64_e32 v[6:7], v[2:3], v[12:13]
	s_delay_alu instid0(VALU_DEP_4) | instskip(NEXT) | instid1(VALU_DEP_4)
	v_mul_f64_e32 v[0:1], v[2:3], v[14:15]
	v_mul_f64_e32 v[2:3], v[2:3], v[16:17]
	v_cmpx_eq_f64_e32 0, v[8:9]
	s_xor_b32 s2, exec_lo, s2
	s_cbranch_execz .LBB26_40
; %bb.39:
	v_ashrrev_i32_e32 v11, 31, v10
	s_wait_kmcnt 0x0
	s_delay_alu instid0(VALU_DEP_1)
	v_lshl_add_u64 v[8:9], v[10:11], 3, s[0:1]
                                        ; implicit-def: $vgpr10
	s_clause 0x1
	global_store_b128 v[8:9], v[4:7], off
	global_store_b128 v[8:9], v[0:3], off offset:16
                                        ; implicit-def: $vgpr8_vgpr9
                                        ; implicit-def: $vgpr4_vgpr5
                                        ; implicit-def: $vgpr0_vgpr1
.LBB26_40:
	s_wait_xcnt 0x0
	s_and_not1_saveexec_b32 s2, s2
	s_cbranch_execz .LBB26_10
; %bb.41:
	v_ashrrev_i32_e32 v11, 31, v10
	s_wait_kmcnt 0x0
	s_delay_alu instid0(VALU_DEP_1)
	v_lshl_add_u64 v[18:19], v[10:11], 3, s[0:1]
	s_clause 0x1
	global_load_b128 v[10:13], v[18:19], off
	global_load_b128 v[14:17], v[18:19], off offset:16
	s_wait_loadcnt 0x1
	v_fmac_f64_e32 v[4:5], v[8:9], v[10:11]
	v_fmac_f64_e32 v[6:7], v[8:9], v[12:13]
	s_wait_loadcnt 0x0
	v_fmac_f64_e32 v[0:1], v[8:9], v[14:15]
	v_fmac_f64_e32 v[2:3], v[8:9], v[16:17]
	s_clause 0x1
	global_store_b128 v[18:19], v[4:7], off
	global_store_b128 v[18:19], v[0:3], off offset:16
	s_sendmsg sendmsg(MSG_DEALLOC_VGPRS)
	s_endpgm
	.section	.rodata,"a",@progbits
	.p2align	6, 0x0
	.amdhsa_kernel _ZN9rocsparseL18bsrxmvn_4x4_kernelILj128ELj8EdlidddEEvT3_20rocsparse_direction_NS_24const_host_device_scalarIT1_EES1_PKS1_PKT2_SA_S7_PKT4_PKT5_S5_PT6_21rocsparse_index_base_b
		.amdhsa_group_segment_fixed_size 0
		.amdhsa_private_segment_fixed_size 0
		.amdhsa_kernarg_size 96
		.amdhsa_user_sgpr_count 2
		.amdhsa_user_sgpr_dispatch_ptr 0
		.amdhsa_user_sgpr_queue_ptr 0
		.amdhsa_user_sgpr_kernarg_segment_ptr 1
		.amdhsa_user_sgpr_dispatch_id 0
		.amdhsa_user_sgpr_kernarg_preload_length 0
		.amdhsa_user_sgpr_kernarg_preload_offset 0
		.amdhsa_user_sgpr_private_segment_size 0
		.amdhsa_wavefront_size32 1
		.amdhsa_uses_dynamic_stack 0
		.amdhsa_enable_private_segment 0
		.amdhsa_system_sgpr_workgroup_id_x 1
		.amdhsa_system_sgpr_workgroup_id_y 0
		.amdhsa_system_sgpr_workgroup_id_z 0
		.amdhsa_system_sgpr_workgroup_info 0
		.amdhsa_system_vgpr_workitem_id 0
		.amdhsa_next_free_vgpr 140
		.amdhsa_next_free_sgpr 14
		.amdhsa_named_barrier_count 0
		.amdhsa_reserve_vcc 1
		.amdhsa_float_round_mode_32 0
		.amdhsa_float_round_mode_16_64 0
		.amdhsa_float_denorm_mode_32 3
		.amdhsa_float_denorm_mode_16_64 3
		.amdhsa_fp16_overflow 0
		.amdhsa_memory_ordered 1
		.amdhsa_forward_progress 1
		.amdhsa_inst_pref_size 36
		.amdhsa_round_robin_scheduling 0
		.amdhsa_exception_fp_ieee_invalid_op 0
		.amdhsa_exception_fp_denorm_src 0
		.amdhsa_exception_fp_ieee_div_zero 0
		.amdhsa_exception_fp_ieee_overflow 0
		.amdhsa_exception_fp_ieee_underflow 0
		.amdhsa_exception_fp_ieee_inexact 0
		.amdhsa_exception_int_div_zero 0
	.end_amdhsa_kernel
	.section	.text._ZN9rocsparseL18bsrxmvn_4x4_kernelILj128ELj8EdlidddEEvT3_20rocsparse_direction_NS_24const_host_device_scalarIT1_EES1_PKS1_PKT2_SA_S7_PKT4_PKT5_S5_PT6_21rocsparse_index_base_b,"axG",@progbits,_ZN9rocsparseL18bsrxmvn_4x4_kernelILj128ELj8EdlidddEEvT3_20rocsparse_direction_NS_24const_host_device_scalarIT1_EES1_PKS1_PKT2_SA_S7_PKT4_PKT5_S5_PT6_21rocsparse_index_base_b,comdat
.Lfunc_end26:
	.size	_ZN9rocsparseL18bsrxmvn_4x4_kernelILj128ELj8EdlidddEEvT3_20rocsparse_direction_NS_24const_host_device_scalarIT1_EES1_PKS1_PKT2_SA_S7_PKT4_PKT5_S5_PT6_21rocsparse_index_base_b, .Lfunc_end26-_ZN9rocsparseL18bsrxmvn_4x4_kernelILj128ELj8EdlidddEEvT3_20rocsparse_direction_NS_24const_host_device_scalarIT1_EES1_PKS1_PKT2_SA_S7_PKT4_PKT5_S5_PT6_21rocsparse_index_base_b
                                        ; -- End function
	.set _ZN9rocsparseL18bsrxmvn_4x4_kernelILj128ELj8EdlidddEEvT3_20rocsparse_direction_NS_24const_host_device_scalarIT1_EES1_PKS1_PKT2_SA_S7_PKT4_PKT5_S5_PT6_21rocsparse_index_base_b.num_vgpr, 140
	.set _ZN9rocsparseL18bsrxmvn_4x4_kernelILj128ELj8EdlidddEEvT3_20rocsparse_direction_NS_24const_host_device_scalarIT1_EES1_PKS1_PKT2_SA_S7_PKT4_PKT5_S5_PT6_21rocsparse_index_base_b.num_agpr, 0
	.set _ZN9rocsparseL18bsrxmvn_4x4_kernelILj128ELj8EdlidddEEvT3_20rocsparse_direction_NS_24const_host_device_scalarIT1_EES1_PKS1_PKT2_SA_S7_PKT4_PKT5_S5_PT6_21rocsparse_index_base_b.numbered_sgpr, 14
	.set _ZN9rocsparseL18bsrxmvn_4x4_kernelILj128ELj8EdlidddEEvT3_20rocsparse_direction_NS_24const_host_device_scalarIT1_EES1_PKS1_PKT2_SA_S7_PKT4_PKT5_S5_PT6_21rocsparse_index_base_b.num_named_barrier, 0
	.set _ZN9rocsparseL18bsrxmvn_4x4_kernelILj128ELj8EdlidddEEvT3_20rocsparse_direction_NS_24const_host_device_scalarIT1_EES1_PKS1_PKT2_SA_S7_PKT4_PKT5_S5_PT6_21rocsparse_index_base_b.private_seg_size, 0
	.set _ZN9rocsparseL18bsrxmvn_4x4_kernelILj128ELj8EdlidddEEvT3_20rocsparse_direction_NS_24const_host_device_scalarIT1_EES1_PKS1_PKT2_SA_S7_PKT4_PKT5_S5_PT6_21rocsparse_index_base_b.uses_vcc, 1
	.set _ZN9rocsparseL18bsrxmvn_4x4_kernelILj128ELj8EdlidddEEvT3_20rocsparse_direction_NS_24const_host_device_scalarIT1_EES1_PKS1_PKT2_SA_S7_PKT4_PKT5_S5_PT6_21rocsparse_index_base_b.uses_flat_scratch, 0
	.set _ZN9rocsparseL18bsrxmvn_4x4_kernelILj128ELj8EdlidddEEvT3_20rocsparse_direction_NS_24const_host_device_scalarIT1_EES1_PKS1_PKT2_SA_S7_PKT4_PKT5_S5_PT6_21rocsparse_index_base_b.has_dyn_sized_stack, 0
	.set _ZN9rocsparseL18bsrxmvn_4x4_kernelILj128ELj8EdlidddEEvT3_20rocsparse_direction_NS_24const_host_device_scalarIT1_EES1_PKS1_PKT2_SA_S7_PKT4_PKT5_S5_PT6_21rocsparse_index_base_b.has_recursion, 0
	.set _ZN9rocsparseL18bsrxmvn_4x4_kernelILj128ELj8EdlidddEEvT3_20rocsparse_direction_NS_24const_host_device_scalarIT1_EES1_PKS1_PKT2_SA_S7_PKT4_PKT5_S5_PT6_21rocsparse_index_base_b.has_indirect_call, 0
	.section	.AMDGPU.csdata,"",@progbits
; Kernel info:
; codeLenInByte = 4528
; TotalNumSgprs: 16
; NumVgprs: 140
; ScratchSize: 0
; MemoryBound: 1
; FloatMode: 240
; IeeeMode: 1
; LDSByteSize: 0 bytes/workgroup (compile time only)
; SGPRBlocks: 0
; VGPRBlocks: 8
; NumSGPRsForWavesPerEU: 16
; NumVGPRsForWavesPerEU: 140
; NamedBarCnt: 0
; Occupancy: 7
; WaveLimiterHint : 1
; COMPUTE_PGM_RSRC2:SCRATCH_EN: 0
; COMPUTE_PGM_RSRC2:USER_SGPR: 2
; COMPUTE_PGM_RSRC2:TRAP_HANDLER: 0
; COMPUTE_PGM_RSRC2:TGID_X_EN: 1
; COMPUTE_PGM_RSRC2:TGID_Y_EN: 0
; COMPUTE_PGM_RSRC2:TGID_Z_EN: 0
; COMPUTE_PGM_RSRC2:TIDIG_COMP_CNT: 0
	.section	.text._ZN9rocsparseL18bsrxmvn_4x4_kernelILj128ELj16EdlidddEEvT3_20rocsparse_direction_NS_24const_host_device_scalarIT1_EES1_PKS1_PKT2_SA_S7_PKT4_PKT5_S5_PT6_21rocsparse_index_base_b,"axG",@progbits,_ZN9rocsparseL18bsrxmvn_4x4_kernelILj128ELj16EdlidddEEvT3_20rocsparse_direction_NS_24const_host_device_scalarIT1_EES1_PKS1_PKT2_SA_S7_PKT4_PKT5_S5_PT6_21rocsparse_index_base_b,comdat
	.globl	_ZN9rocsparseL18bsrxmvn_4x4_kernelILj128ELj16EdlidddEEvT3_20rocsparse_direction_NS_24const_host_device_scalarIT1_EES1_PKS1_PKT2_SA_S7_PKT4_PKT5_S5_PT6_21rocsparse_index_base_b ; -- Begin function _ZN9rocsparseL18bsrxmvn_4x4_kernelILj128ELj16EdlidddEEvT3_20rocsparse_direction_NS_24const_host_device_scalarIT1_EES1_PKS1_PKT2_SA_S7_PKT4_PKT5_S5_PT6_21rocsparse_index_base_b
	.p2align	8
	.type	_ZN9rocsparseL18bsrxmvn_4x4_kernelILj128ELj16EdlidddEEvT3_20rocsparse_direction_NS_24const_host_device_scalarIT1_EES1_PKS1_PKT2_SA_S7_PKT4_PKT5_S5_PT6_21rocsparse_index_base_b,@function
_ZN9rocsparseL18bsrxmvn_4x4_kernelILj128ELj16EdlidddEEvT3_20rocsparse_direction_NS_24const_host_device_scalarIT1_EES1_PKS1_PKT2_SA_S7_PKT4_PKT5_S5_PT6_21rocsparse_index_base_b: ; @_ZN9rocsparseL18bsrxmvn_4x4_kernelILj128ELj16EdlidddEEvT3_20rocsparse_direction_NS_24const_host_device_scalarIT1_EES1_PKS1_PKT2_SA_S7_PKT4_PKT5_S5_PT6_21rocsparse_index_base_b
; %bb.0:
	s_clause 0x2
	s_load_b64 s[12:13], s[0:1], 0x58
	s_load_b64 s[4:5], s[0:1], 0x8
	;; [unrolled: 1-line block ×3, first 2 shown]
	s_wait_kmcnt 0x0
	s_bitcmp1_b32 s13, 0
	v_mov_b64_e32 v[2:3], s[4:5]
	s_cselect_b32 s6, -1, 0
	s_delay_alu instid0(SALU_CYCLE_1)
	s_and_b32 vcc_lo, exec_lo, s6
	s_xor_b32 s6, s6, -1
	s_cbranch_vccnz .LBB27_2
; %bb.1:
	v_mov_b32_e32 v1, 0
	flat_load_b64 v[2:3], v1, s[4:5]
.LBB27_2:
	v_mov_b64_e32 v[8:9], s[2:3]
	s_and_not1_b32 vcc_lo, exec_lo, s6
	s_cbranch_vccnz .LBB27_4
; %bb.3:
	s_wait_xcnt 0x0
	v_mov_b32_e32 v1, 0
	flat_load_b64 v[8:9], v1, s[2:3]
.LBB27_4:
	s_wait_loadcnt_dscnt 0x0
	v_cmp_neq_f64_e32 vcc_lo, 0, v[2:3]
	s_delay_alu instid0(VALU_DEP_2) | instskip(SKIP_1) | instid1(SALU_CYCLE_1)
	v_cmp_neq_f64_e64 s2, 1.0, v[8:9]
	s_or_b32 s2, vcc_lo, s2
	s_and_saveexec_b32 s3, s2
	s_cbranch_execz .LBB27_10
; %bb.5:
	s_clause 0x1
	s_load_b64 s[4:5], s[0:1], 0x18
	s_load_b64 s[2:3], s[0:1], 0x0
	s_bfe_u32 s6, ttmp6, 0x4000c
	s_and_b32 s7, ttmp6, 15
	s_add_co_i32 s6, s6, 1
	s_getreg_b32 s8, hwreg(HW_REG_IB_STS2, 6, 4)
	s_mul_i32 s6, ttmp9, s6
	v_lshrrev_b32_e32 v1, 4, v0
	s_add_co_i32 s7, s7, s6
	s_cmp_eq_u32 s8, 0
	s_cselect_b32 s6, ttmp9, s7
	s_delay_alu instid0(VALU_DEP_1) | instid1(SALU_CYCLE_1)
	v_lshl_or_b32 v10, s6, 3, v1
	s_mov_b32 s6, 0
	s_wait_kmcnt 0x0
	s_cmp_lg_u64 s[4:5], 0
	s_cbranch_scc0 .LBB27_11
; %bb.6:
	s_load_b32 s6, s[0:1], 0x10
	s_mov_b32 s7, 0
                                        ; implicit-def: $vgpr1
	s_wait_kmcnt 0x0
	v_cmp_gt_i32_e32 vcc_lo, s6, v10
	s_mov_b32 s6, 0
	s_and_saveexec_b32 s8, vcc_lo
	s_delay_alu instid0(SALU_CYCLE_1)
	s_xor_b32 s8, exec_lo, s8
	s_cbranch_execz .LBB27_8
; %bb.7:
	global_load_b32 v1, v10, s[4:5] scale_offset
	s_mov_b32 s6, exec_lo
	s_wait_loadcnt 0x0
	v_subrev_nc_u32_e32 v1, s12, v1
.LBB27_8:
	s_or_b32 exec_lo, exec_lo, s8
	s_delay_alu instid0(SALU_CYCLE_1)
	s_and_b32 vcc_lo, exec_lo, s7
	s_cbranch_vccz .LBB27_12
.LBB27_9:
	v_cmp_gt_i32_e32 vcc_lo, s2, v10
	s_and_not1_b32 s2, s6, exec_lo
	s_and_b32 s4, vcc_lo, exec_lo
	s_delay_alu instid0(SALU_CYCLE_1) | instskip(NEXT) | instid1(SALU_CYCLE_1)
	s_or_b32 s6, s2, s4
	s_and_b32 exec_lo, exec_lo, s6
	s_cbranch_execnz .LBB27_13
.LBB27_10:
	s_sendmsg sendmsg(MSG_DEALLOC_VGPRS)
	s_endpgm
.LBB27_11:
                                        ; implicit-def: $vgpr1
	s_cbranch_execnz .LBB27_9
.LBB27_12:
	s_delay_alu instid0(VALU_DEP_1)
	v_mov_b32_e32 v10, v1
	s_and_b32 exec_lo, exec_lo, s6
	s_cbranch_execz .LBB27_10
.LBB27_13:
	s_load_b256 s[4:11], s[0:1], 0x20
	s_mov_b32 s13, 0
	v_dual_mov_b32 v1, 0 :: v_dual_bitop2_b32 v0, 15, v0 bitop3:0x40
	s_wait_kmcnt 0x0
	s_cmp_eq_u64 s[6:7], 0
	global_load_b64 v[22:23], v10, s[4:5] scale_offset
	s_cselect_b32 vcc_lo, -1, 0
	v_ashrrev_i32_e32 v11, 31, v10
	s_cmp_eq_u32 s3, 1
	s_delay_alu instid0(VALU_DEP_1) | instskip(NEXT) | instid1(VALU_DEP_1)
	v_lshlrev_b64_e32 v[4:5], 3, v[10:11]
	v_add_nc_u64_e32 v[6:7], s[4:5], v[4:5]
	v_add_nc_u64_e32 v[4:5], s[6:7], v[4:5]
	s_wait_xcnt 0x0
	s_load_b64 s[4:5], s[0:1], 0x40
	s_delay_alu instid0(VALU_DEP_2) | instskip(NEXT) | instid1(VALU_DEP_1)
	v_add_nc_u64_e32 v[6:7], 8, v[6:7]
	v_dual_cndmask_b32 v5, v5, v7 :: v_dual_cndmask_b32 v4, v4, v6
	global_load_b64 v[4:5], v[4:5], off
	s_wait_loadcnt 0x1
	v_sub_nc_u64_e64 v[6:7], v[22:23], s[12:13]
	s_delay_alu instid0(VALU_DEP_1) | instskip(NEXT) | instid1(VALU_DEP_1)
	v_add_nc_u64_e32 v[6:7], v[6:7], v[0:1]
	v_lshlrev_b64_e32 v[12:13], 7, v[6:7]
	s_delay_alu instid0(VALU_DEP_1) | instskip(SKIP_2) | instid1(VALU_DEP_1)
	v_add_nc_u64_e32 v[18:19], s[10:11], v[12:13]
	s_wait_loadcnt 0x0
	v_sub_nc_u64_e64 v[16:17], v[4:5], s[12:13]
	v_cmp_lt_i64_e64 s2, v[6:7], v[16:17]
	s_cbranch_scc1 .LBB27_25
; %bb.14:
	v_mov_b64_e32 v[4:5], 0
	v_mov_b64_e32 v[12:13], 0
	;; [unrolled: 1-line block ×4, first 2 shown]
	s_and_saveexec_b32 s3, s2
	s_cbranch_execz .LBB27_24
; %bb.15:
	v_dual_mov_b32 v5, v1 :: v_dual_bitop2_b32 v4, 16, v0 bitop3:0x54
	v_sub_nc_u64_e32 v[12:13], s[12:13], v[0:1]
	v_not_b32_e32 v15, v23
	v_not_b32_e32 v14, v22
	v_mov_b64_e32 v[20:21], 0
	v_sub_nc_u64_e64 v[4:5], v[4:5], s[12:13]
	v_mov_b64_e32 v[24:25], v[6:7]
	v_mov_b64_e32 v[26:27], v[18:19]
	v_add_nc_u64_e32 v[12:13], v[12:13], v[14:15]
	v_mov_b64_e32 v[14:15], 0
	s_mov_b32 s6, exec_lo
	v_add_nc_u64_e32 v[4:5], v[4:5], v[22:23]
	s_delay_alu instid0(VALU_DEP_1) | instskip(NEXT) | instid1(VALU_DEP_1)
	v_max_i64 v[4:5], v[4:5], v[16:17]
	v_add_nc_u64_e32 v[28:29], v[12:13], v[4:5]
	v_mov_b64_e32 v[12:13], 0
	v_mov_b64_e32 v[4:5], 0
	s_delay_alu instid0(VALU_DEP_3) | instskip(NEXT) | instid1(VALU_DEP_1)
	v_dual_mov_b32 v33, 0 :: v_dual_bitop2_b32 v32, 48, v28 bitop3:0x40
	v_cmpx_ne_u64_e32 48, v[32:33]
	s_cbranch_execz .LBB27_19
; %bb.16:
	v_lshrrev_b32_e32 v4, 4, v28
	v_mov_b64_e32 v[12:13], 0
	v_mov_b64_e32 v[20:21], 0
	;; [unrolled: 1-line block ×4, first 2 shown]
	v_add_nc_u32_e32 v4, 1, v4
	v_mov_b64_e32 v[24:25], v[6:7]
	v_lshl_add_u64 v[30:31], v[6:7], 2, s[8:9]
	s_mov_b32 s7, 0
	s_delay_alu instid0(VALU_DEP_3) | instskip(SKIP_1) | instid1(VALU_DEP_2)
	v_and_b32_e32 v32, 3, v4
	v_mov_b64_e32 v[4:5], 0
	v_sub_nc_u64_e32 v[32:33], 0, v[32:33]
.LBB27_17:                              ; =>This Inner Loop Header: Depth=1
	global_load_b32 v11, v[30:31], off
	s_clause 0x6
	global_load_b128 v[34:37], v[26:27], off offset:48
	global_load_b128 v[38:41], v[26:27], off offset:32
	global_load_b128 v[42:45], v[26:27], off offset:16
	global_load_b128 v[46:49], v[26:27], off
	global_load_b128 v[54:57], v[26:27], off offset:96
	global_load_b128 v[58:61], v[26:27], off offset:80
	;; [unrolled: 1-line block ×3, first 2 shown]
	v_add_nc_u64_e32 v[32:33], 1, v[32:33]
	v_add_nc_u64_e32 v[24:25], 16, v[24:25]
	s_wait_xcnt 0x7
	v_add_nc_u64_e32 v[30:31], 64, v[30:31]
	s_delay_alu instid0(VALU_DEP_3) | instskip(SKIP_3) | instid1(VALU_DEP_1)
	v_cmp_eq_u64_e32 vcc_lo, 0, v[32:33]
	s_or_b32 s7, vcc_lo, s7
	s_wait_loadcnt 0x7
	v_subrev_nc_u32_e32 v11, s12, v11
	v_lshlrev_b32_e32 v62, 2, v11
	s_delay_alu instid0(VALU_DEP_1) | instskip(SKIP_1) | instid1(VALU_DEP_1)
	v_ashrrev_i32_e32 v63, 31, v62
	s_wait_kmcnt 0x0
	v_lshl_add_u64 v[74:75], v[62:63], 3, s[4:5]
	global_load_b128 v[62:65], v[26:27], off offset:64
	s_clause 0x1
	global_load_b128 v[66:69], v[74:75], off
	global_load_b128 v[70:73], v[74:75], off offset:16
	s_wait_xcnt 0x2
	v_add_nc_u64_e32 v[26:27], 0x800, v[26:27]
	s_wait_loadcnt 0x1
	v_fmac_f64_e32 v[14:15], v[46:47], v[66:67]
	v_fmac_f64_e32 v[20:21], v[38:39], v[66:67]
	v_fmac_f64_e32 v[12:13], v[62:63], v[66:67]
	v_fmac_f64_e32 v[4:5], v[54:55], v[66:67]
	s_delay_alu instid0(VALU_DEP_4) | instskip(NEXT) | instid1(VALU_DEP_4)
	v_fmac_f64_e32 v[14:15], v[48:49], v[68:69]
	v_fmac_f64_e32 v[20:21], v[40:41], v[68:69]
	s_delay_alu instid0(VALU_DEP_4) | instskip(NEXT) | instid1(VALU_DEP_4)
	v_fmac_f64_e32 v[12:13], v[64:65], v[68:69]
	v_fmac_f64_e32 v[4:5], v[56:57], v[68:69]
	s_wait_loadcnt 0x0
	s_delay_alu instid0(VALU_DEP_4) | instskip(NEXT) | instid1(VALU_DEP_4)
	v_fmac_f64_e32 v[14:15], v[42:43], v[70:71]
	v_fmac_f64_e32 v[20:21], v[34:35], v[70:71]
	s_delay_alu instid0(VALU_DEP_4) | instskip(NEXT) | instid1(VALU_DEP_4)
	v_fmac_f64_e32 v[12:13], v[58:59], v[70:71]
	v_fmac_f64_e32 v[4:5], v[50:51], v[70:71]
	;; [unrolled: 3-line block ×4, first 2 shown]
	s_and_not1_b32 exec_lo, exec_lo, s7
	s_cbranch_execnz .LBB27_17
; %bb.18:
	s_or_b32 exec_lo, exec_lo, s7
.LBB27_19:
	s_delay_alu instid0(SALU_CYCLE_1) | instskip(NEXT) | instid1(SALU_CYCLE_1)
	s_or_b32 exec_lo, exec_lo, s6
	s_mov_b32 s6, exec_lo
	v_cmpx_lt_u64_e32 47, v[28:29]
	s_cbranch_execz .LBB27_23
; %bb.20:
	v_lshl_add_u64 v[28:29], v[24:25], 2, s[8:9]
	s_mov_b32 s7, 0
	s_delay_alu instid0(VALU_DEP_1)
	v_add_nc_u64_e32 v[28:29], 0x80, v[28:29]
.LBB27_21:                              ; =>This Inner Loop Header: Depth=1
	global_load_b32 v11, v[28:29], off offset:-128
	s_clause 0xf
	global_load_b128 v[30:33], v[26:27], off offset:48
	global_load_b128 v[34:37], v[26:27], off offset:32
	;; [unrolled: 1-line block ×3, first 2 shown]
	global_load_b128 v[42:45], v[26:27], off
	global_load_b128 v[46:49], v[26:27], off offset:112
	global_load_b128 v[50:53], v[26:27], off offset:96
	;; [unrolled: 1-line block ×12, first 2 shown]
	s_clause 0x2
	global_load_b32 v136, v[28:29], off offset:-64
	global_load_b32 v137, v[28:29], off
	global_load_b32 v138, v[28:29], off offset:64
	s_clause 0x7
	global_load_b128 v[94:97], v[26:27], off offset:4144
	global_load_b128 v[98:101], v[26:27], off offset:4128
	;; [unrolled: 1-line block ×8, first 2 shown]
	v_add_nc_u64_e32 v[24:25], 64, v[24:25]
	s_wait_xcnt 0x8
	v_add_nc_u64_e32 v[28:29], 0x100, v[28:29]
	s_delay_alu instid0(VALU_DEP_2) | instskip(SKIP_3) | instid1(VALU_DEP_1)
	v_cmp_ge_i64_e32 vcc_lo, v[24:25], v[16:17]
	s_or_b32 s7, vcc_lo, s7
	s_wait_loadcnt 0x1b
	v_subrev_nc_u32_e32 v11, s12, v11
	v_lshlrev_b32_e32 v126, 2, v11
	s_delay_alu instid0(VALU_DEP_1) | instskip(SKIP_1) | instid1(VALU_DEP_1)
	v_ashrrev_i32_e32 v127, 31, v126
	s_wait_kmcnt 0x0
	v_lshl_add_u64 v[134:135], v[126:127], 3, s[4:5]
	s_clause 0x1
	global_load_b128 v[126:129], v[134:135], off
	global_load_b128 v[130:133], v[134:135], off offset:16
	s_wait_loadcnt 0xc
	v_subrev_nc_u32_e32 v11, s12, v136
	s_wait_xcnt 0x0
	s_delay_alu instid0(VALU_DEP_1)
	v_lshlrev_b32_e32 v134, 2, v11
	s_wait_loadcnt 0xb
	v_subrev_nc_u32_e32 v11, s12, v137
	s_wait_loadcnt 0x1
	v_fmac_f64_e32 v[20:21], v[34:35], v[126:127]
	v_fmac_f64_e32 v[14:15], v[42:43], v[126:127]
	;; [unrolled: 1-line block ×4, first 2 shown]
	v_lshlrev_b32_e32 v126, 2, v11
	v_subrev_nc_u32_e32 v11, s12, v138
	v_ashrrev_i32_e32 v135, 31, v134
	s_delay_alu instid0(VALU_DEP_3) | instskip(NEXT) | instid1(VALU_DEP_2)
	v_ashrrev_i32_e32 v127, 31, v126
	v_lshl_add_u64 v[134:135], v[134:135], 3, s[4:5]
	s_delay_alu instid0(VALU_DEP_2)
	v_lshl_add_u64 v[136:137], v[126:127], 3, s[4:5]
	v_fmac_f64_e32 v[20:21], v[36:37], v[128:129]
	global_load_b128 v[34:37], v[134:135], off
	v_fmac_f64_e32 v[14:15], v[44:45], v[128:129]
	v_fmac_f64_e32 v[12:13], v[60:61], v[128:129]
	;; [unrolled: 1-line block ×3, first 2 shown]
	global_load_b128 v[126:129], v[134:135], off offset:16
	s_wait_xcnt 0x0
	v_lshlrev_b32_e32 v134, 2, v11
	s_clause 0x2
	global_load_b128 v[42:45], v[26:27], off offset:6192
	global_load_b128 v[58:61], v[26:27], off offset:6176
	;; [unrolled: 1-line block ×3, first 2 shown]
	v_ashrrev_i32_e32 v135, 31, v134
	s_delay_alu instid0(VALU_DEP_1)
	v_lshl_add_u64 v[138:139], v[134:135], 3, s[4:5]
	s_wait_loadcnt 0x5
	v_fmac_f64_e32 v[20:21], v[30:31], v[130:131]
	v_fmac_f64_e32 v[14:15], v[38:39], v[130:131]
	;; [unrolled: 1-line block ×4, first 2 shown]
	s_delay_alu instid0(VALU_DEP_4)
	v_fmac_f64_e32 v[20:21], v[32:33], v[132:133]
	global_load_b128 v[30:33], v[26:27], off offset:6144
	v_fmac_f64_e32 v[14:15], v[40:41], v[132:133]
	global_load_b128 v[38:41], v[136:137], off
	v_fmac_f64_e32 v[12:13], v[56:57], v[132:133]
	global_load_b128 v[54:57], v[136:137], off offset:16
	v_fmac_f64_e32 v[4:5], v[48:49], v[132:133]
	s_clause 0x1
	global_load_b128 v[46:49], v[26:27], off offset:6240
	global_load_b128 v[130:133], v[26:27], off offset:6208
	s_wait_loadcnt 0x9
	v_fmac_f64_e32 v[14:15], v[74:75], v[34:35]
	v_fmac_f64_e32 v[20:21], v[66:67], v[34:35]
	;; [unrolled: 1-line block ×4, first 2 shown]
	s_delay_alu instid0(VALU_DEP_4)
	v_fmac_f64_e32 v[14:15], v[76:77], v[36:37]
	global_load_b128 v[74:77], v[138:139], off
	v_fmac_f64_e32 v[20:21], v[68:69], v[36:37]
	global_load_b128 v[66:69], v[26:27], off offset:6256
	v_fmac_f64_e32 v[12:13], v[92:93], v[36:37]
	global_load_b128 v[90:93], v[26:27], off offset:6224
	global_load_b128 v[134:137], v[138:139], off offset:16
	v_fmac_f64_e32 v[4:5], v[84:85], v[36:37]
	s_wait_xcnt 0x1
	v_add_nc_u64_e32 v[26:27], 0x2000, v[26:27]
	s_wait_loadcnt 0xc
	v_fmac_f64_e32 v[14:15], v[70:71], v[126:127]
	v_fmac_f64_e32 v[20:21], v[62:63], v[126:127]
	;; [unrolled: 1-line block ×4, first 2 shown]
	s_delay_alu instid0(VALU_DEP_4) | instskip(NEXT) | instid1(VALU_DEP_4)
	v_fmac_f64_e32 v[14:15], v[72:73], v[128:129]
	v_fmac_f64_e32 v[20:21], v[64:65], v[128:129]
	s_delay_alu instid0(VALU_DEP_4) | instskip(NEXT) | instid1(VALU_DEP_4)
	v_fmac_f64_e32 v[12:13], v[88:89], v[128:129]
	v_fmac_f64_e32 v[4:5], v[80:81], v[128:129]
	s_wait_loadcnt 0x7
	s_delay_alu instid0(VALU_DEP_4) | instskip(NEXT) | instid1(VALU_DEP_4)
	v_fmac_f64_e32 v[14:15], v[106:107], v[38:39]
	v_fmac_f64_e32 v[20:21], v[98:99], v[38:39]
	s_delay_alu instid0(VALU_DEP_4) | instskip(NEXT) | instid1(VALU_DEP_4)
	v_fmac_f64_e32 v[12:13], v[122:123], v[38:39]
	v_fmac_f64_e32 v[4:5], v[114:115], v[38:39]
	s_delay_alu instid0(VALU_DEP_4) | instskip(NEXT) | instid1(VALU_DEP_4)
	v_fmac_f64_e32 v[14:15], v[108:109], v[40:41]
	v_fmac_f64_e32 v[20:21], v[100:101], v[40:41]
	s_delay_alu instid0(VALU_DEP_4) | instskip(NEXT) | instid1(VALU_DEP_4)
	v_fmac_f64_e32 v[12:13], v[124:125], v[40:41]
	v_fmac_f64_e32 v[4:5], v[116:117], v[40:41]
	s_wait_loadcnt 0x6
	s_delay_alu instid0(VALU_DEP_4) | instskip(NEXT) | instid1(VALU_DEP_4)
	v_fmac_f64_e32 v[14:15], v[102:103], v[54:55]
	v_fmac_f64_e32 v[20:21], v[94:95], v[54:55]
	s_delay_alu instid0(VALU_DEP_4) | instskip(NEXT) | instid1(VALU_DEP_4)
	v_fmac_f64_e32 v[12:13], v[118:119], v[54:55]
	v_fmac_f64_e32 v[4:5], v[110:111], v[54:55]
	s_delay_alu instid0(VALU_DEP_4) | instskip(NEXT) | instid1(VALU_DEP_4)
	v_fmac_f64_e32 v[14:15], v[104:105], v[56:57]
	v_fmac_f64_e32 v[20:21], v[96:97], v[56:57]
	s_delay_alu instid0(VALU_DEP_4) | instskip(NEXT) | instid1(VALU_DEP_4)
	v_fmac_f64_e32 v[12:13], v[120:121], v[56:57]
	v_fmac_f64_e32 v[4:5], v[112:113], v[56:57]
	s_wait_loadcnt 0x3
	s_delay_alu instid0(VALU_DEP_4) | instskip(NEXT) | instid1(VALU_DEP_4)
	v_fmac_f64_e32 v[14:15], v[30:31], v[74:75]
	v_fmac_f64_e32 v[20:21], v[58:59], v[74:75]
	s_delay_alu instid0(VALU_DEP_4) | instskip(NEXT) | instid1(VALU_DEP_4)
	v_fmac_f64_e32 v[12:13], v[130:131], v[74:75]
	v_fmac_f64_e32 v[4:5], v[46:47], v[74:75]
	s_delay_alu instid0(VALU_DEP_4) | instskip(NEXT) | instid1(VALU_DEP_4)
	v_fmac_f64_e32 v[14:15], v[32:33], v[76:77]
	v_fmac_f64_e32 v[20:21], v[60:61], v[76:77]
	s_delay_alu instid0(VALU_DEP_4) | instskip(NEXT) | instid1(VALU_DEP_4)
	v_fmac_f64_e32 v[12:13], v[132:133], v[76:77]
	v_fmac_f64_e32 v[4:5], v[48:49], v[76:77]
	s_wait_loadcnt 0x0
	s_delay_alu instid0(VALU_DEP_4) | instskip(NEXT) | instid1(VALU_DEP_4)
	v_fmac_f64_e32 v[14:15], v[50:51], v[134:135]
	v_fmac_f64_e32 v[20:21], v[42:43], v[134:135]
	s_delay_alu instid0(VALU_DEP_4) | instskip(NEXT) | instid1(VALU_DEP_4)
	v_fmac_f64_e32 v[12:13], v[90:91], v[134:135]
	v_fmac_f64_e32 v[4:5], v[66:67], v[134:135]
	s_delay_alu instid0(VALU_DEP_4) | instskip(NEXT) | instid1(VALU_DEP_4)
	v_fmac_f64_e32 v[14:15], v[52:53], v[136:137]
	v_fmac_f64_e32 v[20:21], v[44:45], v[136:137]
	s_delay_alu instid0(VALU_DEP_4) | instskip(NEXT) | instid1(VALU_DEP_4)
	v_fmac_f64_e32 v[12:13], v[92:93], v[136:137]
	v_fmac_f64_e32 v[4:5], v[68:69], v[136:137]
	s_and_not1_b32 exec_lo, exec_lo, s7
	s_cbranch_execnz .LBB27_21
; %bb.22:
	s_or_b32 exec_lo, exec_lo, s7
.LBB27_23:
	s_delay_alu instid0(SALU_CYCLE_1)
	s_or_b32 exec_lo, exec_lo, s6
.LBB27_24:
	s_delay_alu instid0(SALU_CYCLE_1)
	s_or_b32 exec_lo, exec_lo, s3
	s_cbranch_execz .LBB27_26
	s_branch .LBB27_37
.LBB27_25:
                                        ; implicit-def: $vgpr4_vgpr5
                                        ; implicit-def: $vgpr12_vgpr13
                                        ; implicit-def: $vgpr20_vgpr21
                                        ; implicit-def: $vgpr14_vgpr15
.LBB27_26:
	v_mov_b64_e32 v[4:5], 0
	v_mov_b64_e32 v[12:13], 0
	;; [unrolled: 1-line block ×4, first 2 shown]
	s_and_saveexec_b32 s3, s2
	s_cbranch_execz .LBB27_36
; %bb.27:
	v_dual_mov_b32 v5, v1 :: v_dual_bitop2_b32 v4, 16, v0 bitop3:0x54
	v_sub_nc_u64_e32 v[12:13], s[12:13], v[0:1]
	v_not_b32_e32 v15, v23
	v_not_b32_e32 v14, v22
	v_mov_b64_e32 v[20:21], 0
	v_sub_nc_u64_e64 v[4:5], v[4:5], s[12:13]
	s_mov_b32 s2, exec_lo
	s_delay_alu instid0(VALU_DEP_3) | instskip(SKIP_1) | instid1(VALU_DEP_3)
	v_add_nc_u64_e32 v[12:13], v[12:13], v[14:15]
	v_mov_b64_e32 v[14:15], 0
	v_add_nc_u64_e32 v[4:5], v[4:5], v[22:23]
	s_delay_alu instid0(VALU_DEP_1) | instskip(NEXT) | instid1(VALU_DEP_1)
	v_max_i64 v[4:5], v[4:5], v[16:17]
	v_add_nc_u64_e32 v[22:23], v[12:13], v[4:5]
	v_mov_b64_e32 v[12:13], 0
	v_mov_b64_e32 v[4:5], 0
	s_delay_alu instid0(VALU_DEP_3) | instskip(NEXT) | instid1(VALU_DEP_1)
	v_dual_mov_b32 v25, 0 :: v_dual_bitop2_b32 v24, 48, v22 bitop3:0x40
	v_cmpx_ne_u64_e32 48, v[24:25]
	s_cbranch_execz .LBB27_31
; %bb.28:
	v_lshrrev_b32_e32 v1, 4, v22
	v_mov_b64_e32 v[4:5], 0
	v_mov_b64_e32 v[12:13], 0
	v_mov_b64_e32 v[20:21], 0
	v_mov_b64_e32 v[14:15], 0
	v_add_nc_u32_e32 v1, 1, v1
	v_lshl_add_u64 v[26:27], v[6:7], 2, s[8:9]
	s_mov_b32 s6, 0
	s_delay_alu instid0(VALU_DEP_2) | instskip(NEXT) | instid1(VALU_DEP_1)
	v_and_b32_e32 v24, 3, v1
	v_sub_nc_u64_e32 v[24:25], 0, v[24:25]
.LBB27_29:                              ; =>This Inner Loop Header: Depth=1
	global_load_b32 v1, v[26:27], off
	global_load_b128 v[28:31], v[18:19], off offset:16
	v_add_nc_u64_e32 v[24:25], 1, v[24:25]
	v_add_nc_u64_e32 v[6:7], 16, v[6:7]
	s_wait_xcnt 0x1
	v_add_nc_u64_e32 v[26:27], 64, v[26:27]
	s_delay_alu instid0(VALU_DEP_3) | instskip(SKIP_3) | instid1(VALU_DEP_1)
	v_cmp_eq_u64_e32 vcc_lo, 0, v[24:25]
	s_or_b32 s6, vcc_lo, s6
	s_wait_loadcnt 0x1
	v_subrev_nc_u32_e32 v1, s12, v1
	v_lshlrev_b32_e32 v32, 2, v1
	s_delay_alu instid0(VALU_DEP_1) | instskip(SKIP_1) | instid1(VALU_DEP_1)
	v_ashrrev_i32_e32 v33, 31, v32
	s_wait_kmcnt 0x0
	v_lshl_add_u64 v[68:69], v[32:33], 3, s[4:5]
	global_load_b128 v[32:35], v[18:19], off
	s_clause 0x1
	global_load_b128 v[36:39], v[68:69], off
	global_load_b128 v[40:43], v[68:69], off offset:16
	s_clause 0x5
	global_load_b128 v[44:47], v[18:19], off offset:32
	global_load_b128 v[48:51], v[18:19], off offset:48
	;; [unrolled: 1-line block ×6, first 2 shown]
	s_wait_xcnt 0x0
	v_add_nc_u64_e32 v[18:19], 0x800, v[18:19]
	s_wait_loadcnt 0x7
	v_fmac_f64_e32 v[14:15], v[32:33], v[36:37]
	v_fmac_f64_e32 v[20:21], v[34:35], v[36:37]
	;; [unrolled: 1-line block ×4, first 2 shown]
	s_wait_loadcnt 0x5
	s_delay_alu instid0(VALU_DEP_4) | instskip(NEXT) | instid1(VALU_DEP_4)
	v_fmac_f64_e32 v[14:15], v[44:45], v[38:39]
	v_fmac_f64_e32 v[20:21], v[46:47], v[38:39]
	s_wait_loadcnt 0x4
	s_delay_alu instid0(VALU_DEP_4) | instskip(NEXT) | instid1(VALU_DEP_4)
	v_fmac_f64_e32 v[12:13], v[48:49], v[38:39]
	v_fmac_f64_e32 v[4:5], v[50:51], v[38:39]
	s_wait_loadcnt 0x3
	s_delay_alu instid0(VALU_DEP_4) | instskip(NEXT) | instid1(VALU_DEP_4)
	v_fmac_f64_e32 v[14:15], v[52:53], v[40:41]
	v_fmac_f64_e32 v[20:21], v[54:55], v[40:41]
	s_wait_loadcnt 0x2
	s_delay_alu instid0(VALU_DEP_4) | instskip(NEXT) | instid1(VALU_DEP_4)
	v_fmac_f64_e32 v[12:13], v[56:57], v[40:41]
	v_fmac_f64_e32 v[4:5], v[58:59], v[40:41]
	s_wait_loadcnt 0x1
	s_delay_alu instid0(VALU_DEP_4) | instskip(NEXT) | instid1(VALU_DEP_4)
	v_fmac_f64_e32 v[14:15], v[60:61], v[42:43]
	v_fmac_f64_e32 v[20:21], v[62:63], v[42:43]
	s_wait_loadcnt 0x0
	s_delay_alu instid0(VALU_DEP_4) | instskip(NEXT) | instid1(VALU_DEP_4)
	v_fmac_f64_e32 v[12:13], v[64:65], v[42:43]
	v_fmac_f64_e32 v[4:5], v[66:67], v[42:43]
	s_and_not1_b32 exec_lo, exec_lo, s6
	s_cbranch_execnz .LBB27_29
; %bb.30:
	s_or_b32 exec_lo, exec_lo, s6
.LBB27_31:
	s_delay_alu instid0(SALU_CYCLE_1) | instskip(NEXT) | instid1(SALU_CYCLE_1)
	s_or_b32 exec_lo, exec_lo, s2
	s_mov_b32 s2, exec_lo
	v_cmpx_lt_u64_e32 47, v[22:23]
	s_cbranch_execz .LBB27_35
; %bb.32:
	v_lshl_add_u64 v[22:23], v[6:7], 2, s[8:9]
	s_mov_b32 s6, 0
	s_delay_alu instid0(VALU_DEP_1)
	v_add_nc_u64_e32 v[22:23], 0x80, v[22:23]
.LBB27_33:                              ; =>This Inner Loop Header: Depth=1
	s_clause 0x1
	global_load_b32 v1, v[22:23], off offset:-128
	global_load_b32 v11, v[22:23], off offset:-64
	s_clause 0xa
	global_load_b128 v[24:27], v[18:19], off offset:48
	global_load_b128 v[28:31], v[18:19], off offset:32
	;; [unrolled: 1-line block ×3, first 2 shown]
	global_load_b128 v[36:39], v[18:19], off
	global_load_b128 v[40:43], v[18:19], off offset:112
	global_load_b128 v[44:47], v[18:19], off offset:96
	;; [unrolled: 1-line block ×7, first 2 shown]
	s_clause 0x1
	global_load_b32 v108, v[22:23], off
	global_load_b32 v114, v[22:23], off offset:64
	v_add_nc_u64_e32 v[6:7], 64, v[6:7]
	s_wait_xcnt 0x0
	v_add_nc_u64_e32 v[22:23], 0x100, v[22:23]
	s_delay_alu instid0(VALU_DEP_2)
	v_cmp_ge_i64_e32 vcc_lo, v[6:7], v[16:17]
	s_or_b32 s6, vcc_lo, s6
	s_wait_loadcnt 0xe
	v_subrev_nc_u32_e32 v1, s12, v1
	s_wait_loadcnt 0xd
	v_subrev_nc_u32_e32 v11, s12, v11
	s_delay_alu instid0(VALU_DEP_1) | instskip(NEXT) | instid1(VALU_DEP_1)
	v_dual_lshlrev_b32 v68, 2, v1 :: v_dual_lshlrev_b32 v70, 2, v11
	v_dual_ashrrev_i32 v69, 31, v68 :: v_dual_ashrrev_i32 v71, 31, v70
	s_wait_loadcnt 0x1
	v_subrev_nc_u32_e32 v1, s12, v108
	s_wait_kmcnt 0x0
	s_delay_alu instid0(VALU_DEP_2)
	v_lshl_add_u64 v[104:105], v[68:69], 3, s[4:5]
	v_lshl_add_u64 v[106:107], v[70:71], 3, s[4:5]
	s_clause 0x2
	global_load_b128 v[68:71], v[104:105], off
	global_load_b128 v[72:75], v[104:105], off offset:16
	global_load_b128 v[76:79], v[106:107], off
	s_clause 0x2
	global_load_b128 v[80:83], v[18:19], off offset:2096
	global_load_b128 v[84:87], v[18:19], off offset:2128
	;; [unrolled: 1-line block ×4, first 2 shown]
	s_clause 0x1
	global_load_b128 v[96:99], v[18:19], off offset:2144
	global_load_b128 v[100:103], v[18:19], off offset:2160
	v_lshlrev_b32_e32 v112, 2, v1
	s_wait_loadcnt 0x9
	v_subrev_nc_u32_e32 v1, s12, v114
	s_clause 0x1
	global_load_b128 v[104:107], v[18:19], off offset:4112
	global_load_b128 v[108:111], v[18:19], off offset:4096
	v_ashrrev_i32_e32 v113, 31, v112
	s_delay_alu instid0(VALU_DEP_1)
	v_lshl_add_u64 v[112:113], v[112:113], 3, s[4:5]
	s_wait_loadcnt 0xa
	v_fmac_f64_e32 v[14:15], v[36:37], v[68:69]
	v_fmac_f64_e32 v[20:21], v[38:39], v[68:69]
	global_load_b128 v[36:39], v[112:113], off
	v_fmac_f64_e32 v[12:13], v[32:33], v[68:69]
	v_fmac_f64_e32 v[4:5], v[34:35], v[68:69]
	global_load_b128 v[32:35], v[18:19], off offset:4128
	v_fmac_f64_e32 v[14:15], v[28:29], v[70:71]
	v_fmac_f64_e32 v[20:21], v[30:31], v[70:71]
	global_load_b128 v[28:31], v[18:19], off offset:4144
	v_fmac_f64_e32 v[12:13], v[24:25], v[70:71]
	v_fmac_f64_e32 v[4:5], v[26:27], v[70:71]
	s_clause 0x1
	global_load_b128 v[24:27], v[18:19], off offset:4160
	global_load_b128 v[68:71], v[18:19], off offset:4176
	s_wait_loadcnt 0xe
	v_fmac_f64_e32 v[14:15], v[52:53], v[72:73]
	v_fmac_f64_e32 v[20:21], v[54:55], v[72:73]
	global_load_b128 v[52:55], v[112:113], off offset:16
	v_fmac_f64_e32 v[12:13], v[48:49], v[72:73]
	v_fmac_f64_e32 v[4:5], v[50:51], v[72:73]
	global_load_b128 v[48:51], v[18:19], off offset:4192
	s_wait_xcnt 0x1
	v_lshlrev_b32_e32 v112, 2, v1
	s_delay_alu instid0(VALU_DEP_1) | instskip(NEXT) | instid1(VALU_DEP_1)
	v_ashrrev_i32_e32 v113, 31, v112
	v_lshl_add_u64 v[116:117], v[112:113], 3, s[4:5]
	v_fmac_f64_e32 v[14:15], v[44:45], v[74:75]
	v_fmac_f64_e32 v[20:21], v[46:47], v[74:75]
	global_load_b128 v[44:47], v[18:19], off offset:4208
	v_fmac_f64_e32 v[12:13], v[40:41], v[74:75]
	v_fmac_f64_e32 v[4:5], v[42:43], v[74:75]
	s_clause 0x1
	global_load_b128 v[40:43], v[18:19], off offset:6160
	global_load_b128 v[72:75], v[18:19], off offset:6144
	s_wait_loadcnt 0x12
	v_fmac_f64_e32 v[14:15], v[64:65], v[76:77]
	v_fmac_f64_e32 v[20:21], v[66:67], v[76:77]
	global_load_b128 v[64:67], v[116:117], off
	v_fmac_f64_e32 v[12:13], v[60:61], v[76:77]
	v_fmac_f64_e32 v[4:5], v[62:63], v[76:77]
	global_load_b128 v[60:63], v[18:19], off offset:6176
	v_fmac_f64_e32 v[14:15], v[56:57], v[78:79]
	v_fmac_f64_e32 v[20:21], v[58:59], v[78:79]
	global_load_b128 v[56:59], v[18:19], off offset:6192
	s_wait_loadcnt 0x14
	v_fmac_f64_e32 v[12:13], v[80:81], v[78:79]
	v_fmac_f64_e32 v[4:5], v[82:83], v[78:79]
	s_clause 0x1
	global_load_b128 v[76:79], v[18:19], off offset:6208
	global_load_b128 v[80:83], v[18:19], off offset:6224
	;; [unrolled: 1-line block ×3, first 2 shown]
	s_wait_loadcnt 0x14
	v_fmac_f64_e32 v[14:15], v[88:89], v[92:93]
	v_fmac_f64_e32 v[20:21], v[90:91], v[92:93]
	global_load_b128 v[88:91], v[18:19], off offset:6240
	v_fmac_f64_e32 v[12:13], v[84:85], v[92:93]
	v_fmac_f64_e32 v[4:5], v[86:87], v[92:93]
	global_load_b128 v[84:87], v[18:19], off offset:6256
	s_wait_xcnt 0x0
	v_add_nc_u64_e32 v[18:19], 0x2000, v[18:19]
	s_wait_loadcnt 0x15
	v_fmac_f64_e32 v[14:15], v[96:97], v[94:95]
	v_fmac_f64_e32 v[20:21], v[98:99], v[94:95]
	s_wait_loadcnt 0x14
	v_fmac_f64_e32 v[12:13], v[100:101], v[94:95]
	v_fmac_f64_e32 v[4:5], v[102:103], v[94:95]
	s_wait_loadcnt 0x11
	s_delay_alu instid0(VALU_DEP_4) | instskip(NEXT) | instid1(VALU_DEP_4)
	v_fmac_f64_e32 v[14:15], v[108:109], v[36:37]
	v_fmac_f64_e32 v[20:21], v[110:111], v[36:37]
	s_delay_alu instid0(VALU_DEP_4) | instskip(NEXT) | instid1(VALU_DEP_4)
	v_fmac_f64_e32 v[12:13], v[104:105], v[36:37]
	v_fmac_f64_e32 v[4:5], v[106:107], v[36:37]
	s_wait_loadcnt 0x10
	s_delay_alu instid0(VALU_DEP_4) | instskip(NEXT) | instid1(VALU_DEP_4)
	v_fmac_f64_e32 v[14:15], v[32:33], v[38:39]
	v_fmac_f64_e32 v[20:21], v[34:35], v[38:39]
	s_wait_loadcnt 0xf
	s_delay_alu instid0(VALU_DEP_4) | instskip(NEXT) | instid1(VALU_DEP_4)
	v_fmac_f64_e32 v[12:13], v[28:29], v[38:39]
	v_fmac_f64_e32 v[4:5], v[30:31], v[38:39]
	s_wait_loadcnt 0xc
	s_delay_alu instid0(VALU_DEP_4) | instskip(NEXT) | instid1(VALU_DEP_4)
	v_fmac_f64_e32 v[14:15], v[24:25], v[52:53]
	v_fmac_f64_e32 v[20:21], v[26:27], v[52:53]
	s_delay_alu instid0(VALU_DEP_4) | instskip(NEXT) | instid1(VALU_DEP_4)
	v_fmac_f64_e32 v[12:13], v[68:69], v[52:53]
	v_fmac_f64_e32 v[4:5], v[70:71], v[52:53]
	s_wait_loadcnt 0xb
	s_delay_alu instid0(VALU_DEP_4) | instskip(NEXT) | instid1(VALU_DEP_4)
	v_fmac_f64_e32 v[14:15], v[48:49], v[54:55]
	v_fmac_f64_e32 v[20:21], v[50:51], v[54:55]
	s_wait_loadcnt 0xa
	s_delay_alu instid0(VALU_DEP_4) | instskip(NEXT) | instid1(VALU_DEP_4)
	;; [unrolled: 15-line block ×4, first 2 shown]
	v_fmac_f64_e32 v[12:13], v[84:85], v[114:115]
	v_fmac_f64_e32 v[4:5], v[86:87], v[114:115]
	s_and_not1_b32 exec_lo, exec_lo, s6
	s_cbranch_execnz .LBB27_33
; %bb.34:
	s_or_b32 exec_lo, exec_lo, s6
.LBB27_35:
	s_delay_alu instid0(SALU_CYCLE_1)
	s_or_b32 exec_lo, exec_lo, s2
.LBB27_36:
	s_delay_alu instid0(SALU_CYCLE_1)
	s_or_b32 exec_lo, exec_lo, s3
.LBB27_37:
	v_mbcnt_lo_u32_b32 v1, -1, 0
	s_delay_alu instid0(VALU_DEP_1) | instskip(NEXT) | instid1(VALU_DEP_1)
	v_xor_b32_e32 v6, 8, v1
	v_cmp_gt_i32_e32 vcc_lo, 32, v6
	v_cndmask_b32_e32 v6, v1, v6, vcc_lo
	s_delay_alu instid0(VALU_DEP_1)
	v_lshlrev_b32_e32 v11, 2, v6
	ds_bpermute_b32 v6, v11, v14
	ds_bpermute_b32 v7, v11, v15
	;; [unrolled: 1-line block ×4, first 2 shown]
	s_wait_dscnt 0x2
	v_add_f64_e32 v[6:7], v[14:15], v[6:7]
	s_wait_dscnt 0x0
	v_add_f64_e32 v[14:15], v[20:21], v[16:17]
	ds_bpermute_b32 v18, v11, v12
	ds_bpermute_b32 v19, v11, v13
	;; [unrolled: 1-line block ×4, first 2 shown]
	v_xor_b32_e32 v11, 4, v1
	s_delay_alu instid0(VALU_DEP_1) | instskip(SKIP_3) | instid1(VALU_DEP_2)
	v_cmp_gt_i32_e32 vcc_lo, 32, v11
	v_cndmask_b32_e32 v11, v1, v11, vcc_lo
	s_wait_dscnt 0x2
	v_add_f64_e32 v[12:13], v[12:13], v[18:19]
	v_lshlrev_b32_e32 v11, 2, v11
	s_wait_dscnt 0x0
	v_add_f64_e32 v[4:5], v[4:5], v[22:23]
	ds_bpermute_b32 v16, v11, v6
	ds_bpermute_b32 v17, v11, v7
	;; [unrolled: 1-line block ×4, first 2 shown]
	s_wait_dscnt 0x2
	v_add_f64_e32 v[6:7], v[6:7], v[16:17]
	s_wait_dscnt 0x0
	v_add_f64_e32 v[16:17], v[14:15], v[18:19]
	ds_bpermute_b32 v20, v11, v12
	ds_bpermute_b32 v21, v11, v13
	s_wait_dscnt 0x0
	v_add_f64_e32 v[18:19], v[12:13], v[20:21]
	ds_bpermute_b32 v22, v11, v4
	ds_bpermute_b32 v23, v11, v5
	s_wait_dscnt 0x0
	v_dual_add_f64 v[20:21], v[4:5], v[22:23] :: v_dual_bitop2_b32 v4, 2, v1 bitop3:0x14
	s_delay_alu instid0(VALU_DEP_1) | instskip(SKIP_1) | instid1(VALU_DEP_1)
	v_cmp_gt_i32_e32 vcc_lo, 32, v4
	v_cndmask_b32_e32 v4, v1, v4, vcc_lo
	v_lshlrev_b32_e32 v11, 2, v4
	ds_bpermute_b32 v4, v11, v6
	ds_bpermute_b32 v5, v11, v7
	;; [unrolled: 1-line block ×8, first 2 shown]
	v_xor_b32_e32 v11, 1, v1
	s_delay_alu instid0(VALU_DEP_1)
	v_cmp_gt_i32_e32 vcc_lo, 32, v11
	s_wait_dscnt 0x6
	v_dual_add_f64 v[14:15], v[6:7], v[4:5] :: v_dual_cndmask_b32 v1, v1, v11, vcc_lo
	s_wait_dscnt 0x4
	v_add_f64_e32 v[12:13], v[16:17], v[12:13]
	s_wait_dscnt 0x2
	v_add_f64_e32 v[4:5], v[18:19], v[22:23]
	v_cmp_eq_u32_e32 vcc_lo, 15, v0
	v_lshlrev_b32_e32 v1, 2, v1
	s_wait_dscnt 0x0
	v_add_f64_e32 v[6:7], v[20:21], v[24:25]
	ds_bpermute_b32 v22, v1, v14
	ds_bpermute_b32 v23, v1, v15
	;; [unrolled: 1-line block ×8, first 2 shown]
	s_and_b32 exec_lo, exec_lo, vcc_lo
	s_cbranch_execz .LBB27_10
; %bb.38:
	s_wait_dscnt 0x6
	v_add_f64_e32 v[0:1], v[14:15], v[22:23]
	s_wait_dscnt 0x4
	v_dual_add_f64 v[12:13], v[12:13], v[20:21] :: v_dual_lshlrev_b32 v10, 2, v10
	s_wait_dscnt 0x2
	v_add_f64_e32 v[14:15], v[4:5], v[18:19]
	s_wait_dscnt 0x0
	v_add_f64_e32 v[16:17], v[6:7], v[16:17]
	s_load_b64 s[0:1], s[0:1], 0x50
	s_mov_b32 s2, exec_lo
	s_delay_alu instid0(VALU_DEP_4) | instskip(NEXT) | instid1(VALU_DEP_4)
	v_mul_f64_e32 v[4:5], v[2:3], v[0:1]
	v_mul_f64_e32 v[6:7], v[2:3], v[12:13]
	s_delay_alu instid0(VALU_DEP_4) | instskip(NEXT) | instid1(VALU_DEP_4)
	v_mul_f64_e32 v[0:1], v[2:3], v[14:15]
	v_mul_f64_e32 v[2:3], v[2:3], v[16:17]
	v_cmpx_eq_f64_e32 0, v[8:9]
	s_xor_b32 s2, exec_lo, s2
	s_cbranch_execz .LBB27_40
; %bb.39:
	v_ashrrev_i32_e32 v11, 31, v10
	s_wait_kmcnt 0x0
	s_delay_alu instid0(VALU_DEP_1)
	v_lshl_add_u64 v[8:9], v[10:11], 3, s[0:1]
                                        ; implicit-def: $vgpr10
	s_clause 0x1
	global_store_b128 v[8:9], v[4:7], off
	global_store_b128 v[8:9], v[0:3], off offset:16
                                        ; implicit-def: $vgpr8_vgpr9
                                        ; implicit-def: $vgpr4_vgpr5
                                        ; implicit-def: $vgpr0_vgpr1
.LBB27_40:
	s_wait_xcnt 0x0
	s_and_not1_saveexec_b32 s2, s2
	s_cbranch_execz .LBB27_10
; %bb.41:
	v_ashrrev_i32_e32 v11, 31, v10
	s_wait_kmcnt 0x0
	s_delay_alu instid0(VALU_DEP_1)
	v_lshl_add_u64 v[18:19], v[10:11], 3, s[0:1]
	s_clause 0x1
	global_load_b128 v[10:13], v[18:19], off
	global_load_b128 v[14:17], v[18:19], off offset:16
	s_wait_loadcnt 0x1
	v_fmac_f64_e32 v[4:5], v[8:9], v[10:11]
	v_fmac_f64_e32 v[6:7], v[8:9], v[12:13]
	s_wait_loadcnt 0x0
	v_fmac_f64_e32 v[0:1], v[8:9], v[14:15]
	v_fmac_f64_e32 v[2:3], v[8:9], v[16:17]
	s_clause 0x1
	global_store_b128 v[18:19], v[4:7], off
	global_store_b128 v[18:19], v[0:3], off offset:16
	s_sendmsg sendmsg(MSG_DEALLOC_VGPRS)
	s_endpgm
	.section	.rodata,"a",@progbits
	.p2align	6, 0x0
	.amdhsa_kernel _ZN9rocsparseL18bsrxmvn_4x4_kernelILj128ELj16EdlidddEEvT3_20rocsparse_direction_NS_24const_host_device_scalarIT1_EES1_PKS1_PKT2_SA_S7_PKT4_PKT5_S5_PT6_21rocsparse_index_base_b
		.amdhsa_group_segment_fixed_size 0
		.amdhsa_private_segment_fixed_size 0
		.amdhsa_kernarg_size 96
		.amdhsa_user_sgpr_count 2
		.amdhsa_user_sgpr_dispatch_ptr 0
		.amdhsa_user_sgpr_queue_ptr 0
		.amdhsa_user_sgpr_kernarg_segment_ptr 1
		.amdhsa_user_sgpr_dispatch_id 0
		.amdhsa_user_sgpr_kernarg_preload_length 0
		.amdhsa_user_sgpr_kernarg_preload_offset 0
		.amdhsa_user_sgpr_private_segment_size 0
		.amdhsa_wavefront_size32 1
		.amdhsa_uses_dynamic_stack 0
		.amdhsa_enable_private_segment 0
		.amdhsa_system_sgpr_workgroup_id_x 1
		.amdhsa_system_sgpr_workgroup_id_y 0
		.amdhsa_system_sgpr_workgroup_id_z 0
		.amdhsa_system_sgpr_workgroup_info 0
		.amdhsa_system_vgpr_workitem_id 0
		.amdhsa_next_free_vgpr 140
		.amdhsa_next_free_sgpr 14
		.amdhsa_named_barrier_count 0
		.amdhsa_reserve_vcc 1
		.amdhsa_float_round_mode_32 0
		.amdhsa_float_round_mode_16_64 0
		.amdhsa_float_denorm_mode_32 3
		.amdhsa_float_denorm_mode_16_64 3
		.amdhsa_fp16_overflow 0
		.amdhsa_memory_ordered 1
		.amdhsa_forward_progress 1
		.amdhsa_inst_pref_size 37
		.amdhsa_round_robin_scheduling 0
		.amdhsa_exception_fp_ieee_invalid_op 0
		.amdhsa_exception_fp_denorm_src 0
		.amdhsa_exception_fp_ieee_div_zero 0
		.amdhsa_exception_fp_ieee_overflow 0
		.amdhsa_exception_fp_ieee_underflow 0
		.amdhsa_exception_fp_ieee_inexact 0
		.amdhsa_exception_int_div_zero 0
	.end_amdhsa_kernel
	.section	.text._ZN9rocsparseL18bsrxmvn_4x4_kernelILj128ELj16EdlidddEEvT3_20rocsparse_direction_NS_24const_host_device_scalarIT1_EES1_PKS1_PKT2_SA_S7_PKT4_PKT5_S5_PT6_21rocsparse_index_base_b,"axG",@progbits,_ZN9rocsparseL18bsrxmvn_4x4_kernelILj128ELj16EdlidddEEvT3_20rocsparse_direction_NS_24const_host_device_scalarIT1_EES1_PKS1_PKT2_SA_S7_PKT4_PKT5_S5_PT6_21rocsparse_index_base_b,comdat
.Lfunc_end27:
	.size	_ZN9rocsparseL18bsrxmvn_4x4_kernelILj128ELj16EdlidddEEvT3_20rocsparse_direction_NS_24const_host_device_scalarIT1_EES1_PKS1_PKT2_SA_S7_PKT4_PKT5_S5_PT6_21rocsparse_index_base_b, .Lfunc_end27-_ZN9rocsparseL18bsrxmvn_4x4_kernelILj128ELj16EdlidddEEvT3_20rocsparse_direction_NS_24const_host_device_scalarIT1_EES1_PKS1_PKT2_SA_S7_PKT4_PKT5_S5_PT6_21rocsparse_index_base_b
                                        ; -- End function
	.set _ZN9rocsparseL18bsrxmvn_4x4_kernelILj128ELj16EdlidddEEvT3_20rocsparse_direction_NS_24const_host_device_scalarIT1_EES1_PKS1_PKT2_SA_S7_PKT4_PKT5_S5_PT6_21rocsparse_index_base_b.num_vgpr, 140
	.set _ZN9rocsparseL18bsrxmvn_4x4_kernelILj128ELj16EdlidddEEvT3_20rocsparse_direction_NS_24const_host_device_scalarIT1_EES1_PKS1_PKT2_SA_S7_PKT4_PKT5_S5_PT6_21rocsparse_index_base_b.num_agpr, 0
	.set _ZN9rocsparseL18bsrxmvn_4x4_kernelILj128ELj16EdlidddEEvT3_20rocsparse_direction_NS_24const_host_device_scalarIT1_EES1_PKS1_PKT2_SA_S7_PKT4_PKT5_S5_PT6_21rocsparse_index_base_b.numbered_sgpr, 14
	.set _ZN9rocsparseL18bsrxmvn_4x4_kernelILj128ELj16EdlidddEEvT3_20rocsparse_direction_NS_24const_host_device_scalarIT1_EES1_PKS1_PKT2_SA_S7_PKT4_PKT5_S5_PT6_21rocsparse_index_base_b.num_named_barrier, 0
	.set _ZN9rocsparseL18bsrxmvn_4x4_kernelILj128ELj16EdlidddEEvT3_20rocsparse_direction_NS_24const_host_device_scalarIT1_EES1_PKS1_PKT2_SA_S7_PKT4_PKT5_S5_PT6_21rocsparse_index_base_b.private_seg_size, 0
	.set _ZN9rocsparseL18bsrxmvn_4x4_kernelILj128ELj16EdlidddEEvT3_20rocsparse_direction_NS_24const_host_device_scalarIT1_EES1_PKS1_PKT2_SA_S7_PKT4_PKT5_S5_PT6_21rocsparse_index_base_b.uses_vcc, 1
	.set _ZN9rocsparseL18bsrxmvn_4x4_kernelILj128ELj16EdlidddEEvT3_20rocsparse_direction_NS_24const_host_device_scalarIT1_EES1_PKS1_PKT2_SA_S7_PKT4_PKT5_S5_PT6_21rocsparse_index_base_b.uses_flat_scratch, 0
	.set _ZN9rocsparseL18bsrxmvn_4x4_kernelILj128ELj16EdlidddEEvT3_20rocsparse_direction_NS_24const_host_device_scalarIT1_EES1_PKS1_PKT2_SA_S7_PKT4_PKT5_S5_PT6_21rocsparse_index_base_b.has_dyn_sized_stack, 0
	.set _ZN9rocsparseL18bsrxmvn_4x4_kernelILj128ELj16EdlidddEEvT3_20rocsparse_direction_NS_24const_host_device_scalarIT1_EES1_PKS1_PKT2_SA_S7_PKT4_PKT5_S5_PT6_21rocsparse_index_base_b.has_recursion, 0
	.set _ZN9rocsparseL18bsrxmvn_4x4_kernelILj128ELj16EdlidddEEvT3_20rocsparse_direction_NS_24const_host_device_scalarIT1_EES1_PKS1_PKT2_SA_S7_PKT4_PKT5_S5_PT6_21rocsparse_index_base_b.has_indirect_call, 0
	.section	.AMDGPU.csdata,"",@progbits
; Kernel info:
; codeLenInByte = 4644
; TotalNumSgprs: 16
; NumVgprs: 140
; ScratchSize: 0
; MemoryBound: 1
; FloatMode: 240
; IeeeMode: 1
; LDSByteSize: 0 bytes/workgroup (compile time only)
; SGPRBlocks: 0
; VGPRBlocks: 8
; NumSGPRsForWavesPerEU: 16
; NumVGPRsForWavesPerEU: 140
; NamedBarCnt: 0
; Occupancy: 7
; WaveLimiterHint : 1
; COMPUTE_PGM_RSRC2:SCRATCH_EN: 0
; COMPUTE_PGM_RSRC2:USER_SGPR: 2
; COMPUTE_PGM_RSRC2:TRAP_HANDLER: 0
; COMPUTE_PGM_RSRC2:TGID_X_EN: 1
; COMPUTE_PGM_RSRC2:TGID_Y_EN: 0
; COMPUTE_PGM_RSRC2:TGID_Z_EN: 0
; COMPUTE_PGM_RSRC2:TIDIG_COMP_CNT: 0
	.section	.text._ZN9rocsparseL18bsrxmvn_4x4_kernelILj128ELj32EdlidddEEvT3_20rocsparse_direction_NS_24const_host_device_scalarIT1_EES1_PKS1_PKT2_SA_S7_PKT4_PKT5_S5_PT6_21rocsparse_index_base_b,"axG",@progbits,_ZN9rocsparseL18bsrxmvn_4x4_kernelILj128ELj32EdlidddEEvT3_20rocsparse_direction_NS_24const_host_device_scalarIT1_EES1_PKS1_PKT2_SA_S7_PKT4_PKT5_S5_PT6_21rocsparse_index_base_b,comdat
	.globl	_ZN9rocsparseL18bsrxmvn_4x4_kernelILj128ELj32EdlidddEEvT3_20rocsparse_direction_NS_24const_host_device_scalarIT1_EES1_PKS1_PKT2_SA_S7_PKT4_PKT5_S5_PT6_21rocsparse_index_base_b ; -- Begin function _ZN9rocsparseL18bsrxmvn_4x4_kernelILj128ELj32EdlidddEEvT3_20rocsparse_direction_NS_24const_host_device_scalarIT1_EES1_PKS1_PKT2_SA_S7_PKT4_PKT5_S5_PT6_21rocsparse_index_base_b
	.p2align	8
	.type	_ZN9rocsparseL18bsrxmvn_4x4_kernelILj128ELj32EdlidddEEvT3_20rocsparse_direction_NS_24const_host_device_scalarIT1_EES1_PKS1_PKT2_SA_S7_PKT4_PKT5_S5_PT6_21rocsparse_index_base_b,@function
_ZN9rocsparseL18bsrxmvn_4x4_kernelILj128ELj32EdlidddEEvT3_20rocsparse_direction_NS_24const_host_device_scalarIT1_EES1_PKS1_PKT2_SA_S7_PKT4_PKT5_S5_PT6_21rocsparse_index_base_b: ; @_ZN9rocsparseL18bsrxmvn_4x4_kernelILj128ELj32EdlidddEEvT3_20rocsparse_direction_NS_24const_host_device_scalarIT1_EES1_PKS1_PKT2_SA_S7_PKT4_PKT5_S5_PT6_21rocsparse_index_base_b
; %bb.0:
	s_clause 0x2
	s_load_b64 s[12:13], s[0:1], 0x58
	s_load_b64 s[4:5], s[0:1], 0x8
	;; [unrolled: 1-line block ×3, first 2 shown]
	s_wait_kmcnt 0x0
	s_bitcmp1_b32 s13, 0
	v_mov_b64_e32 v[2:3], s[4:5]
	s_cselect_b32 s6, -1, 0
	s_delay_alu instid0(SALU_CYCLE_1)
	s_and_b32 vcc_lo, exec_lo, s6
	s_xor_b32 s6, s6, -1
	s_cbranch_vccnz .LBB28_2
; %bb.1:
	v_mov_b32_e32 v1, 0
	flat_load_b64 v[2:3], v1, s[4:5]
.LBB28_2:
	v_mov_b64_e32 v[8:9], s[2:3]
	s_and_not1_b32 vcc_lo, exec_lo, s6
	s_cbranch_vccnz .LBB28_4
; %bb.3:
	s_wait_xcnt 0x0
	v_mov_b32_e32 v1, 0
	flat_load_b64 v[8:9], v1, s[2:3]
.LBB28_4:
	s_wait_loadcnt_dscnt 0x0
	v_cmp_neq_f64_e32 vcc_lo, 0, v[2:3]
	s_delay_alu instid0(VALU_DEP_2) | instskip(SKIP_1) | instid1(SALU_CYCLE_1)
	v_cmp_neq_f64_e64 s2, 1.0, v[8:9]
	s_or_b32 s2, vcc_lo, s2
	s_and_saveexec_b32 s3, s2
	s_cbranch_execz .LBB28_10
; %bb.5:
	s_clause 0x1
	s_load_b64 s[4:5], s[0:1], 0x18
	s_load_b64 s[2:3], s[0:1], 0x0
	s_bfe_u32 s6, ttmp6, 0x4000c
	s_and_b32 s7, ttmp6, 15
	s_add_co_i32 s6, s6, 1
	s_getreg_b32 s8, hwreg(HW_REG_IB_STS2, 6, 4)
	s_mul_i32 s6, ttmp9, s6
	v_lshrrev_b32_e32 v1, 5, v0
	s_add_co_i32 s7, s7, s6
	s_cmp_eq_u32 s8, 0
	s_cselect_b32 s6, ttmp9, s7
	s_delay_alu instid0(VALU_DEP_1) | instid1(SALU_CYCLE_1)
	v_lshl_or_b32 v10, s6, 2, v1
	s_mov_b32 s6, 0
	s_wait_kmcnt 0x0
	s_cmp_lg_u64 s[4:5], 0
	s_cbranch_scc0 .LBB28_11
; %bb.6:
	s_load_b32 s6, s[0:1], 0x10
	s_mov_b32 s7, 0
                                        ; implicit-def: $vgpr1
	s_wait_kmcnt 0x0
	v_cmp_gt_i32_e32 vcc_lo, s6, v10
	s_mov_b32 s6, 0
	s_and_saveexec_b32 s8, vcc_lo
	s_delay_alu instid0(SALU_CYCLE_1)
	s_xor_b32 s8, exec_lo, s8
	s_cbranch_execz .LBB28_8
; %bb.7:
	global_load_b32 v1, v10, s[4:5] scale_offset
	s_mov_b32 s6, exec_lo
	s_wait_loadcnt 0x0
	v_subrev_nc_u32_e32 v1, s12, v1
.LBB28_8:
	s_or_b32 exec_lo, exec_lo, s8
	s_delay_alu instid0(SALU_CYCLE_1)
	s_and_b32 vcc_lo, exec_lo, s7
	s_cbranch_vccz .LBB28_12
.LBB28_9:
	v_cmp_gt_i32_e32 vcc_lo, s2, v10
	s_and_not1_b32 s2, s6, exec_lo
	s_and_b32 s4, vcc_lo, exec_lo
	s_delay_alu instid0(SALU_CYCLE_1) | instskip(NEXT) | instid1(SALU_CYCLE_1)
	s_or_b32 s6, s2, s4
	s_and_b32 exec_lo, exec_lo, s6
	s_cbranch_execnz .LBB28_13
.LBB28_10:
	s_sendmsg sendmsg(MSG_DEALLOC_VGPRS)
	s_endpgm
.LBB28_11:
                                        ; implicit-def: $vgpr1
	s_cbranch_execnz .LBB28_9
.LBB28_12:
	s_delay_alu instid0(VALU_DEP_1)
	v_mov_b32_e32 v10, v1
	s_and_b32 exec_lo, exec_lo, s6
	s_cbranch_execz .LBB28_10
.LBB28_13:
	s_load_b256 s[4:11], s[0:1], 0x20
	s_mov_b32 s13, 0
	v_dual_mov_b32 v1, 0 :: v_dual_bitop2_b32 v0, 31, v0 bitop3:0x40
	s_wait_kmcnt 0x0
	s_cmp_eq_u64 s[6:7], 0
	global_load_b64 v[22:23], v10, s[4:5] scale_offset
	s_cselect_b32 vcc_lo, -1, 0
	v_ashrrev_i32_e32 v11, 31, v10
	s_cmp_eq_u32 s3, 1
	s_delay_alu instid0(VALU_DEP_1) | instskip(NEXT) | instid1(VALU_DEP_1)
	v_lshlrev_b64_e32 v[4:5], 3, v[10:11]
	v_add_nc_u64_e32 v[6:7], s[4:5], v[4:5]
	v_add_nc_u64_e32 v[4:5], s[6:7], v[4:5]
	s_wait_xcnt 0x0
	s_load_b64 s[4:5], s[0:1], 0x40
	s_delay_alu instid0(VALU_DEP_2) | instskip(NEXT) | instid1(VALU_DEP_1)
	v_add_nc_u64_e32 v[6:7], 8, v[6:7]
	v_dual_cndmask_b32 v5, v5, v7 :: v_dual_cndmask_b32 v4, v4, v6
	global_load_b64 v[4:5], v[4:5], off
	s_wait_loadcnt 0x1
	v_sub_nc_u64_e64 v[6:7], v[22:23], s[12:13]
	s_delay_alu instid0(VALU_DEP_1) | instskip(NEXT) | instid1(VALU_DEP_1)
	v_add_nc_u64_e32 v[16:17], v[6:7], v[0:1]
	v_lshlrev_b64_e32 v[6:7], 7, v[16:17]
	s_delay_alu instid0(VALU_DEP_1) | instskip(SKIP_2) | instid1(VALU_DEP_1)
	v_add_nc_u64_e32 v[20:21], s[10:11], v[6:7]
	s_wait_loadcnt 0x0
	v_sub_nc_u64_e64 v[18:19], v[4:5], s[12:13]
	v_cmp_lt_i64_e64 s2, v[16:17], v[18:19]
	s_cbranch_scc1 .LBB28_25
; %bb.14:
	v_mov_b64_e32 v[4:5], 0
	v_mov_b64_e32 v[6:7], 0
	;; [unrolled: 1-line block ×4, first 2 shown]
	s_and_saveexec_b32 s3, s2
	s_cbranch_execz .LBB28_24
; %bb.15:
	v_dual_mov_b32 v5, v1 :: v_dual_bitop2_b32 v4, 32, v0 bitop3:0x54
	v_sub_nc_u64_e32 v[6:7], s[12:13], v[0:1]
	v_not_b32_e32 v13, v23
	v_not_b32_e32 v12, v22
	v_mov_b64_e32 v[14:15], 0
	v_sub_nc_u64_e64 v[4:5], v[4:5], s[12:13]
	v_mov_b64_e32 v[24:25], v[16:17]
	v_mov_b64_e32 v[26:27], v[20:21]
	v_add_nc_u64_e32 v[6:7], v[6:7], v[12:13]
	v_mov_b64_e32 v[12:13], 0
	v_mov_b32_e32 v33, 0
	s_mov_b32 s6, exec_lo
	v_add_nc_u64_e32 v[4:5], v[4:5], v[22:23]
	s_delay_alu instid0(VALU_DEP_1) | instskip(NEXT) | instid1(VALU_DEP_1)
	v_max_i64 v[4:5], v[4:5], v[18:19]
	v_add_nc_u64_e32 v[28:29], v[6:7], v[4:5]
	v_mov_b64_e32 v[6:7], 0
	v_mov_b64_e32 v[4:5], 0
	s_delay_alu instid0(VALU_DEP_3) | instskip(NEXT) | instid1(VALU_DEP_1)
	v_and_b32_e32 v32, 0x60, v28
	v_cmpx_ne_u64_e32 0x60, v[32:33]
	s_cbranch_execz .LBB28_19
; %bb.16:
	v_lshrrev_b32_e32 v4, 5, v28
	v_mov_b64_e32 v[6:7], 0
	v_mov_b64_e32 v[14:15], 0
	;; [unrolled: 1-line block ×4, first 2 shown]
	v_add_nc_u32_e32 v4, 1, v4
	v_mov_b64_e32 v[24:25], v[16:17]
	v_lshl_add_u64 v[30:31], v[16:17], 2, s[8:9]
	s_mov_b32 s7, 0
	s_delay_alu instid0(VALU_DEP_3) | instskip(SKIP_1) | instid1(VALU_DEP_2)
	v_and_b32_e32 v32, 3, v4
	v_mov_b64_e32 v[4:5], 0
	v_sub_nc_u64_e32 v[32:33], 0, v[32:33]
.LBB28_17:                              ; =>This Inner Loop Header: Depth=1
	global_load_b32 v11, v[30:31], off
	s_clause 0x6
	global_load_b128 v[34:37], v[26:27], off offset:48
	global_load_b128 v[38:41], v[26:27], off offset:32
	;; [unrolled: 1-line block ×3, first 2 shown]
	global_load_b128 v[46:49], v[26:27], off
	global_load_b128 v[54:57], v[26:27], off offset:96
	global_load_b128 v[58:61], v[26:27], off offset:80
	;; [unrolled: 1-line block ×3, first 2 shown]
	v_add_nc_u64_e32 v[32:33], 1, v[32:33]
	v_add_nc_u64_e32 v[24:25], 32, v[24:25]
	s_wait_xcnt 0x7
	v_add_nc_u64_e32 v[30:31], 0x80, v[30:31]
	s_delay_alu instid0(VALU_DEP_3) | instskip(SKIP_3) | instid1(VALU_DEP_1)
	v_cmp_eq_u64_e32 vcc_lo, 0, v[32:33]
	s_or_b32 s7, vcc_lo, s7
	s_wait_loadcnt 0x7
	v_subrev_nc_u32_e32 v11, s12, v11
	v_lshlrev_b32_e32 v62, 2, v11
	s_delay_alu instid0(VALU_DEP_1) | instskip(SKIP_1) | instid1(VALU_DEP_1)
	v_ashrrev_i32_e32 v63, 31, v62
	s_wait_kmcnt 0x0
	v_lshl_add_u64 v[74:75], v[62:63], 3, s[4:5]
	global_load_b128 v[62:65], v[26:27], off offset:64
	s_clause 0x1
	global_load_b128 v[66:69], v[74:75], off
	global_load_b128 v[70:73], v[74:75], off offset:16
	s_wait_xcnt 0x2
	v_add_nc_u64_e32 v[26:27], 0x1000, v[26:27]
	s_wait_loadcnt 0x1
	v_fmac_f64_e32 v[12:13], v[46:47], v[66:67]
	v_fmac_f64_e32 v[14:15], v[38:39], v[66:67]
	;; [unrolled: 1-line block ×4, first 2 shown]
	s_delay_alu instid0(VALU_DEP_4) | instskip(NEXT) | instid1(VALU_DEP_4)
	v_fmac_f64_e32 v[12:13], v[48:49], v[68:69]
	v_fmac_f64_e32 v[14:15], v[40:41], v[68:69]
	s_delay_alu instid0(VALU_DEP_4) | instskip(NEXT) | instid1(VALU_DEP_4)
	v_fmac_f64_e32 v[6:7], v[64:65], v[68:69]
	v_fmac_f64_e32 v[4:5], v[56:57], v[68:69]
	s_wait_loadcnt 0x0
	s_delay_alu instid0(VALU_DEP_4) | instskip(NEXT) | instid1(VALU_DEP_4)
	v_fmac_f64_e32 v[12:13], v[42:43], v[70:71]
	v_fmac_f64_e32 v[14:15], v[34:35], v[70:71]
	s_delay_alu instid0(VALU_DEP_4) | instskip(NEXT) | instid1(VALU_DEP_4)
	v_fmac_f64_e32 v[6:7], v[58:59], v[70:71]
	v_fmac_f64_e32 v[4:5], v[50:51], v[70:71]
	s_delay_alu instid0(VALU_DEP_4) | instskip(NEXT) | instid1(VALU_DEP_4)
	v_fmac_f64_e32 v[12:13], v[44:45], v[72:73]
	v_fmac_f64_e32 v[14:15], v[36:37], v[72:73]
	s_delay_alu instid0(VALU_DEP_4) | instskip(NEXT) | instid1(VALU_DEP_4)
	v_fmac_f64_e32 v[6:7], v[60:61], v[72:73]
	v_fmac_f64_e32 v[4:5], v[52:53], v[72:73]
	s_and_not1_b32 exec_lo, exec_lo, s7
	s_cbranch_execnz .LBB28_17
; %bb.18:
	s_or_b32 exec_lo, exec_lo, s7
.LBB28_19:
	s_delay_alu instid0(SALU_CYCLE_1) | instskip(NEXT) | instid1(SALU_CYCLE_1)
	s_or_b32 exec_lo, exec_lo, s6
	s_mov_b32 s6, exec_lo
	v_cmpx_lt_u64_e32 0x5f, v[28:29]
	s_cbranch_execz .LBB28_23
; %bb.20:
	v_lshl_add_u64 v[28:29], v[24:25], 2, s[8:9]
	s_mov_b32 s7, 0
	s_delay_alu instid0(VALU_DEP_1)
	v_add_nc_u64_e32 v[28:29], 0x100, v[28:29]
.LBB28_21:                              ; =>This Inner Loop Header: Depth=1
	global_load_b32 v11, v[28:29], off offset:-256
	s_clause 0xf
	global_load_b128 v[30:33], v[26:27], off offset:48
	global_load_b128 v[34:37], v[26:27], off offset:32
	;; [unrolled: 1-line block ×3, first 2 shown]
	global_load_b128 v[42:45], v[26:27], off
	global_load_b128 v[46:49], v[26:27], off offset:112
	global_load_b128 v[50:53], v[26:27], off offset:96
	;; [unrolled: 1-line block ×12, first 2 shown]
	s_clause 0x2
	global_load_b32 v136, v[28:29], off offset:-128
	global_load_b32 v137, v[28:29], off
	global_load_b32 v138, v[28:29], off offset:128
	s_clause 0x7
	global_load_b128 v[94:97], v[26:27], off offset:8240
	global_load_b128 v[98:101], v[26:27], off offset:8224
	;; [unrolled: 1-line block ×8, first 2 shown]
	v_add_nc_u64_e32 v[24:25], 0x80, v[24:25]
	s_wait_xcnt 0x8
	v_add_nc_u64_e32 v[28:29], 0x200, v[28:29]
	s_delay_alu instid0(VALU_DEP_2) | instskip(SKIP_3) | instid1(VALU_DEP_1)
	v_cmp_ge_i64_e32 vcc_lo, v[24:25], v[18:19]
	s_or_b32 s7, vcc_lo, s7
	s_wait_loadcnt 0x1b
	v_subrev_nc_u32_e32 v11, s12, v11
	v_lshlrev_b32_e32 v126, 2, v11
	s_delay_alu instid0(VALU_DEP_1) | instskip(SKIP_1) | instid1(VALU_DEP_1)
	v_ashrrev_i32_e32 v127, 31, v126
	s_wait_kmcnt 0x0
	v_lshl_add_u64 v[134:135], v[126:127], 3, s[4:5]
	s_clause 0x1
	global_load_b128 v[126:129], v[134:135], off
	global_load_b128 v[130:133], v[134:135], off offset:16
	s_wait_loadcnt 0xc
	v_subrev_nc_u32_e32 v11, s12, v136
	s_wait_xcnt 0x0
	s_delay_alu instid0(VALU_DEP_1)
	v_lshlrev_b32_e32 v134, 2, v11
	s_wait_loadcnt 0xb
	v_subrev_nc_u32_e32 v11, s12, v137
	s_wait_loadcnt 0x1
	v_fmac_f64_e32 v[14:15], v[34:35], v[126:127]
	v_fmac_f64_e32 v[12:13], v[42:43], v[126:127]
	;; [unrolled: 1-line block ×4, first 2 shown]
	v_lshlrev_b32_e32 v126, 2, v11
	v_subrev_nc_u32_e32 v11, s12, v138
	v_ashrrev_i32_e32 v135, 31, v134
	s_delay_alu instid0(VALU_DEP_3) | instskip(NEXT) | instid1(VALU_DEP_2)
	v_ashrrev_i32_e32 v127, 31, v126
	v_lshl_add_u64 v[134:135], v[134:135], 3, s[4:5]
	s_delay_alu instid0(VALU_DEP_2)
	v_lshl_add_u64 v[136:137], v[126:127], 3, s[4:5]
	v_fmac_f64_e32 v[14:15], v[36:37], v[128:129]
	global_load_b128 v[34:37], v[134:135], off
	v_fmac_f64_e32 v[12:13], v[44:45], v[128:129]
	v_fmac_f64_e32 v[6:7], v[60:61], v[128:129]
	;; [unrolled: 1-line block ×3, first 2 shown]
	global_load_b128 v[126:129], v[134:135], off offset:16
	s_wait_xcnt 0x0
	v_lshlrev_b32_e32 v134, 2, v11
	s_clause 0x2
	global_load_b128 v[42:45], v[26:27], off offset:12336
	global_load_b128 v[58:61], v[26:27], off offset:12320
	;; [unrolled: 1-line block ×3, first 2 shown]
	v_ashrrev_i32_e32 v135, 31, v134
	s_delay_alu instid0(VALU_DEP_1)
	v_lshl_add_u64 v[138:139], v[134:135], 3, s[4:5]
	s_wait_loadcnt 0x5
	v_fmac_f64_e32 v[14:15], v[30:31], v[130:131]
	v_fmac_f64_e32 v[12:13], v[38:39], v[130:131]
	;; [unrolled: 1-line block ×4, first 2 shown]
	s_delay_alu instid0(VALU_DEP_4)
	v_fmac_f64_e32 v[14:15], v[32:33], v[132:133]
	global_load_b128 v[30:33], v[26:27], off offset:12288
	v_fmac_f64_e32 v[12:13], v[40:41], v[132:133]
	global_load_b128 v[38:41], v[136:137], off
	v_fmac_f64_e32 v[6:7], v[56:57], v[132:133]
	global_load_b128 v[54:57], v[136:137], off offset:16
	v_fmac_f64_e32 v[4:5], v[48:49], v[132:133]
	s_clause 0x1
	global_load_b128 v[46:49], v[26:27], off offset:12384
	global_load_b128 v[130:133], v[26:27], off offset:12352
	s_wait_loadcnt 0x9
	v_fmac_f64_e32 v[12:13], v[74:75], v[34:35]
	v_fmac_f64_e32 v[14:15], v[66:67], v[34:35]
	;; [unrolled: 1-line block ×4, first 2 shown]
	s_delay_alu instid0(VALU_DEP_4)
	v_fmac_f64_e32 v[12:13], v[76:77], v[36:37]
	global_load_b128 v[74:77], v[138:139], off
	v_fmac_f64_e32 v[14:15], v[68:69], v[36:37]
	global_load_b128 v[66:69], v[26:27], off offset:12400
	v_fmac_f64_e32 v[6:7], v[92:93], v[36:37]
	global_load_b128 v[90:93], v[26:27], off offset:12368
	global_load_b128 v[134:137], v[138:139], off offset:16
	v_fmac_f64_e32 v[4:5], v[84:85], v[36:37]
	s_wait_xcnt 0x1
	v_add_nc_u64_e32 v[26:27], 0x4000, v[26:27]
	s_wait_loadcnt 0xc
	v_fmac_f64_e32 v[12:13], v[70:71], v[126:127]
	v_fmac_f64_e32 v[14:15], v[62:63], v[126:127]
	;; [unrolled: 1-line block ×4, first 2 shown]
	s_delay_alu instid0(VALU_DEP_4) | instskip(NEXT) | instid1(VALU_DEP_4)
	v_fmac_f64_e32 v[12:13], v[72:73], v[128:129]
	v_fmac_f64_e32 v[14:15], v[64:65], v[128:129]
	s_delay_alu instid0(VALU_DEP_4) | instskip(NEXT) | instid1(VALU_DEP_4)
	v_fmac_f64_e32 v[6:7], v[88:89], v[128:129]
	v_fmac_f64_e32 v[4:5], v[80:81], v[128:129]
	s_wait_loadcnt 0x7
	s_delay_alu instid0(VALU_DEP_4) | instskip(NEXT) | instid1(VALU_DEP_4)
	v_fmac_f64_e32 v[12:13], v[106:107], v[38:39]
	v_fmac_f64_e32 v[14:15], v[98:99], v[38:39]
	s_delay_alu instid0(VALU_DEP_4) | instskip(NEXT) | instid1(VALU_DEP_4)
	v_fmac_f64_e32 v[6:7], v[122:123], v[38:39]
	v_fmac_f64_e32 v[4:5], v[114:115], v[38:39]
	s_delay_alu instid0(VALU_DEP_4) | instskip(NEXT) | instid1(VALU_DEP_4)
	v_fmac_f64_e32 v[12:13], v[108:109], v[40:41]
	v_fmac_f64_e32 v[14:15], v[100:101], v[40:41]
	s_delay_alu instid0(VALU_DEP_4) | instskip(NEXT) | instid1(VALU_DEP_4)
	v_fmac_f64_e32 v[6:7], v[124:125], v[40:41]
	v_fmac_f64_e32 v[4:5], v[116:117], v[40:41]
	s_wait_loadcnt 0x6
	s_delay_alu instid0(VALU_DEP_4) | instskip(NEXT) | instid1(VALU_DEP_4)
	v_fmac_f64_e32 v[12:13], v[102:103], v[54:55]
	v_fmac_f64_e32 v[14:15], v[94:95], v[54:55]
	s_delay_alu instid0(VALU_DEP_4) | instskip(NEXT) | instid1(VALU_DEP_4)
	v_fmac_f64_e32 v[6:7], v[118:119], v[54:55]
	v_fmac_f64_e32 v[4:5], v[110:111], v[54:55]
	;; [unrolled: 13-line block ×4, first 2 shown]
	s_delay_alu instid0(VALU_DEP_4) | instskip(NEXT) | instid1(VALU_DEP_4)
	v_fmac_f64_e32 v[12:13], v[52:53], v[136:137]
	v_fmac_f64_e32 v[14:15], v[44:45], v[136:137]
	s_delay_alu instid0(VALU_DEP_4) | instskip(NEXT) | instid1(VALU_DEP_4)
	v_fmac_f64_e32 v[6:7], v[92:93], v[136:137]
	v_fmac_f64_e32 v[4:5], v[68:69], v[136:137]
	s_and_not1_b32 exec_lo, exec_lo, s7
	s_cbranch_execnz .LBB28_21
; %bb.22:
	s_or_b32 exec_lo, exec_lo, s7
.LBB28_23:
	s_delay_alu instid0(SALU_CYCLE_1)
	s_or_b32 exec_lo, exec_lo, s6
.LBB28_24:
	s_delay_alu instid0(SALU_CYCLE_1)
	s_or_b32 exec_lo, exec_lo, s3
	s_cbranch_execz .LBB28_26
	s_branch .LBB28_37
.LBB28_25:
                                        ; implicit-def: $vgpr4_vgpr5
                                        ; implicit-def: $vgpr6_vgpr7
                                        ; implicit-def: $vgpr14_vgpr15
                                        ; implicit-def: $vgpr12_vgpr13
.LBB28_26:
	v_mov_b64_e32 v[4:5], 0
	v_mov_b64_e32 v[6:7], 0
	;; [unrolled: 1-line block ×4, first 2 shown]
	s_and_saveexec_b32 s3, s2
	s_cbranch_execz .LBB28_36
; %bb.27:
	v_dual_mov_b32 v5, v1 :: v_dual_bitop2_b32 v4, 32, v0 bitop3:0x54
	v_sub_nc_u64_e32 v[6:7], s[12:13], v[0:1]
	v_not_b32_e32 v13, v23
	v_not_b32_e32 v12, v22
	v_mov_b64_e32 v[14:15], 0
	v_sub_nc_u64_e64 v[4:5], v[4:5], s[12:13]
	v_mov_b32_e32 v25, 0
	s_mov_b32 s2, exec_lo
	v_add_nc_u64_e32 v[6:7], v[6:7], v[12:13]
	v_mov_b64_e32 v[12:13], 0
	s_delay_alu instid0(VALU_DEP_4) | instskip(NEXT) | instid1(VALU_DEP_1)
	v_add_nc_u64_e32 v[4:5], v[4:5], v[22:23]
	v_max_i64 v[4:5], v[4:5], v[18:19]
	s_delay_alu instid0(VALU_DEP_1) | instskip(SKIP_2) | instid1(VALU_DEP_3)
	v_add_nc_u64_e32 v[22:23], v[6:7], v[4:5]
	v_mov_b64_e32 v[6:7], 0
	v_mov_b64_e32 v[4:5], 0
	v_and_b32_e32 v24, 0x60, v22
	s_delay_alu instid0(VALU_DEP_1)
	v_cmpx_ne_u64_e32 0x60, v[24:25]
	s_cbranch_execz .LBB28_31
; %bb.28:
	v_lshrrev_b32_e32 v1, 5, v22
	v_mov_b64_e32 v[4:5], 0
	v_mov_b64_e32 v[6:7], 0
	;; [unrolled: 1-line block ×4, first 2 shown]
	v_add_nc_u32_e32 v1, 1, v1
	v_lshl_add_u64 v[26:27], v[16:17], 2, s[8:9]
	s_mov_b32 s6, 0
	s_delay_alu instid0(VALU_DEP_2) | instskip(NEXT) | instid1(VALU_DEP_1)
	v_and_b32_e32 v24, 3, v1
	v_sub_nc_u64_e32 v[24:25], 0, v[24:25]
.LBB28_29:                              ; =>This Inner Loop Header: Depth=1
	global_load_b32 v1, v[26:27], off
	global_load_b128 v[28:31], v[20:21], off offset:16
	v_add_nc_u64_e32 v[24:25], 1, v[24:25]
	v_add_nc_u64_e32 v[16:17], 32, v[16:17]
	s_wait_xcnt 0x1
	v_add_nc_u64_e32 v[26:27], 0x80, v[26:27]
	s_delay_alu instid0(VALU_DEP_3) | instskip(SKIP_3) | instid1(VALU_DEP_1)
	v_cmp_eq_u64_e32 vcc_lo, 0, v[24:25]
	s_or_b32 s6, vcc_lo, s6
	s_wait_loadcnt 0x1
	v_subrev_nc_u32_e32 v1, s12, v1
	v_lshlrev_b32_e32 v32, 2, v1
	s_delay_alu instid0(VALU_DEP_1) | instskip(SKIP_1) | instid1(VALU_DEP_1)
	v_ashrrev_i32_e32 v33, 31, v32
	s_wait_kmcnt 0x0
	v_lshl_add_u64 v[68:69], v[32:33], 3, s[4:5]
	global_load_b128 v[32:35], v[20:21], off
	s_clause 0x1
	global_load_b128 v[36:39], v[68:69], off
	global_load_b128 v[40:43], v[68:69], off offset:16
	s_clause 0x5
	global_load_b128 v[44:47], v[20:21], off offset:32
	global_load_b128 v[48:51], v[20:21], off offset:48
	;; [unrolled: 1-line block ×6, first 2 shown]
	s_wait_xcnt 0x0
	v_add_nc_u64_e32 v[20:21], 0x1000, v[20:21]
	s_wait_loadcnt 0x7
	v_fmac_f64_e32 v[12:13], v[32:33], v[36:37]
	v_fmac_f64_e32 v[14:15], v[34:35], v[36:37]
	;; [unrolled: 1-line block ×4, first 2 shown]
	s_wait_loadcnt 0x5
	s_delay_alu instid0(VALU_DEP_4) | instskip(NEXT) | instid1(VALU_DEP_4)
	v_fmac_f64_e32 v[12:13], v[44:45], v[38:39]
	v_fmac_f64_e32 v[14:15], v[46:47], v[38:39]
	s_wait_loadcnt 0x4
	s_delay_alu instid0(VALU_DEP_4) | instskip(NEXT) | instid1(VALU_DEP_4)
	v_fmac_f64_e32 v[6:7], v[48:49], v[38:39]
	v_fmac_f64_e32 v[4:5], v[50:51], v[38:39]
	;; [unrolled: 4-line block ×6, first 2 shown]
	s_and_not1_b32 exec_lo, exec_lo, s6
	s_cbranch_execnz .LBB28_29
; %bb.30:
	s_or_b32 exec_lo, exec_lo, s6
.LBB28_31:
	s_delay_alu instid0(SALU_CYCLE_1) | instskip(NEXT) | instid1(SALU_CYCLE_1)
	s_or_b32 exec_lo, exec_lo, s2
	s_mov_b32 s2, exec_lo
	v_cmpx_lt_u64_e32 0x5f, v[22:23]
	s_cbranch_execz .LBB28_35
; %bb.32:
	v_lshl_add_u64 v[22:23], v[16:17], 2, s[8:9]
	s_mov_b32 s6, 0
	s_delay_alu instid0(VALU_DEP_1)
	v_add_nc_u64_e32 v[22:23], 0x100, v[22:23]
.LBB28_33:                              ; =>This Inner Loop Header: Depth=1
	s_clause 0x1
	global_load_b32 v1, v[22:23], off offset:-256
	global_load_b32 v11, v[22:23], off offset:-128
	s_clause 0xa
	global_load_b128 v[24:27], v[20:21], off offset:48
	global_load_b128 v[28:31], v[20:21], off offset:32
	;; [unrolled: 1-line block ×3, first 2 shown]
	global_load_b128 v[36:39], v[20:21], off
	global_load_b128 v[40:43], v[20:21], off offset:112
	global_load_b128 v[44:47], v[20:21], off offset:96
	;; [unrolled: 1-line block ×7, first 2 shown]
	s_clause 0x1
	global_load_b32 v108, v[22:23], off
	global_load_b32 v114, v[22:23], off offset:128
	v_add_nc_u64_e32 v[16:17], 0x80, v[16:17]
	s_wait_xcnt 0x0
	v_add_nc_u64_e32 v[22:23], 0x200, v[22:23]
	s_delay_alu instid0(VALU_DEP_2)
	v_cmp_ge_i64_e32 vcc_lo, v[16:17], v[18:19]
	s_or_b32 s6, vcc_lo, s6
	s_wait_loadcnt 0xe
	v_subrev_nc_u32_e32 v1, s12, v1
	s_wait_loadcnt 0xd
	v_subrev_nc_u32_e32 v11, s12, v11
	s_delay_alu instid0(VALU_DEP_1) | instskip(NEXT) | instid1(VALU_DEP_1)
	v_dual_lshlrev_b32 v68, 2, v1 :: v_dual_lshlrev_b32 v70, 2, v11
	v_dual_ashrrev_i32 v69, 31, v68 :: v_dual_ashrrev_i32 v71, 31, v70
	s_wait_loadcnt 0x1
	v_subrev_nc_u32_e32 v1, s12, v108
	s_wait_kmcnt 0x0
	s_delay_alu instid0(VALU_DEP_2)
	v_lshl_add_u64 v[104:105], v[68:69], 3, s[4:5]
	v_lshl_add_u64 v[106:107], v[70:71], 3, s[4:5]
	s_clause 0x2
	global_load_b128 v[68:71], v[104:105], off
	global_load_b128 v[72:75], v[104:105], off offset:16
	global_load_b128 v[76:79], v[106:107], off
	s_clause 0x2
	global_load_b128 v[80:83], v[20:21], off offset:4144
	global_load_b128 v[84:87], v[20:21], off offset:4176
	global_load_b128 v[88:91], v[20:21], off offset:4160
	global_load_b128 v[92:95], v[106:107], off offset:16
	s_clause 0x1
	global_load_b128 v[96:99], v[20:21], off offset:4192
	global_load_b128 v[100:103], v[20:21], off offset:4208
	v_lshlrev_b32_e32 v112, 2, v1
	s_wait_loadcnt 0x9
	v_subrev_nc_u32_e32 v1, s12, v114
	s_clause 0x1
	global_load_b128 v[104:107], v[20:21], off offset:8208
	global_load_b128 v[108:111], v[20:21], off offset:8192
	v_ashrrev_i32_e32 v113, 31, v112
	s_delay_alu instid0(VALU_DEP_1)
	v_lshl_add_u64 v[112:113], v[112:113], 3, s[4:5]
	s_wait_loadcnt 0xa
	v_fmac_f64_e32 v[12:13], v[36:37], v[68:69]
	v_fmac_f64_e32 v[14:15], v[38:39], v[68:69]
	global_load_b128 v[36:39], v[112:113], off
	v_fmac_f64_e32 v[6:7], v[32:33], v[68:69]
	v_fmac_f64_e32 v[4:5], v[34:35], v[68:69]
	global_load_b128 v[32:35], v[20:21], off offset:8224
	v_fmac_f64_e32 v[12:13], v[28:29], v[70:71]
	v_fmac_f64_e32 v[14:15], v[30:31], v[70:71]
	global_load_b128 v[28:31], v[20:21], off offset:8240
	v_fmac_f64_e32 v[6:7], v[24:25], v[70:71]
	v_fmac_f64_e32 v[4:5], v[26:27], v[70:71]
	s_clause 0x1
	global_load_b128 v[24:27], v[20:21], off offset:8256
	global_load_b128 v[68:71], v[20:21], off offset:8272
	s_wait_loadcnt 0xe
	v_fmac_f64_e32 v[12:13], v[52:53], v[72:73]
	v_fmac_f64_e32 v[14:15], v[54:55], v[72:73]
	global_load_b128 v[52:55], v[112:113], off offset:16
	v_fmac_f64_e32 v[6:7], v[48:49], v[72:73]
	v_fmac_f64_e32 v[4:5], v[50:51], v[72:73]
	global_load_b128 v[48:51], v[20:21], off offset:8288
	s_wait_xcnt 0x1
	v_lshlrev_b32_e32 v112, 2, v1
	s_delay_alu instid0(VALU_DEP_1) | instskip(NEXT) | instid1(VALU_DEP_1)
	v_ashrrev_i32_e32 v113, 31, v112
	v_lshl_add_u64 v[116:117], v[112:113], 3, s[4:5]
	v_fmac_f64_e32 v[12:13], v[44:45], v[74:75]
	v_fmac_f64_e32 v[14:15], v[46:47], v[74:75]
	global_load_b128 v[44:47], v[20:21], off offset:8304
	v_fmac_f64_e32 v[6:7], v[40:41], v[74:75]
	v_fmac_f64_e32 v[4:5], v[42:43], v[74:75]
	s_clause 0x1
	global_load_b128 v[40:43], v[20:21], off offset:12304
	global_load_b128 v[72:75], v[20:21], off offset:12288
	s_wait_loadcnt 0x12
	v_fmac_f64_e32 v[12:13], v[64:65], v[76:77]
	v_fmac_f64_e32 v[14:15], v[66:67], v[76:77]
	global_load_b128 v[64:67], v[116:117], off
	v_fmac_f64_e32 v[6:7], v[60:61], v[76:77]
	v_fmac_f64_e32 v[4:5], v[62:63], v[76:77]
	global_load_b128 v[60:63], v[20:21], off offset:12320
	v_fmac_f64_e32 v[12:13], v[56:57], v[78:79]
	v_fmac_f64_e32 v[14:15], v[58:59], v[78:79]
	global_load_b128 v[56:59], v[20:21], off offset:12336
	s_wait_loadcnt 0x14
	v_fmac_f64_e32 v[6:7], v[80:81], v[78:79]
	v_fmac_f64_e32 v[4:5], v[82:83], v[78:79]
	s_clause 0x1
	global_load_b128 v[76:79], v[20:21], off offset:12352
	global_load_b128 v[80:83], v[20:21], off offset:12368
	;; [unrolled: 1-line block ×3, first 2 shown]
	s_wait_loadcnt 0x14
	v_fmac_f64_e32 v[12:13], v[88:89], v[92:93]
	v_fmac_f64_e32 v[14:15], v[90:91], v[92:93]
	global_load_b128 v[88:91], v[20:21], off offset:12384
	v_fmac_f64_e32 v[6:7], v[84:85], v[92:93]
	v_fmac_f64_e32 v[4:5], v[86:87], v[92:93]
	global_load_b128 v[84:87], v[20:21], off offset:12400
	s_wait_xcnt 0x0
	v_add_nc_u64_e32 v[20:21], 0x4000, v[20:21]
	s_wait_loadcnt 0x15
	v_fmac_f64_e32 v[12:13], v[96:97], v[94:95]
	v_fmac_f64_e32 v[14:15], v[98:99], v[94:95]
	s_wait_loadcnt 0x14
	v_fmac_f64_e32 v[6:7], v[100:101], v[94:95]
	v_fmac_f64_e32 v[4:5], v[102:103], v[94:95]
	s_wait_loadcnt 0x11
	s_delay_alu instid0(VALU_DEP_4) | instskip(NEXT) | instid1(VALU_DEP_4)
	v_fmac_f64_e32 v[12:13], v[108:109], v[36:37]
	v_fmac_f64_e32 v[14:15], v[110:111], v[36:37]
	s_delay_alu instid0(VALU_DEP_4) | instskip(NEXT) | instid1(VALU_DEP_4)
	v_fmac_f64_e32 v[6:7], v[104:105], v[36:37]
	v_fmac_f64_e32 v[4:5], v[106:107], v[36:37]
	s_wait_loadcnt 0x10
	s_delay_alu instid0(VALU_DEP_4) | instskip(NEXT) | instid1(VALU_DEP_4)
	v_fmac_f64_e32 v[12:13], v[32:33], v[38:39]
	v_fmac_f64_e32 v[14:15], v[34:35], v[38:39]
	s_wait_loadcnt 0xf
	s_delay_alu instid0(VALU_DEP_4) | instskip(NEXT) | instid1(VALU_DEP_4)
	v_fmac_f64_e32 v[6:7], v[28:29], v[38:39]
	v_fmac_f64_e32 v[4:5], v[30:31], v[38:39]
	s_wait_loadcnt 0xc
	s_delay_alu instid0(VALU_DEP_4) | instskip(NEXT) | instid1(VALU_DEP_4)
	v_fmac_f64_e32 v[12:13], v[24:25], v[52:53]
	v_fmac_f64_e32 v[14:15], v[26:27], v[52:53]
	s_delay_alu instid0(VALU_DEP_4) | instskip(NEXT) | instid1(VALU_DEP_4)
	v_fmac_f64_e32 v[6:7], v[68:69], v[52:53]
	v_fmac_f64_e32 v[4:5], v[70:71], v[52:53]
	s_wait_loadcnt 0xb
	s_delay_alu instid0(VALU_DEP_4) | instskip(NEXT) | instid1(VALU_DEP_4)
	v_fmac_f64_e32 v[12:13], v[48:49], v[54:55]
	v_fmac_f64_e32 v[14:15], v[50:51], v[54:55]
	s_wait_loadcnt 0xa
	s_delay_alu instid0(VALU_DEP_4) | instskip(NEXT) | instid1(VALU_DEP_4)
	;; [unrolled: 15-line block ×4, first 2 shown]
	v_fmac_f64_e32 v[6:7], v[84:85], v[114:115]
	v_fmac_f64_e32 v[4:5], v[86:87], v[114:115]
	s_and_not1_b32 exec_lo, exec_lo, s6
	s_cbranch_execnz .LBB28_33
; %bb.34:
	s_or_b32 exec_lo, exec_lo, s6
.LBB28_35:
	s_delay_alu instid0(SALU_CYCLE_1)
	s_or_b32 exec_lo, exec_lo, s2
.LBB28_36:
	s_delay_alu instid0(SALU_CYCLE_1)
	s_or_b32 exec_lo, exec_lo, s3
.LBB28_37:
	v_mbcnt_lo_u32_b32 v1, -1, 0
	s_delay_alu instid0(VALU_DEP_1) | instskip(NEXT) | instid1(VALU_DEP_1)
	v_xor_b32_e32 v11, 16, v1
	v_cmp_gt_i32_e32 vcc_lo, 32, v11
	v_cndmask_b32_e32 v11, v1, v11, vcc_lo
	s_delay_alu instid0(VALU_DEP_1)
	v_lshlrev_b32_e32 v11, 2, v11
	ds_bpermute_b32 v16, v11, v12
	ds_bpermute_b32 v17, v11, v13
	s_wait_dscnt 0x0
	v_add_f64_e32 v[12:13], v[12:13], v[16:17]
	ds_bpermute_b32 v22, v11, v4
	ds_bpermute_b32 v23, v11, v5
	;; [unrolled: 1-line block ×6, first 2 shown]
	v_xor_b32_e32 v11, 8, v1
	s_delay_alu instid0(VALU_DEP_1)
	v_cmp_gt_i32_e32 vcc_lo, 32, v11
	s_wait_dscnt 0x4
	v_add_f64_e32 v[4:5], v[4:5], v[22:23]
	s_wait_dscnt 0x2
	v_add_f64_e32 v[14:15], v[14:15], v[18:19]
	s_wait_dscnt 0x0
	v_dual_add_f64 v[6:7], v[6:7], v[20:21] :: v_dual_cndmask_b32 v11, v1, v11, vcc_lo
	s_delay_alu instid0(VALU_DEP_1)
	v_lshlrev_b32_e32 v11, 2, v11
	ds_bpermute_b32 v16, v11, v12
	ds_bpermute_b32 v17, v11, v13
	s_wait_dscnt 0x0
	v_add_f64_e32 v[12:13], v[12:13], v[16:17]
	ds_bpermute_b32 v18, v11, v14
	ds_bpermute_b32 v19, v11, v15
	;; [unrolled: 1-line block ×6, first 2 shown]
	v_xor_b32_e32 v11, 4, v1
	s_delay_alu instid0(VALU_DEP_1)
	v_cmp_gt_i32_e32 vcc_lo, 32, v11
	s_wait_dscnt 0x4
	v_add_f64_e32 v[14:15], v[14:15], v[18:19]
	s_wait_dscnt 0x2
	v_dual_add_f64 v[6:7], v[6:7], v[20:21] :: v_dual_cndmask_b32 v11, v1, v11, vcc_lo
	s_wait_dscnt 0x0
	v_add_f64_e32 v[4:5], v[4:5], v[22:23]
	s_delay_alu instid0(VALU_DEP_2)
	v_lshlrev_b32_e32 v11, 2, v11
	ds_bpermute_b32 v16, v11, v12
	ds_bpermute_b32 v17, v11, v13
	s_wait_dscnt 0x0
	v_add_f64_e32 v[12:13], v[12:13], v[16:17]
	ds_bpermute_b32 v18, v11, v14
	ds_bpermute_b32 v19, v11, v15
	;; [unrolled: 1-line block ×6, first 2 shown]
	s_wait_dscnt 0x4
	v_add_f64_e32 v[16:17], v[14:15], v[18:19]
	s_wait_dscnt 0x2
	v_add_f64_e32 v[6:7], v[6:7], v[20:21]
	s_wait_dscnt 0x0
	v_dual_add_f64 v[18:19], v[4:5], v[22:23] :: v_dual_bitop2_b32 v4, 2, v1 bitop3:0x14
	s_delay_alu instid0(VALU_DEP_1) | instskip(SKIP_1) | instid1(VALU_DEP_1)
	v_cmp_gt_i32_e32 vcc_lo, 32, v4
	v_cndmask_b32_e32 v4, v1, v4, vcc_lo
	v_lshlrev_b32_e32 v11, 2, v4
	ds_bpermute_b32 v4, v11, v12
	ds_bpermute_b32 v5, v11, v13
	;; [unrolled: 1-line block ×8, first 2 shown]
	v_xor_b32_e32 v11, 1, v1
	s_delay_alu instid0(VALU_DEP_1)
	v_cmp_gt_i32_e32 vcc_lo, 32, v11
	s_wait_dscnt 0x6
	v_add_f64_e32 v[14:15], v[12:13], v[4:5]
	v_cndmask_b32_e32 v1, v1, v11, vcc_lo
	v_cmp_eq_u32_e32 vcc_lo, 31, v0
	s_wait_dscnt 0x4
	v_add_f64_e32 v[12:13], v[16:17], v[20:21]
	s_wait_dscnt 0x2
	v_dual_add_f64 v[4:5], v[6:7], v[22:23] :: v_dual_lshlrev_b32 v1, 2, v1
	s_wait_dscnt 0x0
	v_add_f64_e32 v[6:7], v[18:19], v[24:25]
	ds_bpermute_b32 v22, v1, v14
	ds_bpermute_b32 v23, v1, v15
	;; [unrolled: 1-line block ×8, first 2 shown]
	s_and_b32 exec_lo, exec_lo, vcc_lo
	s_cbranch_execz .LBB28_10
; %bb.38:
	s_wait_dscnt 0x6
	v_add_f64_e32 v[0:1], v[14:15], v[22:23]
	s_wait_dscnt 0x4
	v_dual_add_f64 v[12:13], v[12:13], v[20:21] :: v_dual_lshlrev_b32 v10, 2, v10
	s_wait_dscnt 0x2
	v_add_f64_e32 v[14:15], v[4:5], v[18:19]
	s_wait_dscnt 0x0
	v_add_f64_e32 v[16:17], v[6:7], v[16:17]
	s_load_b64 s[0:1], s[0:1], 0x50
	s_mov_b32 s2, exec_lo
	s_delay_alu instid0(VALU_DEP_4) | instskip(NEXT) | instid1(VALU_DEP_4)
	v_mul_f64_e32 v[4:5], v[2:3], v[0:1]
	v_mul_f64_e32 v[6:7], v[2:3], v[12:13]
	s_delay_alu instid0(VALU_DEP_4) | instskip(NEXT) | instid1(VALU_DEP_4)
	v_mul_f64_e32 v[0:1], v[2:3], v[14:15]
	v_mul_f64_e32 v[2:3], v[2:3], v[16:17]
	v_cmpx_eq_f64_e32 0, v[8:9]
	s_xor_b32 s2, exec_lo, s2
	s_cbranch_execz .LBB28_40
; %bb.39:
	v_ashrrev_i32_e32 v11, 31, v10
	s_wait_kmcnt 0x0
	s_delay_alu instid0(VALU_DEP_1)
	v_lshl_add_u64 v[8:9], v[10:11], 3, s[0:1]
                                        ; implicit-def: $vgpr10
	s_clause 0x1
	global_store_b128 v[8:9], v[4:7], off
	global_store_b128 v[8:9], v[0:3], off offset:16
                                        ; implicit-def: $vgpr8_vgpr9
                                        ; implicit-def: $vgpr4_vgpr5
                                        ; implicit-def: $vgpr0_vgpr1
.LBB28_40:
	s_wait_xcnt 0x0
	s_and_not1_saveexec_b32 s2, s2
	s_cbranch_execz .LBB28_10
; %bb.41:
	v_ashrrev_i32_e32 v11, 31, v10
	s_wait_kmcnt 0x0
	s_delay_alu instid0(VALU_DEP_1)
	v_lshl_add_u64 v[18:19], v[10:11], 3, s[0:1]
	s_clause 0x1
	global_load_b128 v[10:13], v[18:19], off
	global_load_b128 v[14:17], v[18:19], off offset:16
	s_wait_loadcnt 0x1
	v_fmac_f64_e32 v[4:5], v[8:9], v[10:11]
	v_fmac_f64_e32 v[6:7], v[8:9], v[12:13]
	s_wait_loadcnt 0x0
	v_fmac_f64_e32 v[0:1], v[8:9], v[14:15]
	v_fmac_f64_e32 v[2:3], v[8:9], v[16:17]
	s_clause 0x1
	global_store_b128 v[18:19], v[4:7], off
	global_store_b128 v[18:19], v[0:3], off offset:16
	s_sendmsg sendmsg(MSG_DEALLOC_VGPRS)
	s_endpgm
	.section	.rodata,"a",@progbits
	.p2align	6, 0x0
	.amdhsa_kernel _ZN9rocsparseL18bsrxmvn_4x4_kernelILj128ELj32EdlidddEEvT3_20rocsparse_direction_NS_24const_host_device_scalarIT1_EES1_PKS1_PKT2_SA_S7_PKT4_PKT5_S5_PT6_21rocsparse_index_base_b
		.amdhsa_group_segment_fixed_size 0
		.amdhsa_private_segment_fixed_size 0
		.amdhsa_kernarg_size 96
		.amdhsa_user_sgpr_count 2
		.amdhsa_user_sgpr_dispatch_ptr 0
		.amdhsa_user_sgpr_queue_ptr 0
		.amdhsa_user_sgpr_kernarg_segment_ptr 1
		.amdhsa_user_sgpr_dispatch_id 0
		.amdhsa_user_sgpr_kernarg_preload_length 0
		.amdhsa_user_sgpr_kernarg_preload_offset 0
		.amdhsa_user_sgpr_private_segment_size 0
		.amdhsa_wavefront_size32 1
		.amdhsa_uses_dynamic_stack 0
		.amdhsa_enable_private_segment 0
		.amdhsa_system_sgpr_workgroup_id_x 1
		.amdhsa_system_sgpr_workgroup_id_y 0
		.amdhsa_system_sgpr_workgroup_id_z 0
		.amdhsa_system_sgpr_workgroup_info 0
		.amdhsa_system_vgpr_workitem_id 0
		.amdhsa_next_free_vgpr 140
		.amdhsa_next_free_sgpr 14
		.amdhsa_named_barrier_count 0
		.amdhsa_reserve_vcc 1
		.amdhsa_float_round_mode_32 0
		.amdhsa_float_round_mode_16_64 0
		.amdhsa_float_denorm_mode_32 3
		.amdhsa_float_denorm_mode_16_64 3
		.amdhsa_fp16_overflow 0
		.amdhsa_memory_ordered 1
		.amdhsa_forward_progress 1
		.amdhsa_inst_pref_size 38
		.amdhsa_round_robin_scheduling 0
		.amdhsa_exception_fp_ieee_invalid_op 0
		.amdhsa_exception_fp_denorm_src 0
		.amdhsa_exception_fp_ieee_div_zero 0
		.amdhsa_exception_fp_ieee_overflow 0
		.amdhsa_exception_fp_ieee_underflow 0
		.amdhsa_exception_fp_ieee_inexact 0
		.amdhsa_exception_int_div_zero 0
	.end_amdhsa_kernel
	.section	.text._ZN9rocsparseL18bsrxmvn_4x4_kernelILj128ELj32EdlidddEEvT3_20rocsparse_direction_NS_24const_host_device_scalarIT1_EES1_PKS1_PKT2_SA_S7_PKT4_PKT5_S5_PT6_21rocsparse_index_base_b,"axG",@progbits,_ZN9rocsparseL18bsrxmvn_4x4_kernelILj128ELj32EdlidddEEvT3_20rocsparse_direction_NS_24const_host_device_scalarIT1_EES1_PKS1_PKT2_SA_S7_PKT4_PKT5_S5_PT6_21rocsparse_index_base_b,comdat
.Lfunc_end28:
	.size	_ZN9rocsparseL18bsrxmvn_4x4_kernelILj128ELj32EdlidddEEvT3_20rocsparse_direction_NS_24const_host_device_scalarIT1_EES1_PKS1_PKT2_SA_S7_PKT4_PKT5_S5_PT6_21rocsparse_index_base_b, .Lfunc_end28-_ZN9rocsparseL18bsrxmvn_4x4_kernelILj128ELj32EdlidddEEvT3_20rocsparse_direction_NS_24const_host_device_scalarIT1_EES1_PKS1_PKT2_SA_S7_PKT4_PKT5_S5_PT6_21rocsparse_index_base_b
                                        ; -- End function
	.set _ZN9rocsparseL18bsrxmvn_4x4_kernelILj128ELj32EdlidddEEvT3_20rocsparse_direction_NS_24const_host_device_scalarIT1_EES1_PKS1_PKT2_SA_S7_PKT4_PKT5_S5_PT6_21rocsparse_index_base_b.num_vgpr, 140
	.set _ZN9rocsparseL18bsrxmvn_4x4_kernelILj128ELj32EdlidddEEvT3_20rocsparse_direction_NS_24const_host_device_scalarIT1_EES1_PKS1_PKT2_SA_S7_PKT4_PKT5_S5_PT6_21rocsparse_index_base_b.num_agpr, 0
	.set _ZN9rocsparseL18bsrxmvn_4x4_kernelILj128ELj32EdlidddEEvT3_20rocsparse_direction_NS_24const_host_device_scalarIT1_EES1_PKS1_PKT2_SA_S7_PKT4_PKT5_S5_PT6_21rocsparse_index_base_b.numbered_sgpr, 14
	.set _ZN9rocsparseL18bsrxmvn_4x4_kernelILj128ELj32EdlidddEEvT3_20rocsparse_direction_NS_24const_host_device_scalarIT1_EES1_PKS1_PKT2_SA_S7_PKT4_PKT5_S5_PT6_21rocsparse_index_base_b.num_named_barrier, 0
	.set _ZN9rocsparseL18bsrxmvn_4x4_kernelILj128ELj32EdlidddEEvT3_20rocsparse_direction_NS_24const_host_device_scalarIT1_EES1_PKS1_PKT2_SA_S7_PKT4_PKT5_S5_PT6_21rocsparse_index_base_b.private_seg_size, 0
	.set _ZN9rocsparseL18bsrxmvn_4x4_kernelILj128ELj32EdlidddEEvT3_20rocsparse_direction_NS_24const_host_device_scalarIT1_EES1_PKS1_PKT2_SA_S7_PKT4_PKT5_S5_PT6_21rocsparse_index_base_b.uses_vcc, 1
	.set _ZN9rocsparseL18bsrxmvn_4x4_kernelILj128ELj32EdlidddEEvT3_20rocsparse_direction_NS_24const_host_device_scalarIT1_EES1_PKS1_PKT2_SA_S7_PKT4_PKT5_S5_PT6_21rocsparse_index_base_b.uses_flat_scratch, 0
	.set _ZN9rocsparseL18bsrxmvn_4x4_kernelILj128ELj32EdlidddEEvT3_20rocsparse_direction_NS_24const_host_device_scalarIT1_EES1_PKS1_PKT2_SA_S7_PKT4_PKT5_S5_PT6_21rocsparse_index_base_b.has_dyn_sized_stack, 0
	.set _ZN9rocsparseL18bsrxmvn_4x4_kernelILj128ELj32EdlidddEEvT3_20rocsparse_direction_NS_24const_host_device_scalarIT1_EES1_PKS1_PKT2_SA_S7_PKT4_PKT5_S5_PT6_21rocsparse_index_base_b.has_recursion, 0
	.set _ZN9rocsparseL18bsrxmvn_4x4_kernelILj128ELj32EdlidddEEvT3_20rocsparse_direction_NS_24const_host_device_scalarIT1_EES1_PKS1_PKT2_SA_S7_PKT4_PKT5_S5_PT6_21rocsparse_index_base_b.has_indirect_call, 0
	.section	.AMDGPU.csdata,"",@progbits
; Kernel info:
; codeLenInByte = 4808
; TotalNumSgprs: 16
; NumVgprs: 140
; ScratchSize: 0
; MemoryBound: 1
; FloatMode: 240
; IeeeMode: 1
; LDSByteSize: 0 bytes/workgroup (compile time only)
; SGPRBlocks: 0
; VGPRBlocks: 8
; NumSGPRsForWavesPerEU: 16
; NumVGPRsForWavesPerEU: 140
; NamedBarCnt: 0
; Occupancy: 7
; WaveLimiterHint : 1
; COMPUTE_PGM_RSRC2:SCRATCH_EN: 0
; COMPUTE_PGM_RSRC2:USER_SGPR: 2
; COMPUTE_PGM_RSRC2:TRAP_HANDLER: 0
; COMPUTE_PGM_RSRC2:TGID_X_EN: 1
; COMPUTE_PGM_RSRC2:TGID_Y_EN: 0
; COMPUTE_PGM_RSRC2:TGID_Z_EN: 0
; COMPUTE_PGM_RSRC2:TIDIG_COMP_CNT: 0
	.section	.text._ZN9rocsparseL18bsrxmvn_4x4_kernelILj128ELj64EdlidddEEvT3_20rocsparse_direction_NS_24const_host_device_scalarIT1_EES1_PKS1_PKT2_SA_S7_PKT4_PKT5_S5_PT6_21rocsparse_index_base_b,"axG",@progbits,_ZN9rocsparseL18bsrxmvn_4x4_kernelILj128ELj64EdlidddEEvT3_20rocsparse_direction_NS_24const_host_device_scalarIT1_EES1_PKS1_PKT2_SA_S7_PKT4_PKT5_S5_PT6_21rocsparse_index_base_b,comdat
	.globl	_ZN9rocsparseL18bsrxmvn_4x4_kernelILj128ELj64EdlidddEEvT3_20rocsparse_direction_NS_24const_host_device_scalarIT1_EES1_PKS1_PKT2_SA_S7_PKT4_PKT5_S5_PT6_21rocsparse_index_base_b ; -- Begin function _ZN9rocsparseL18bsrxmvn_4x4_kernelILj128ELj64EdlidddEEvT3_20rocsparse_direction_NS_24const_host_device_scalarIT1_EES1_PKS1_PKT2_SA_S7_PKT4_PKT5_S5_PT6_21rocsparse_index_base_b
	.p2align	8
	.type	_ZN9rocsparseL18bsrxmvn_4x4_kernelILj128ELj64EdlidddEEvT3_20rocsparse_direction_NS_24const_host_device_scalarIT1_EES1_PKS1_PKT2_SA_S7_PKT4_PKT5_S5_PT6_21rocsparse_index_base_b,@function
_ZN9rocsparseL18bsrxmvn_4x4_kernelILj128ELj64EdlidddEEvT3_20rocsparse_direction_NS_24const_host_device_scalarIT1_EES1_PKS1_PKT2_SA_S7_PKT4_PKT5_S5_PT6_21rocsparse_index_base_b: ; @_ZN9rocsparseL18bsrxmvn_4x4_kernelILj128ELj64EdlidddEEvT3_20rocsparse_direction_NS_24const_host_device_scalarIT1_EES1_PKS1_PKT2_SA_S7_PKT4_PKT5_S5_PT6_21rocsparse_index_base_b
; %bb.0:
	s_clause 0x2
	s_load_b64 s[12:13], s[0:1], 0x58
	s_load_b64 s[4:5], s[0:1], 0x8
	;; [unrolled: 1-line block ×3, first 2 shown]
	s_wait_kmcnt 0x0
	s_bitcmp1_b32 s13, 0
	v_mov_b64_e32 v[2:3], s[4:5]
	s_cselect_b32 s6, -1, 0
	s_delay_alu instid0(SALU_CYCLE_1)
	s_and_b32 vcc_lo, exec_lo, s6
	s_xor_b32 s6, s6, -1
	s_cbranch_vccnz .LBB29_2
; %bb.1:
	v_mov_b32_e32 v1, 0
	flat_load_b64 v[2:3], v1, s[4:5]
.LBB29_2:
	v_mov_b64_e32 v[8:9], s[2:3]
	s_and_not1_b32 vcc_lo, exec_lo, s6
	s_cbranch_vccnz .LBB29_4
; %bb.3:
	s_wait_xcnt 0x0
	v_mov_b32_e32 v1, 0
	flat_load_b64 v[8:9], v1, s[2:3]
.LBB29_4:
	s_wait_loadcnt_dscnt 0x0
	v_cmp_neq_f64_e32 vcc_lo, 0, v[2:3]
	s_delay_alu instid0(VALU_DEP_2) | instskip(SKIP_1) | instid1(SALU_CYCLE_1)
	v_cmp_neq_f64_e64 s2, 1.0, v[8:9]
	s_or_b32 s2, vcc_lo, s2
	s_and_saveexec_b32 s3, s2
	s_cbranch_execz .LBB29_10
; %bb.5:
	s_clause 0x1
	s_load_b64 s[4:5], s[0:1], 0x18
	s_load_b64 s[2:3], s[0:1], 0x0
	s_bfe_u32 s6, ttmp6, 0x4000c
	s_and_b32 s7, ttmp6, 15
	s_add_co_i32 s6, s6, 1
	s_getreg_b32 s8, hwreg(HW_REG_IB_STS2, 6, 4)
	s_mul_i32 s6, ttmp9, s6
	v_lshrrev_b32_e32 v1, 6, v0
	s_add_co_i32 s7, s7, s6
	s_cmp_eq_u32 s8, 0
	s_cselect_b32 s6, ttmp9, s7
	s_delay_alu instid0(VALU_DEP_1) | instid1(SALU_CYCLE_1)
	v_lshl_or_b32 v10, s6, 1, v1
	s_mov_b32 s6, 0
	s_wait_kmcnt 0x0
	s_cmp_lg_u64 s[4:5], 0
	s_cbranch_scc0 .LBB29_11
; %bb.6:
	s_load_b32 s6, s[0:1], 0x10
	s_mov_b32 s7, 0
                                        ; implicit-def: $vgpr1
	s_wait_kmcnt 0x0
	v_cmp_gt_i32_e32 vcc_lo, s6, v10
	s_mov_b32 s6, 0
	s_and_saveexec_b32 s8, vcc_lo
	s_delay_alu instid0(SALU_CYCLE_1)
	s_xor_b32 s8, exec_lo, s8
	s_cbranch_execz .LBB29_8
; %bb.7:
	global_load_b32 v1, v10, s[4:5] scale_offset
	s_mov_b32 s6, exec_lo
	s_wait_loadcnt 0x0
	v_subrev_nc_u32_e32 v1, s12, v1
.LBB29_8:
	s_or_b32 exec_lo, exec_lo, s8
	s_delay_alu instid0(SALU_CYCLE_1)
	s_and_b32 vcc_lo, exec_lo, s7
	s_cbranch_vccz .LBB29_12
.LBB29_9:
	v_cmp_gt_i32_e32 vcc_lo, s2, v10
	s_and_not1_b32 s2, s6, exec_lo
	s_and_b32 s4, vcc_lo, exec_lo
	s_delay_alu instid0(SALU_CYCLE_1) | instskip(NEXT) | instid1(SALU_CYCLE_1)
	s_or_b32 s6, s2, s4
	s_and_b32 exec_lo, exec_lo, s6
	s_cbranch_execnz .LBB29_13
.LBB29_10:
	s_sendmsg sendmsg(MSG_DEALLOC_VGPRS)
	s_endpgm
.LBB29_11:
                                        ; implicit-def: $vgpr1
	s_cbranch_execnz .LBB29_9
.LBB29_12:
	s_delay_alu instid0(VALU_DEP_1)
	v_mov_b32_e32 v10, v1
	s_and_b32 exec_lo, exec_lo, s6
	s_cbranch_execz .LBB29_10
.LBB29_13:
	s_load_b256 s[4:11], s[0:1], 0x20
	s_mov_b32 s13, 0
	v_dual_mov_b32 v1, 0 :: v_dual_bitop2_b32 v0, 63, v0 bitop3:0x40
	s_wait_kmcnt 0x0
	s_cmp_eq_u64 s[6:7], 0
	global_load_b64 v[22:23], v10, s[4:5] scale_offset
	s_cselect_b32 vcc_lo, -1, 0
	v_ashrrev_i32_e32 v11, 31, v10
	s_cmp_eq_u32 s3, 1
	s_delay_alu instid0(VALU_DEP_1) | instskip(NEXT) | instid1(VALU_DEP_1)
	v_lshlrev_b64_e32 v[4:5], 3, v[10:11]
	v_add_nc_u64_e32 v[6:7], s[4:5], v[4:5]
	v_add_nc_u64_e32 v[4:5], s[6:7], v[4:5]
	s_wait_xcnt 0x0
	s_load_b64 s[4:5], s[0:1], 0x40
	s_delay_alu instid0(VALU_DEP_2) | instskip(NEXT) | instid1(VALU_DEP_1)
	v_add_nc_u64_e32 v[6:7], 8, v[6:7]
	v_dual_cndmask_b32 v5, v5, v7 :: v_dual_cndmask_b32 v4, v4, v6
	global_load_b64 v[4:5], v[4:5], off
	s_wait_loadcnt 0x1
	v_sub_nc_u64_e64 v[6:7], v[22:23], s[12:13]
	s_delay_alu instid0(VALU_DEP_1) | instskip(NEXT) | instid1(VALU_DEP_1)
	v_add_nc_u64_e32 v[16:17], v[6:7], v[0:1]
	v_lshlrev_b64_e32 v[6:7], 7, v[16:17]
	s_delay_alu instid0(VALU_DEP_1) | instskip(SKIP_2) | instid1(VALU_DEP_1)
	v_add_nc_u64_e32 v[20:21], s[10:11], v[6:7]
	s_wait_loadcnt 0x0
	v_sub_nc_u64_e64 v[18:19], v[4:5], s[12:13]
	v_cmp_lt_i64_e64 s2, v[16:17], v[18:19]
	s_cbranch_scc1 .LBB29_25
; %bb.14:
	v_mov_b64_e32 v[4:5], 0
	v_mov_b64_e32 v[6:7], 0
	;; [unrolled: 1-line block ×4, first 2 shown]
	s_and_saveexec_b32 s3, s2
	s_cbranch_execz .LBB29_24
; %bb.15:
	v_dual_mov_b32 v5, v1 :: v_dual_bitop2_b32 v4, 64, v0 bitop3:0x54
	v_sub_nc_u64_e32 v[6:7], s[12:13], v[0:1]
	v_not_b32_e32 v13, v23
	v_not_b32_e32 v12, v22
	v_mov_b64_e32 v[14:15], 0
	v_sub_nc_u64_e64 v[4:5], v[4:5], s[12:13]
	v_mov_b64_e32 v[24:25], v[16:17]
	v_mov_b64_e32 v[26:27], v[20:21]
	v_add_nc_u64_e32 v[6:7], v[6:7], v[12:13]
	v_mov_b64_e32 v[12:13], 0
	v_mov_b32_e32 v33, 0
	s_mov_b32 s6, exec_lo
	v_add_nc_u64_e32 v[4:5], v[4:5], v[22:23]
	s_delay_alu instid0(VALU_DEP_1) | instskip(NEXT) | instid1(VALU_DEP_1)
	v_max_i64 v[4:5], v[4:5], v[18:19]
	v_add_nc_u64_e32 v[28:29], v[6:7], v[4:5]
	v_mov_b64_e32 v[6:7], 0
	v_mov_b64_e32 v[4:5], 0
	s_delay_alu instid0(VALU_DEP_3) | instskip(NEXT) | instid1(VALU_DEP_1)
	v_and_b32_e32 v32, 0xc0, v28
	v_cmpx_ne_u64_e32 0xc0, v[32:33]
	s_cbranch_execz .LBB29_19
; %bb.16:
	v_lshrrev_b32_e32 v4, 6, v28
	v_mov_b64_e32 v[6:7], 0
	v_mov_b64_e32 v[14:15], 0
	;; [unrolled: 1-line block ×4, first 2 shown]
	v_add_nc_u32_e32 v4, 1, v4
	v_mov_b64_e32 v[24:25], v[16:17]
	v_lshl_add_u64 v[30:31], v[16:17], 2, s[8:9]
	s_mov_b32 s7, 0
	s_delay_alu instid0(VALU_DEP_3) | instskip(SKIP_1) | instid1(VALU_DEP_2)
	v_and_b32_e32 v32, 3, v4
	v_mov_b64_e32 v[4:5], 0
	v_sub_nc_u64_e32 v[32:33], 0, v[32:33]
.LBB29_17:                              ; =>This Inner Loop Header: Depth=1
	global_load_b32 v11, v[30:31], off
	s_clause 0x6
	global_load_b128 v[34:37], v[26:27], off offset:48
	global_load_b128 v[38:41], v[26:27], off offset:32
	;; [unrolled: 1-line block ×3, first 2 shown]
	global_load_b128 v[46:49], v[26:27], off
	global_load_b128 v[54:57], v[26:27], off offset:96
	global_load_b128 v[58:61], v[26:27], off offset:80
	;; [unrolled: 1-line block ×3, first 2 shown]
	v_add_nc_u64_e32 v[32:33], 1, v[32:33]
	v_add_nc_u64_e32 v[24:25], 64, v[24:25]
	s_wait_xcnt 0x7
	v_add_nc_u64_e32 v[30:31], 0x100, v[30:31]
	s_delay_alu instid0(VALU_DEP_3) | instskip(SKIP_3) | instid1(VALU_DEP_1)
	v_cmp_eq_u64_e32 vcc_lo, 0, v[32:33]
	s_or_b32 s7, vcc_lo, s7
	s_wait_loadcnt 0x7
	v_subrev_nc_u32_e32 v11, s12, v11
	v_lshlrev_b32_e32 v62, 2, v11
	s_delay_alu instid0(VALU_DEP_1) | instskip(SKIP_1) | instid1(VALU_DEP_1)
	v_ashrrev_i32_e32 v63, 31, v62
	s_wait_kmcnt 0x0
	v_lshl_add_u64 v[74:75], v[62:63], 3, s[4:5]
	global_load_b128 v[62:65], v[26:27], off offset:64
	s_clause 0x1
	global_load_b128 v[66:69], v[74:75], off
	global_load_b128 v[70:73], v[74:75], off offset:16
	s_wait_xcnt 0x2
	v_add_nc_u64_e32 v[26:27], 0x2000, v[26:27]
	s_wait_loadcnt 0x1
	v_fmac_f64_e32 v[12:13], v[46:47], v[66:67]
	v_fmac_f64_e32 v[14:15], v[38:39], v[66:67]
	;; [unrolled: 1-line block ×4, first 2 shown]
	s_delay_alu instid0(VALU_DEP_4) | instskip(NEXT) | instid1(VALU_DEP_4)
	v_fmac_f64_e32 v[12:13], v[48:49], v[68:69]
	v_fmac_f64_e32 v[14:15], v[40:41], v[68:69]
	s_delay_alu instid0(VALU_DEP_4) | instskip(NEXT) | instid1(VALU_DEP_4)
	v_fmac_f64_e32 v[6:7], v[64:65], v[68:69]
	v_fmac_f64_e32 v[4:5], v[56:57], v[68:69]
	s_wait_loadcnt 0x0
	s_delay_alu instid0(VALU_DEP_4) | instskip(NEXT) | instid1(VALU_DEP_4)
	v_fmac_f64_e32 v[12:13], v[42:43], v[70:71]
	v_fmac_f64_e32 v[14:15], v[34:35], v[70:71]
	s_delay_alu instid0(VALU_DEP_4) | instskip(NEXT) | instid1(VALU_DEP_4)
	v_fmac_f64_e32 v[6:7], v[58:59], v[70:71]
	v_fmac_f64_e32 v[4:5], v[50:51], v[70:71]
	;; [unrolled: 3-line block ×4, first 2 shown]
	s_and_not1_b32 exec_lo, exec_lo, s7
	s_cbranch_execnz .LBB29_17
; %bb.18:
	s_or_b32 exec_lo, exec_lo, s7
.LBB29_19:
	s_delay_alu instid0(SALU_CYCLE_1) | instskip(NEXT) | instid1(SALU_CYCLE_1)
	s_or_b32 exec_lo, exec_lo, s6
	s_mov_b32 s6, exec_lo
	v_cmpx_lt_u64_e32 0xbf, v[28:29]
	s_cbranch_execz .LBB29_23
; %bb.20:
	v_lshl_add_u64 v[28:29], v[24:25], 2, s[8:9]
	s_mov_b32 s7, 0
	s_delay_alu instid0(VALU_DEP_1)
	v_add_nc_u64_e32 v[28:29], 0x200, v[28:29]
.LBB29_21:                              ; =>This Inner Loop Header: Depth=1
	global_load_b32 v11, v[28:29], off offset:-512
	s_clause 0xf
	global_load_b128 v[30:33], v[26:27], off offset:48
	global_load_b128 v[34:37], v[26:27], off offset:32
	;; [unrolled: 1-line block ×3, first 2 shown]
	global_load_b128 v[42:45], v[26:27], off
	global_load_b128 v[46:49], v[26:27], off offset:112
	global_load_b128 v[50:53], v[26:27], off offset:96
	;; [unrolled: 1-line block ×12, first 2 shown]
	s_clause 0x2
	global_load_b32 v136, v[28:29], off offset:-256
	global_load_b32 v137, v[28:29], off
	global_load_b32 v138, v[28:29], off offset:256
	s_clause 0x7
	global_load_b128 v[94:97], v[26:27], off offset:16432
	global_load_b128 v[98:101], v[26:27], off offset:16416
	;; [unrolled: 1-line block ×8, first 2 shown]
	v_add_nc_u64_e32 v[24:25], 0x100, v[24:25]
	s_wait_xcnt 0x8
	v_add_nc_u64_e32 v[28:29], 0x400, v[28:29]
	s_delay_alu instid0(VALU_DEP_2) | instskip(SKIP_3) | instid1(VALU_DEP_1)
	v_cmp_ge_i64_e32 vcc_lo, v[24:25], v[18:19]
	s_or_b32 s7, vcc_lo, s7
	s_wait_loadcnt 0x1b
	v_subrev_nc_u32_e32 v11, s12, v11
	v_lshlrev_b32_e32 v126, 2, v11
	s_delay_alu instid0(VALU_DEP_1) | instskip(SKIP_1) | instid1(VALU_DEP_1)
	v_ashrrev_i32_e32 v127, 31, v126
	s_wait_kmcnt 0x0
	v_lshl_add_u64 v[134:135], v[126:127], 3, s[4:5]
	s_clause 0x1
	global_load_b128 v[126:129], v[134:135], off
	global_load_b128 v[130:133], v[134:135], off offset:16
	s_wait_loadcnt 0xc
	v_subrev_nc_u32_e32 v11, s12, v136
	s_wait_xcnt 0x0
	s_delay_alu instid0(VALU_DEP_1)
	v_lshlrev_b32_e32 v134, 2, v11
	s_wait_loadcnt 0xb
	v_subrev_nc_u32_e32 v11, s12, v137
	s_wait_loadcnt 0x1
	v_fmac_f64_e32 v[14:15], v[34:35], v[126:127]
	v_fmac_f64_e32 v[12:13], v[42:43], v[126:127]
	;; [unrolled: 1-line block ×4, first 2 shown]
	v_lshlrev_b32_e32 v126, 2, v11
	v_subrev_nc_u32_e32 v11, s12, v138
	v_ashrrev_i32_e32 v135, 31, v134
	s_delay_alu instid0(VALU_DEP_3) | instskip(NEXT) | instid1(VALU_DEP_2)
	v_ashrrev_i32_e32 v127, 31, v126
	v_lshl_add_u64 v[134:135], v[134:135], 3, s[4:5]
	s_delay_alu instid0(VALU_DEP_2)
	v_lshl_add_u64 v[136:137], v[126:127], 3, s[4:5]
	v_fmac_f64_e32 v[14:15], v[36:37], v[128:129]
	global_load_b128 v[34:37], v[134:135], off
	v_fmac_f64_e32 v[12:13], v[44:45], v[128:129]
	v_fmac_f64_e32 v[6:7], v[60:61], v[128:129]
	v_fmac_f64_e32 v[4:5], v[52:53], v[128:129]
	global_load_b128 v[126:129], v[134:135], off offset:16
	s_wait_xcnt 0x0
	v_lshlrev_b32_e32 v134, 2, v11
	s_clause 0x2
	global_load_b128 v[42:45], v[26:27], off offset:24624
	global_load_b128 v[58:61], v[26:27], off offset:24608
	;; [unrolled: 1-line block ×3, first 2 shown]
	v_ashrrev_i32_e32 v135, 31, v134
	s_delay_alu instid0(VALU_DEP_1)
	v_lshl_add_u64 v[138:139], v[134:135], 3, s[4:5]
	s_wait_loadcnt 0x5
	v_fmac_f64_e32 v[14:15], v[30:31], v[130:131]
	v_fmac_f64_e32 v[12:13], v[38:39], v[130:131]
	;; [unrolled: 1-line block ×4, first 2 shown]
	s_delay_alu instid0(VALU_DEP_4)
	v_fmac_f64_e32 v[14:15], v[32:33], v[132:133]
	global_load_b128 v[30:33], v[26:27], off offset:24576
	v_fmac_f64_e32 v[12:13], v[40:41], v[132:133]
	global_load_b128 v[38:41], v[136:137], off
	v_fmac_f64_e32 v[6:7], v[56:57], v[132:133]
	global_load_b128 v[54:57], v[136:137], off offset:16
	v_fmac_f64_e32 v[4:5], v[48:49], v[132:133]
	s_clause 0x1
	global_load_b128 v[46:49], v[26:27], off offset:24672
	global_load_b128 v[130:133], v[26:27], off offset:24640
	s_wait_loadcnt 0x9
	v_fmac_f64_e32 v[12:13], v[74:75], v[34:35]
	v_fmac_f64_e32 v[14:15], v[66:67], v[34:35]
	;; [unrolled: 1-line block ×4, first 2 shown]
	s_delay_alu instid0(VALU_DEP_4)
	v_fmac_f64_e32 v[12:13], v[76:77], v[36:37]
	global_load_b128 v[74:77], v[138:139], off
	v_fmac_f64_e32 v[14:15], v[68:69], v[36:37]
	global_load_b128 v[66:69], v[26:27], off offset:24688
	v_fmac_f64_e32 v[6:7], v[92:93], v[36:37]
	global_load_b128 v[90:93], v[26:27], off offset:24656
	global_load_b128 v[134:137], v[138:139], off offset:16
	v_fmac_f64_e32 v[4:5], v[84:85], v[36:37]
	s_wait_xcnt 0x1
	v_add_nc_u64_e32 v[26:27], 0x8000, v[26:27]
	s_wait_loadcnt 0xc
	v_fmac_f64_e32 v[12:13], v[70:71], v[126:127]
	v_fmac_f64_e32 v[14:15], v[62:63], v[126:127]
	;; [unrolled: 1-line block ×4, first 2 shown]
	s_delay_alu instid0(VALU_DEP_4) | instskip(NEXT) | instid1(VALU_DEP_4)
	v_fmac_f64_e32 v[12:13], v[72:73], v[128:129]
	v_fmac_f64_e32 v[14:15], v[64:65], v[128:129]
	s_delay_alu instid0(VALU_DEP_4) | instskip(NEXT) | instid1(VALU_DEP_4)
	v_fmac_f64_e32 v[6:7], v[88:89], v[128:129]
	v_fmac_f64_e32 v[4:5], v[80:81], v[128:129]
	s_wait_loadcnt 0x7
	s_delay_alu instid0(VALU_DEP_4) | instskip(NEXT) | instid1(VALU_DEP_4)
	v_fmac_f64_e32 v[12:13], v[106:107], v[38:39]
	v_fmac_f64_e32 v[14:15], v[98:99], v[38:39]
	s_delay_alu instid0(VALU_DEP_4) | instskip(NEXT) | instid1(VALU_DEP_4)
	v_fmac_f64_e32 v[6:7], v[122:123], v[38:39]
	v_fmac_f64_e32 v[4:5], v[114:115], v[38:39]
	s_delay_alu instid0(VALU_DEP_4) | instskip(NEXT) | instid1(VALU_DEP_4)
	v_fmac_f64_e32 v[12:13], v[108:109], v[40:41]
	v_fmac_f64_e32 v[14:15], v[100:101], v[40:41]
	s_delay_alu instid0(VALU_DEP_4) | instskip(NEXT) | instid1(VALU_DEP_4)
	v_fmac_f64_e32 v[6:7], v[124:125], v[40:41]
	v_fmac_f64_e32 v[4:5], v[116:117], v[40:41]
	s_wait_loadcnt 0x6
	s_delay_alu instid0(VALU_DEP_4) | instskip(NEXT) | instid1(VALU_DEP_4)
	v_fmac_f64_e32 v[12:13], v[102:103], v[54:55]
	v_fmac_f64_e32 v[14:15], v[94:95], v[54:55]
	s_delay_alu instid0(VALU_DEP_4) | instskip(NEXT) | instid1(VALU_DEP_4)
	v_fmac_f64_e32 v[6:7], v[118:119], v[54:55]
	v_fmac_f64_e32 v[4:5], v[110:111], v[54:55]
	;; [unrolled: 13-line block ×4, first 2 shown]
	s_delay_alu instid0(VALU_DEP_4) | instskip(NEXT) | instid1(VALU_DEP_4)
	v_fmac_f64_e32 v[12:13], v[52:53], v[136:137]
	v_fmac_f64_e32 v[14:15], v[44:45], v[136:137]
	s_delay_alu instid0(VALU_DEP_4) | instskip(NEXT) | instid1(VALU_DEP_4)
	v_fmac_f64_e32 v[6:7], v[92:93], v[136:137]
	v_fmac_f64_e32 v[4:5], v[68:69], v[136:137]
	s_and_not1_b32 exec_lo, exec_lo, s7
	s_cbranch_execnz .LBB29_21
; %bb.22:
	s_or_b32 exec_lo, exec_lo, s7
.LBB29_23:
	s_delay_alu instid0(SALU_CYCLE_1)
	s_or_b32 exec_lo, exec_lo, s6
.LBB29_24:
	s_delay_alu instid0(SALU_CYCLE_1)
	s_or_b32 exec_lo, exec_lo, s3
	s_cbranch_execz .LBB29_26
	s_branch .LBB29_37
.LBB29_25:
                                        ; implicit-def: $vgpr4_vgpr5
                                        ; implicit-def: $vgpr6_vgpr7
                                        ; implicit-def: $vgpr14_vgpr15
                                        ; implicit-def: $vgpr12_vgpr13
.LBB29_26:
	v_mov_b64_e32 v[4:5], 0
	v_mov_b64_e32 v[6:7], 0
	;; [unrolled: 1-line block ×4, first 2 shown]
	s_and_saveexec_b32 s3, s2
	s_cbranch_execz .LBB29_36
; %bb.27:
	v_dual_mov_b32 v5, v1 :: v_dual_bitop2_b32 v4, 64, v0 bitop3:0x54
	v_sub_nc_u64_e32 v[6:7], s[12:13], v[0:1]
	v_not_b32_e32 v13, v23
	v_not_b32_e32 v12, v22
	v_mov_b64_e32 v[14:15], 0
	v_sub_nc_u64_e64 v[4:5], v[4:5], s[12:13]
	v_mov_b32_e32 v25, 0
	s_mov_b32 s2, exec_lo
	v_add_nc_u64_e32 v[6:7], v[6:7], v[12:13]
	v_mov_b64_e32 v[12:13], 0
	s_delay_alu instid0(VALU_DEP_4) | instskip(NEXT) | instid1(VALU_DEP_1)
	v_add_nc_u64_e32 v[4:5], v[4:5], v[22:23]
	v_max_i64 v[4:5], v[4:5], v[18:19]
	s_delay_alu instid0(VALU_DEP_1) | instskip(SKIP_2) | instid1(VALU_DEP_3)
	v_add_nc_u64_e32 v[22:23], v[6:7], v[4:5]
	v_mov_b64_e32 v[6:7], 0
	v_mov_b64_e32 v[4:5], 0
	v_and_b32_e32 v24, 0xc0, v22
	s_delay_alu instid0(VALU_DEP_1)
	v_cmpx_ne_u64_e32 0xc0, v[24:25]
	s_cbranch_execz .LBB29_31
; %bb.28:
	v_lshrrev_b32_e32 v1, 6, v22
	v_mov_b64_e32 v[4:5], 0
	v_mov_b64_e32 v[6:7], 0
	;; [unrolled: 1-line block ×4, first 2 shown]
	v_add_nc_u32_e32 v1, 1, v1
	v_lshl_add_u64 v[26:27], v[16:17], 2, s[8:9]
	s_mov_b32 s6, 0
	s_delay_alu instid0(VALU_DEP_2) | instskip(NEXT) | instid1(VALU_DEP_1)
	v_and_b32_e32 v24, 3, v1
	v_sub_nc_u64_e32 v[24:25], 0, v[24:25]
.LBB29_29:                              ; =>This Inner Loop Header: Depth=1
	global_load_b32 v1, v[26:27], off
	global_load_b128 v[28:31], v[20:21], off offset:16
	v_add_nc_u64_e32 v[24:25], 1, v[24:25]
	v_add_nc_u64_e32 v[16:17], 64, v[16:17]
	s_wait_xcnt 0x1
	v_add_nc_u64_e32 v[26:27], 0x100, v[26:27]
	s_delay_alu instid0(VALU_DEP_3) | instskip(SKIP_3) | instid1(VALU_DEP_1)
	v_cmp_eq_u64_e32 vcc_lo, 0, v[24:25]
	s_or_b32 s6, vcc_lo, s6
	s_wait_loadcnt 0x1
	v_subrev_nc_u32_e32 v1, s12, v1
	v_lshlrev_b32_e32 v32, 2, v1
	s_delay_alu instid0(VALU_DEP_1) | instskip(SKIP_1) | instid1(VALU_DEP_1)
	v_ashrrev_i32_e32 v33, 31, v32
	s_wait_kmcnt 0x0
	v_lshl_add_u64 v[68:69], v[32:33], 3, s[4:5]
	global_load_b128 v[32:35], v[20:21], off
	s_clause 0x1
	global_load_b128 v[36:39], v[68:69], off
	global_load_b128 v[40:43], v[68:69], off offset:16
	s_clause 0x5
	global_load_b128 v[44:47], v[20:21], off offset:32
	global_load_b128 v[48:51], v[20:21], off offset:48
	;; [unrolled: 1-line block ×6, first 2 shown]
	s_wait_xcnt 0x0
	v_add_nc_u64_e32 v[20:21], 0x2000, v[20:21]
	s_wait_loadcnt 0x7
	v_fmac_f64_e32 v[12:13], v[32:33], v[36:37]
	v_fmac_f64_e32 v[14:15], v[34:35], v[36:37]
	;; [unrolled: 1-line block ×4, first 2 shown]
	s_wait_loadcnt 0x5
	s_delay_alu instid0(VALU_DEP_4) | instskip(NEXT) | instid1(VALU_DEP_4)
	v_fmac_f64_e32 v[12:13], v[44:45], v[38:39]
	v_fmac_f64_e32 v[14:15], v[46:47], v[38:39]
	s_wait_loadcnt 0x4
	s_delay_alu instid0(VALU_DEP_4) | instskip(NEXT) | instid1(VALU_DEP_4)
	v_fmac_f64_e32 v[6:7], v[48:49], v[38:39]
	v_fmac_f64_e32 v[4:5], v[50:51], v[38:39]
	;; [unrolled: 4-line block ×6, first 2 shown]
	s_and_not1_b32 exec_lo, exec_lo, s6
	s_cbranch_execnz .LBB29_29
; %bb.30:
	s_or_b32 exec_lo, exec_lo, s6
.LBB29_31:
	s_delay_alu instid0(SALU_CYCLE_1) | instskip(NEXT) | instid1(SALU_CYCLE_1)
	s_or_b32 exec_lo, exec_lo, s2
	s_mov_b32 s2, exec_lo
	v_cmpx_lt_u64_e32 0xbf, v[22:23]
	s_cbranch_execz .LBB29_35
; %bb.32:
	v_lshl_add_u64 v[22:23], v[16:17], 2, s[8:9]
	s_mov_b32 s6, 0
	s_delay_alu instid0(VALU_DEP_1)
	v_add_nc_u64_e32 v[22:23], 0x200, v[22:23]
.LBB29_33:                              ; =>This Inner Loop Header: Depth=1
	s_clause 0x1
	global_load_b32 v1, v[22:23], off offset:-512
	global_load_b32 v11, v[22:23], off offset:-256
	s_clause 0xa
	global_load_b128 v[24:27], v[20:21], off offset:48
	global_load_b128 v[28:31], v[20:21], off offset:32
	;; [unrolled: 1-line block ×3, first 2 shown]
	global_load_b128 v[36:39], v[20:21], off
	global_load_b128 v[40:43], v[20:21], off offset:112
	global_load_b128 v[44:47], v[20:21], off offset:96
	;; [unrolled: 1-line block ×7, first 2 shown]
	s_clause 0x1
	global_load_b32 v108, v[22:23], off
	global_load_b32 v114, v[22:23], off offset:256
	v_add_nc_u64_e32 v[16:17], 0x100, v[16:17]
	s_wait_xcnt 0x0
	v_add_nc_u64_e32 v[22:23], 0x400, v[22:23]
	s_delay_alu instid0(VALU_DEP_2)
	v_cmp_ge_i64_e32 vcc_lo, v[16:17], v[18:19]
	s_or_b32 s6, vcc_lo, s6
	s_wait_loadcnt 0xe
	v_subrev_nc_u32_e32 v1, s12, v1
	s_wait_loadcnt 0xd
	v_subrev_nc_u32_e32 v11, s12, v11
	s_delay_alu instid0(VALU_DEP_1) | instskip(NEXT) | instid1(VALU_DEP_1)
	v_dual_lshlrev_b32 v68, 2, v1 :: v_dual_lshlrev_b32 v70, 2, v11
	v_dual_ashrrev_i32 v69, 31, v68 :: v_dual_ashrrev_i32 v71, 31, v70
	s_wait_loadcnt 0x1
	v_subrev_nc_u32_e32 v1, s12, v108
	s_wait_kmcnt 0x0
	s_delay_alu instid0(VALU_DEP_2)
	v_lshl_add_u64 v[104:105], v[68:69], 3, s[4:5]
	v_lshl_add_u64 v[106:107], v[70:71], 3, s[4:5]
	s_clause 0x2
	global_load_b128 v[68:71], v[104:105], off
	global_load_b128 v[72:75], v[104:105], off offset:16
	global_load_b128 v[76:79], v[106:107], off
	s_clause 0x2
	global_load_b128 v[80:83], v[20:21], off offset:8240
	global_load_b128 v[84:87], v[20:21], off offset:8272
	;; [unrolled: 1-line block ×4, first 2 shown]
	s_clause 0x1
	global_load_b128 v[96:99], v[20:21], off offset:8288
	global_load_b128 v[100:103], v[20:21], off offset:8304
	v_lshlrev_b32_e32 v112, 2, v1
	s_wait_loadcnt 0x9
	v_subrev_nc_u32_e32 v1, s12, v114
	s_clause 0x1
	global_load_b128 v[104:107], v[20:21], off offset:16400
	global_load_b128 v[108:111], v[20:21], off offset:16384
	v_ashrrev_i32_e32 v113, 31, v112
	s_delay_alu instid0(VALU_DEP_1)
	v_lshl_add_u64 v[112:113], v[112:113], 3, s[4:5]
	s_wait_loadcnt 0xa
	v_fmac_f64_e32 v[12:13], v[36:37], v[68:69]
	v_fmac_f64_e32 v[14:15], v[38:39], v[68:69]
	global_load_b128 v[36:39], v[112:113], off
	v_fmac_f64_e32 v[6:7], v[32:33], v[68:69]
	v_fmac_f64_e32 v[4:5], v[34:35], v[68:69]
	global_load_b128 v[32:35], v[20:21], off offset:16416
	v_fmac_f64_e32 v[12:13], v[28:29], v[70:71]
	v_fmac_f64_e32 v[14:15], v[30:31], v[70:71]
	global_load_b128 v[28:31], v[20:21], off offset:16432
	v_fmac_f64_e32 v[6:7], v[24:25], v[70:71]
	v_fmac_f64_e32 v[4:5], v[26:27], v[70:71]
	s_clause 0x1
	global_load_b128 v[24:27], v[20:21], off offset:16448
	global_load_b128 v[68:71], v[20:21], off offset:16464
	s_wait_loadcnt 0xe
	v_fmac_f64_e32 v[12:13], v[52:53], v[72:73]
	v_fmac_f64_e32 v[14:15], v[54:55], v[72:73]
	global_load_b128 v[52:55], v[112:113], off offset:16
	v_fmac_f64_e32 v[6:7], v[48:49], v[72:73]
	v_fmac_f64_e32 v[4:5], v[50:51], v[72:73]
	global_load_b128 v[48:51], v[20:21], off offset:16480
	s_wait_xcnt 0x1
	v_lshlrev_b32_e32 v112, 2, v1
	s_delay_alu instid0(VALU_DEP_1) | instskip(NEXT) | instid1(VALU_DEP_1)
	v_ashrrev_i32_e32 v113, 31, v112
	v_lshl_add_u64 v[116:117], v[112:113], 3, s[4:5]
	v_fmac_f64_e32 v[12:13], v[44:45], v[74:75]
	v_fmac_f64_e32 v[14:15], v[46:47], v[74:75]
	global_load_b128 v[44:47], v[20:21], off offset:16496
	v_fmac_f64_e32 v[6:7], v[40:41], v[74:75]
	v_fmac_f64_e32 v[4:5], v[42:43], v[74:75]
	s_clause 0x1
	global_load_b128 v[40:43], v[20:21], off offset:24592
	global_load_b128 v[72:75], v[20:21], off offset:24576
	s_wait_loadcnt 0x12
	v_fmac_f64_e32 v[12:13], v[64:65], v[76:77]
	v_fmac_f64_e32 v[14:15], v[66:67], v[76:77]
	global_load_b128 v[64:67], v[116:117], off
	v_fmac_f64_e32 v[6:7], v[60:61], v[76:77]
	v_fmac_f64_e32 v[4:5], v[62:63], v[76:77]
	global_load_b128 v[60:63], v[20:21], off offset:24608
	v_fmac_f64_e32 v[12:13], v[56:57], v[78:79]
	v_fmac_f64_e32 v[14:15], v[58:59], v[78:79]
	global_load_b128 v[56:59], v[20:21], off offset:24624
	s_wait_loadcnt 0x14
	v_fmac_f64_e32 v[6:7], v[80:81], v[78:79]
	v_fmac_f64_e32 v[4:5], v[82:83], v[78:79]
	s_clause 0x1
	global_load_b128 v[76:79], v[20:21], off offset:24640
	global_load_b128 v[80:83], v[20:21], off offset:24656
	;; [unrolled: 1-line block ×3, first 2 shown]
	s_wait_loadcnt 0x14
	v_fmac_f64_e32 v[12:13], v[88:89], v[92:93]
	v_fmac_f64_e32 v[14:15], v[90:91], v[92:93]
	global_load_b128 v[88:91], v[20:21], off offset:24672
	v_fmac_f64_e32 v[6:7], v[84:85], v[92:93]
	v_fmac_f64_e32 v[4:5], v[86:87], v[92:93]
	global_load_b128 v[84:87], v[20:21], off offset:24688
	s_wait_xcnt 0x0
	v_add_nc_u64_e32 v[20:21], 0x8000, v[20:21]
	s_wait_loadcnt 0x15
	v_fmac_f64_e32 v[12:13], v[96:97], v[94:95]
	v_fmac_f64_e32 v[14:15], v[98:99], v[94:95]
	s_wait_loadcnt 0x14
	v_fmac_f64_e32 v[6:7], v[100:101], v[94:95]
	v_fmac_f64_e32 v[4:5], v[102:103], v[94:95]
	s_wait_loadcnt 0x11
	s_delay_alu instid0(VALU_DEP_4) | instskip(NEXT) | instid1(VALU_DEP_4)
	v_fmac_f64_e32 v[12:13], v[108:109], v[36:37]
	v_fmac_f64_e32 v[14:15], v[110:111], v[36:37]
	s_delay_alu instid0(VALU_DEP_4) | instskip(NEXT) | instid1(VALU_DEP_4)
	v_fmac_f64_e32 v[6:7], v[104:105], v[36:37]
	v_fmac_f64_e32 v[4:5], v[106:107], v[36:37]
	s_wait_loadcnt 0x10
	s_delay_alu instid0(VALU_DEP_4) | instskip(NEXT) | instid1(VALU_DEP_4)
	v_fmac_f64_e32 v[12:13], v[32:33], v[38:39]
	v_fmac_f64_e32 v[14:15], v[34:35], v[38:39]
	s_wait_loadcnt 0xf
	s_delay_alu instid0(VALU_DEP_4) | instskip(NEXT) | instid1(VALU_DEP_4)
	v_fmac_f64_e32 v[6:7], v[28:29], v[38:39]
	v_fmac_f64_e32 v[4:5], v[30:31], v[38:39]
	s_wait_loadcnt 0xc
	s_delay_alu instid0(VALU_DEP_4) | instskip(NEXT) | instid1(VALU_DEP_4)
	v_fmac_f64_e32 v[12:13], v[24:25], v[52:53]
	v_fmac_f64_e32 v[14:15], v[26:27], v[52:53]
	s_delay_alu instid0(VALU_DEP_4) | instskip(NEXT) | instid1(VALU_DEP_4)
	v_fmac_f64_e32 v[6:7], v[68:69], v[52:53]
	v_fmac_f64_e32 v[4:5], v[70:71], v[52:53]
	s_wait_loadcnt 0xb
	s_delay_alu instid0(VALU_DEP_4) | instskip(NEXT) | instid1(VALU_DEP_4)
	v_fmac_f64_e32 v[12:13], v[48:49], v[54:55]
	v_fmac_f64_e32 v[14:15], v[50:51], v[54:55]
	s_wait_loadcnt 0xa
	s_delay_alu instid0(VALU_DEP_4) | instskip(NEXT) | instid1(VALU_DEP_4)
	;; [unrolled: 15-line block ×4, first 2 shown]
	v_fmac_f64_e32 v[6:7], v[84:85], v[114:115]
	v_fmac_f64_e32 v[4:5], v[86:87], v[114:115]
	s_and_not1_b32 exec_lo, exec_lo, s6
	s_cbranch_execnz .LBB29_33
; %bb.34:
	s_or_b32 exec_lo, exec_lo, s6
.LBB29_35:
	s_delay_alu instid0(SALU_CYCLE_1)
	s_or_b32 exec_lo, exec_lo, s2
.LBB29_36:
	s_delay_alu instid0(SALU_CYCLE_1)
	s_or_b32 exec_lo, exec_lo, s3
.LBB29_37:
	v_mbcnt_lo_u32_b32 v1, -1, 0
	s_delay_alu instid0(VALU_DEP_1) | instskip(NEXT) | instid1(VALU_DEP_1)
	v_or_b32_e32 v11, 32, v1
	v_cmp_gt_i32_e32 vcc_lo, 32, v11
	v_cndmask_b32_e32 v11, v1, v11, vcc_lo
	s_delay_alu instid0(VALU_DEP_1)
	v_lshlrev_b32_e32 v11, 2, v11
	ds_bpermute_b32 v16, v11, v12
	ds_bpermute_b32 v17, v11, v13
	s_wait_dscnt 0x0
	v_add_f64_e32 v[12:13], v[12:13], v[16:17]
	ds_bpermute_b32 v22, v11, v4
	ds_bpermute_b32 v23, v11, v5
	;; [unrolled: 1-line block ×6, first 2 shown]
	v_xor_b32_e32 v11, 16, v1
	s_delay_alu instid0(VALU_DEP_1)
	v_cmp_gt_i32_e32 vcc_lo, 32, v11
	s_wait_dscnt 0x4
	v_add_f64_e32 v[4:5], v[4:5], v[22:23]
	s_wait_dscnt 0x2
	v_add_f64_e32 v[14:15], v[14:15], v[18:19]
	s_wait_dscnt 0x0
	v_dual_add_f64 v[6:7], v[6:7], v[20:21] :: v_dual_cndmask_b32 v11, v1, v11, vcc_lo
	s_delay_alu instid0(VALU_DEP_1)
	v_lshlrev_b32_e32 v11, 2, v11
	ds_bpermute_b32 v16, v11, v12
	ds_bpermute_b32 v17, v11, v13
	s_wait_dscnt 0x0
	v_add_f64_e32 v[12:13], v[12:13], v[16:17]
	ds_bpermute_b32 v18, v11, v14
	ds_bpermute_b32 v19, v11, v15
	;; [unrolled: 1-line block ×6, first 2 shown]
	v_xor_b32_e32 v11, 8, v1
	s_delay_alu instid0(VALU_DEP_1)
	v_cmp_gt_i32_e32 vcc_lo, 32, v11
	s_wait_dscnt 0x4
	v_add_f64_e32 v[14:15], v[14:15], v[18:19]
	s_wait_dscnt 0x2
	v_dual_add_f64 v[6:7], v[6:7], v[20:21] :: v_dual_cndmask_b32 v11, v1, v11, vcc_lo
	s_wait_dscnt 0x0
	v_add_f64_e32 v[4:5], v[4:5], v[22:23]
	s_delay_alu instid0(VALU_DEP_2)
	v_lshlrev_b32_e32 v11, 2, v11
	ds_bpermute_b32 v16, v11, v12
	ds_bpermute_b32 v17, v11, v13
	s_wait_dscnt 0x0
	v_add_f64_e32 v[12:13], v[12:13], v[16:17]
	ds_bpermute_b32 v18, v11, v14
	ds_bpermute_b32 v19, v11, v15
	;; [unrolled: 1-line block ×6, first 2 shown]
	v_xor_b32_e32 v11, 4, v1
	s_delay_alu instid0(VALU_DEP_1)
	v_cmp_gt_i32_e32 vcc_lo, 32, v11
	s_wait_dscnt 0x4
	v_add_f64_e32 v[14:15], v[14:15], v[18:19]
	s_wait_dscnt 0x2
	v_dual_add_f64 v[6:7], v[6:7], v[20:21] :: v_dual_cndmask_b32 v11, v1, v11, vcc_lo
	s_wait_dscnt 0x0
	v_add_f64_e32 v[4:5], v[4:5], v[22:23]
	s_delay_alu instid0(VALU_DEP_2)
	v_lshlrev_b32_e32 v11, 2, v11
	ds_bpermute_b32 v16, v11, v12
	ds_bpermute_b32 v17, v11, v13
	s_wait_dscnt 0x0
	v_add_f64_e32 v[12:13], v[12:13], v[16:17]
	ds_bpermute_b32 v18, v11, v14
	ds_bpermute_b32 v19, v11, v15
	;; [unrolled: 1-line block ×6, first 2 shown]
	s_wait_dscnt 0x4
	v_add_f64_e32 v[16:17], v[14:15], v[18:19]
	s_wait_dscnt 0x2
	v_add_f64_e32 v[6:7], v[6:7], v[20:21]
	s_wait_dscnt 0x0
	v_dual_add_f64 v[18:19], v[4:5], v[22:23] :: v_dual_bitop2_b32 v4, 2, v1 bitop3:0x14
	s_delay_alu instid0(VALU_DEP_1) | instskip(SKIP_1) | instid1(VALU_DEP_1)
	v_cmp_gt_i32_e32 vcc_lo, 32, v4
	v_cndmask_b32_e32 v4, v1, v4, vcc_lo
	v_lshlrev_b32_e32 v11, 2, v4
	ds_bpermute_b32 v4, v11, v12
	ds_bpermute_b32 v5, v11, v13
	ds_bpermute_b32 v20, v11, v16
	ds_bpermute_b32 v21, v11, v17
	ds_bpermute_b32 v22, v11, v6
	ds_bpermute_b32 v23, v11, v7
	ds_bpermute_b32 v24, v11, v18
	ds_bpermute_b32 v25, v11, v19
	v_xor_b32_e32 v11, 1, v1
	s_delay_alu instid0(VALU_DEP_1)
	v_cmp_gt_i32_e32 vcc_lo, 32, v11
	s_wait_dscnt 0x6
	v_add_f64_e32 v[14:15], v[12:13], v[4:5]
	v_cndmask_b32_e32 v1, v1, v11, vcc_lo
	v_cmp_eq_u32_e32 vcc_lo, 63, v0
	s_wait_dscnt 0x4
	v_add_f64_e32 v[12:13], v[16:17], v[20:21]
	s_wait_dscnt 0x2
	v_dual_add_f64 v[4:5], v[6:7], v[22:23] :: v_dual_lshlrev_b32 v1, 2, v1
	s_wait_dscnt 0x0
	v_add_f64_e32 v[6:7], v[18:19], v[24:25]
	ds_bpermute_b32 v22, v1, v14
	ds_bpermute_b32 v23, v1, v15
	;; [unrolled: 1-line block ×8, first 2 shown]
	s_and_b32 exec_lo, exec_lo, vcc_lo
	s_cbranch_execz .LBB29_10
; %bb.38:
	s_wait_dscnt 0x6
	v_add_f64_e32 v[0:1], v[14:15], v[22:23]
	s_wait_dscnt 0x4
	v_dual_add_f64 v[12:13], v[12:13], v[20:21] :: v_dual_lshlrev_b32 v10, 2, v10
	s_wait_dscnt 0x2
	v_add_f64_e32 v[14:15], v[4:5], v[18:19]
	s_wait_dscnt 0x0
	v_add_f64_e32 v[16:17], v[6:7], v[16:17]
	s_load_b64 s[0:1], s[0:1], 0x50
	s_mov_b32 s2, exec_lo
	s_delay_alu instid0(VALU_DEP_4) | instskip(NEXT) | instid1(VALU_DEP_4)
	v_mul_f64_e32 v[4:5], v[2:3], v[0:1]
	v_mul_f64_e32 v[6:7], v[2:3], v[12:13]
	s_delay_alu instid0(VALU_DEP_4) | instskip(NEXT) | instid1(VALU_DEP_4)
	v_mul_f64_e32 v[0:1], v[2:3], v[14:15]
	v_mul_f64_e32 v[2:3], v[2:3], v[16:17]
	v_cmpx_eq_f64_e32 0, v[8:9]
	s_xor_b32 s2, exec_lo, s2
	s_cbranch_execz .LBB29_40
; %bb.39:
	v_ashrrev_i32_e32 v11, 31, v10
	s_wait_kmcnt 0x0
	s_delay_alu instid0(VALU_DEP_1)
	v_lshl_add_u64 v[8:9], v[10:11], 3, s[0:1]
                                        ; implicit-def: $vgpr10
	s_clause 0x1
	global_store_b128 v[8:9], v[4:7], off
	global_store_b128 v[8:9], v[0:3], off offset:16
                                        ; implicit-def: $vgpr8_vgpr9
                                        ; implicit-def: $vgpr4_vgpr5
                                        ; implicit-def: $vgpr0_vgpr1
.LBB29_40:
	s_wait_xcnt 0x0
	s_and_not1_saveexec_b32 s2, s2
	s_cbranch_execz .LBB29_10
; %bb.41:
	v_ashrrev_i32_e32 v11, 31, v10
	s_wait_kmcnt 0x0
	s_delay_alu instid0(VALU_DEP_1)
	v_lshl_add_u64 v[18:19], v[10:11], 3, s[0:1]
	s_clause 0x1
	global_load_b128 v[10:13], v[18:19], off
	global_load_b128 v[14:17], v[18:19], off offset:16
	s_wait_loadcnt 0x1
	v_fmac_f64_e32 v[4:5], v[8:9], v[10:11]
	v_fmac_f64_e32 v[6:7], v[8:9], v[12:13]
	s_wait_loadcnt 0x0
	v_fmac_f64_e32 v[0:1], v[8:9], v[14:15]
	v_fmac_f64_e32 v[2:3], v[8:9], v[16:17]
	s_clause 0x1
	global_store_b128 v[18:19], v[4:7], off
	global_store_b128 v[18:19], v[0:3], off offset:16
	s_sendmsg sendmsg(MSG_DEALLOC_VGPRS)
	s_endpgm
	.section	.rodata,"a",@progbits
	.p2align	6, 0x0
	.amdhsa_kernel _ZN9rocsparseL18bsrxmvn_4x4_kernelILj128ELj64EdlidddEEvT3_20rocsparse_direction_NS_24const_host_device_scalarIT1_EES1_PKS1_PKT2_SA_S7_PKT4_PKT5_S5_PT6_21rocsparse_index_base_b
		.amdhsa_group_segment_fixed_size 0
		.amdhsa_private_segment_fixed_size 0
		.amdhsa_kernarg_size 96
		.amdhsa_user_sgpr_count 2
		.amdhsa_user_sgpr_dispatch_ptr 0
		.amdhsa_user_sgpr_queue_ptr 0
		.amdhsa_user_sgpr_kernarg_segment_ptr 1
		.amdhsa_user_sgpr_dispatch_id 0
		.amdhsa_user_sgpr_kernarg_preload_length 0
		.amdhsa_user_sgpr_kernarg_preload_offset 0
		.amdhsa_user_sgpr_private_segment_size 0
		.amdhsa_wavefront_size32 1
		.amdhsa_uses_dynamic_stack 0
		.amdhsa_enable_private_segment 0
		.amdhsa_system_sgpr_workgroup_id_x 1
		.amdhsa_system_sgpr_workgroup_id_y 0
		.amdhsa_system_sgpr_workgroup_id_z 0
		.amdhsa_system_sgpr_workgroup_info 0
		.amdhsa_system_vgpr_workitem_id 0
		.amdhsa_next_free_vgpr 140
		.amdhsa_next_free_sgpr 14
		.amdhsa_named_barrier_count 0
		.amdhsa_reserve_vcc 1
		.amdhsa_float_round_mode_32 0
		.amdhsa_float_round_mode_16_64 0
		.amdhsa_float_denorm_mode_32 3
		.amdhsa_float_denorm_mode_16_64 3
		.amdhsa_fp16_overflow 0
		.amdhsa_memory_ordered 1
		.amdhsa_forward_progress 1
		.amdhsa_inst_pref_size 39
		.amdhsa_round_robin_scheduling 0
		.amdhsa_exception_fp_ieee_invalid_op 0
		.amdhsa_exception_fp_denorm_src 0
		.amdhsa_exception_fp_ieee_div_zero 0
		.amdhsa_exception_fp_ieee_overflow 0
		.amdhsa_exception_fp_ieee_underflow 0
		.amdhsa_exception_fp_ieee_inexact 0
		.amdhsa_exception_int_div_zero 0
	.end_amdhsa_kernel
	.section	.text._ZN9rocsparseL18bsrxmvn_4x4_kernelILj128ELj64EdlidddEEvT3_20rocsparse_direction_NS_24const_host_device_scalarIT1_EES1_PKS1_PKT2_SA_S7_PKT4_PKT5_S5_PT6_21rocsparse_index_base_b,"axG",@progbits,_ZN9rocsparseL18bsrxmvn_4x4_kernelILj128ELj64EdlidddEEvT3_20rocsparse_direction_NS_24const_host_device_scalarIT1_EES1_PKS1_PKT2_SA_S7_PKT4_PKT5_S5_PT6_21rocsparse_index_base_b,comdat
.Lfunc_end29:
	.size	_ZN9rocsparseL18bsrxmvn_4x4_kernelILj128ELj64EdlidddEEvT3_20rocsparse_direction_NS_24const_host_device_scalarIT1_EES1_PKS1_PKT2_SA_S7_PKT4_PKT5_S5_PT6_21rocsparse_index_base_b, .Lfunc_end29-_ZN9rocsparseL18bsrxmvn_4x4_kernelILj128ELj64EdlidddEEvT3_20rocsparse_direction_NS_24const_host_device_scalarIT1_EES1_PKS1_PKT2_SA_S7_PKT4_PKT5_S5_PT6_21rocsparse_index_base_b
                                        ; -- End function
	.set _ZN9rocsparseL18bsrxmvn_4x4_kernelILj128ELj64EdlidddEEvT3_20rocsparse_direction_NS_24const_host_device_scalarIT1_EES1_PKS1_PKT2_SA_S7_PKT4_PKT5_S5_PT6_21rocsparse_index_base_b.num_vgpr, 140
	.set _ZN9rocsparseL18bsrxmvn_4x4_kernelILj128ELj64EdlidddEEvT3_20rocsparse_direction_NS_24const_host_device_scalarIT1_EES1_PKS1_PKT2_SA_S7_PKT4_PKT5_S5_PT6_21rocsparse_index_base_b.num_agpr, 0
	.set _ZN9rocsparseL18bsrxmvn_4x4_kernelILj128ELj64EdlidddEEvT3_20rocsparse_direction_NS_24const_host_device_scalarIT1_EES1_PKS1_PKT2_SA_S7_PKT4_PKT5_S5_PT6_21rocsparse_index_base_b.numbered_sgpr, 14
	.set _ZN9rocsparseL18bsrxmvn_4x4_kernelILj128ELj64EdlidddEEvT3_20rocsparse_direction_NS_24const_host_device_scalarIT1_EES1_PKS1_PKT2_SA_S7_PKT4_PKT5_S5_PT6_21rocsparse_index_base_b.num_named_barrier, 0
	.set _ZN9rocsparseL18bsrxmvn_4x4_kernelILj128ELj64EdlidddEEvT3_20rocsparse_direction_NS_24const_host_device_scalarIT1_EES1_PKS1_PKT2_SA_S7_PKT4_PKT5_S5_PT6_21rocsparse_index_base_b.private_seg_size, 0
	.set _ZN9rocsparseL18bsrxmvn_4x4_kernelILj128ELj64EdlidddEEvT3_20rocsparse_direction_NS_24const_host_device_scalarIT1_EES1_PKS1_PKT2_SA_S7_PKT4_PKT5_S5_PT6_21rocsparse_index_base_b.uses_vcc, 1
	.set _ZN9rocsparseL18bsrxmvn_4x4_kernelILj128ELj64EdlidddEEvT3_20rocsparse_direction_NS_24const_host_device_scalarIT1_EES1_PKS1_PKT2_SA_S7_PKT4_PKT5_S5_PT6_21rocsparse_index_base_b.uses_flat_scratch, 0
	.set _ZN9rocsparseL18bsrxmvn_4x4_kernelILj128ELj64EdlidddEEvT3_20rocsparse_direction_NS_24const_host_device_scalarIT1_EES1_PKS1_PKT2_SA_S7_PKT4_PKT5_S5_PT6_21rocsparse_index_base_b.has_dyn_sized_stack, 0
	.set _ZN9rocsparseL18bsrxmvn_4x4_kernelILj128ELj64EdlidddEEvT3_20rocsparse_direction_NS_24const_host_device_scalarIT1_EES1_PKS1_PKT2_SA_S7_PKT4_PKT5_S5_PT6_21rocsparse_index_base_b.has_recursion, 0
	.set _ZN9rocsparseL18bsrxmvn_4x4_kernelILj128ELj64EdlidddEEvT3_20rocsparse_direction_NS_24const_host_device_scalarIT1_EES1_PKS1_PKT2_SA_S7_PKT4_PKT5_S5_PT6_21rocsparse_index_base_b.has_indirect_call, 0
	.section	.AMDGPU.csdata,"",@progbits
; Kernel info:
; codeLenInByte = 4932
; TotalNumSgprs: 16
; NumVgprs: 140
; ScratchSize: 0
; MemoryBound: 1
; FloatMode: 240
; IeeeMode: 1
; LDSByteSize: 0 bytes/workgroup (compile time only)
; SGPRBlocks: 0
; VGPRBlocks: 8
; NumSGPRsForWavesPerEU: 16
; NumVGPRsForWavesPerEU: 140
; NamedBarCnt: 0
; Occupancy: 7
; WaveLimiterHint : 1
; COMPUTE_PGM_RSRC2:SCRATCH_EN: 0
; COMPUTE_PGM_RSRC2:USER_SGPR: 2
; COMPUTE_PGM_RSRC2:TRAP_HANDLER: 0
; COMPUTE_PGM_RSRC2:TGID_X_EN: 1
; COMPUTE_PGM_RSRC2:TGID_Y_EN: 0
; COMPUTE_PGM_RSRC2:TGID_Z_EN: 0
; COMPUTE_PGM_RSRC2:TIDIG_COMP_CNT: 0
	.section	.text._ZN9rocsparseL18bsrxmvn_4x4_kernelILj128ELj4E21rocsparse_complex_numIfEliS2_S2_S2_EEvT3_20rocsparse_direction_NS_24const_host_device_scalarIT1_EES3_PKS3_PKT2_SC_S9_PKT4_PKT5_S7_PT6_21rocsparse_index_base_b,"axG",@progbits,_ZN9rocsparseL18bsrxmvn_4x4_kernelILj128ELj4E21rocsparse_complex_numIfEliS2_S2_S2_EEvT3_20rocsparse_direction_NS_24const_host_device_scalarIT1_EES3_PKS3_PKT2_SC_S9_PKT4_PKT5_S7_PT6_21rocsparse_index_base_b,comdat
	.globl	_ZN9rocsparseL18bsrxmvn_4x4_kernelILj128ELj4E21rocsparse_complex_numIfEliS2_S2_S2_EEvT3_20rocsparse_direction_NS_24const_host_device_scalarIT1_EES3_PKS3_PKT2_SC_S9_PKT4_PKT5_S7_PT6_21rocsparse_index_base_b ; -- Begin function _ZN9rocsparseL18bsrxmvn_4x4_kernelILj128ELj4E21rocsparse_complex_numIfEliS2_S2_S2_EEvT3_20rocsparse_direction_NS_24const_host_device_scalarIT1_EES3_PKS3_PKT2_SC_S9_PKT4_PKT5_S7_PT6_21rocsparse_index_base_b
	.p2align	8
	.type	_ZN9rocsparseL18bsrxmvn_4x4_kernelILj128ELj4E21rocsparse_complex_numIfEliS2_S2_S2_EEvT3_20rocsparse_direction_NS_24const_host_device_scalarIT1_EES3_PKS3_PKT2_SC_S9_PKT4_PKT5_S7_PT6_21rocsparse_index_base_b,@function
_ZN9rocsparseL18bsrxmvn_4x4_kernelILj128ELj4E21rocsparse_complex_numIfEliS2_S2_S2_EEvT3_20rocsparse_direction_NS_24const_host_device_scalarIT1_EES3_PKS3_PKT2_SC_S9_PKT4_PKT5_S7_PT6_21rocsparse_index_base_b: ; @_ZN9rocsparseL18bsrxmvn_4x4_kernelILj128ELj4E21rocsparse_complex_numIfEliS2_S2_S2_EEvT3_20rocsparse_direction_NS_24const_host_device_scalarIT1_EES3_PKS3_PKT2_SC_S9_PKT4_PKT5_S7_PT6_21rocsparse_index_base_b
; %bb.0:
	s_clause 0x2
	s_load_b64 s[12:13], s[0:1], 0x58
	s_load_b64 s[2:3], s[0:1], 0x8
	;; [unrolled: 1-line block ×3, first 2 shown]
	v_mov_b32_e32 v1, 0
	s_add_nc_u64 s[6:7], s[0:1], 8
	s_add_nc_u64 s[8:9], s[0:1], 0x48
	s_wait_kmcnt 0x0
	s_bitcmp1_b32 s13, 0
	s_cselect_b32 s3, s7, s3
	s_cselect_b32 s2, s6, s2
	;; [unrolled: 1-line block ×4, first 2 shown]
	s_clause 0x1
	flat_load_b64 v[2:3], v1, s[2:3]
	flat_load_b64 v[4:5], v1, s[4:5]
	s_wait_loadcnt_dscnt 0x101
	v_cmp_neq_f32_e32 vcc_lo, 0, v2
	v_cmp_neq_f32_e64 s3, 0, v3
	s_wait_loadcnt_dscnt 0x0
	v_cmp_neq_f32_e64 s4, 1.0, v4
	v_cmp_neq_f32_e64 s2, 0, v5
	s_or_b32 s5, vcc_lo, s3
	s_mov_b32 s3, 0
	s_or_b32 s4, s4, s2
	s_delay_alu instid0(SALU_CYCLE_1) | instskip(NEXT) | instid1(SALU_CYCLE_1)
	s_or_b32 s4, s5, s4
	s_and_saveexec_b32 s5, s4
	s_cbranch_execz .LBB30_6
; %bb.1:
	s_clause 0x1
	s_load_b64 s[4:5], s[0:1], 0x18
	s_load_b64 s[14:15], s[0:1], 0x0
	s_bfe_u32 s6, ttmp6, 0x4000c
	s_and_b32 s7, ttmp6, 15
	s_add_co_i32 s6, s6, 1
	s_getreg_b32 s8, hwreg(HW_REG_IB_STS2, 6, 4)
	s_mul_i32 s6, ttmp9, s6
	v_lshrrev_b32_e32 v1, 2, v0
	s_add_co_i32 s7, s7, s6
	s_cmp_eq_u32 s8, 0
	s_cselect_b32 s6, ttmp9, s7
	s_delay_alu instid0(VALU_DEP_1) | instid1(SALU_CYCLE_1)
	v_lshl_or_b32 v6, s6, 5, v1
	s_wait_kmcnt 0x0
	s_cmp_lg_u64 s[4:5], 0
	s_cbranch_scc0 .LBB30_7
; %bb.2:
	s_load_b32 s3, s[0:1], 0x10
	s_mov_b32 s6, 0
                                        ; implicit-def: $vgpr1
	s_wait_kmcnt 0x0
	v_cmp_gt_i32_e32 vcc_lo, s3, v6
	s_mov_b32 s3, 0
	s_and_saveexec_b32 s7, vcc_lo
	s_delay_alu instid0(SALU_CYCLE_1)
	s_xor_b32 s7, exec_lo, s7
	s_cbranch_execz .LBB30_4
; %bb.3:
	global_load_b32 v1, v6, s[4:5] scale_offset
	s_mov_b32 s3, exec_lo
	s_wait_loadcnt 0x0
	v_subrev_nc_u32_e32 v1, s12, v1
.LBB30_4:
	s_or_b32 exec_lo, exec_lo, s7
	s_delay_alu instid0(SALU_CYCLE_1)
	s_and_b32 vcc_lo, exec_lo, s6
	s_cbranch_vccz .LBB30_8
.LBB30_5:
	v_cmp_gt_i32_e32 vcc_lo, s14, v6
	s_and_not1_b32 s3, s3, exec_lo
	s_and_b32 s4, vcc_lo, exec_lo
	s_delay_alu instid0(SALU_CYCLE_1) | instskip(NEXT) | instid1(SALU_CYCLE_1)
	s_or_b32 s3, s3, s4
	s_and_b32 exec_lo, exec_lo, s3
	s_cbranch_execnz .LBB30_9
.LBB30_6:
	s_sendmsg sendmsg(MSG_DEALLOC_VGPRS)
	s_endpgm
.LBB30_7:
                                        ; implicit-def: $vgpr1
	s_cbranch_execnz .LBB30_5
.LBB30_8:
	s_delay_alu instid0(VALU_DEP_1)
	v_mov_b32_e32 v6, v1
	s_and_b32 exec_lo, exec_lo, s3
	s_cbranch_execz .LBB30_6
.LBB30_9:
	s_load_b256 s[4:11], s[0:1], 0x20
	s_mov_b32 s13, 0
	v_dual_mov_b32 v1, 0 :: v_dual_bitop2_b32 v0, 3, v0 bitop3:0x40
	s_wait_kmcnt 0x0
	s_cmp_eq_u64 s[6:7], 0
	global_load_b64 v[22:23], v6, s[4:5] scale_offset
	s_cselect_b32 vcc_lo, -1, 0
	v_ashrrev_i32_e32 v7, 31, v6
	s_cmp_eq_u32 s15, 1
	s_delay_alu instid0(VALU_DEP_1) | instskip(NEXT) | instid1(VALU_DEP_1)
	v_lshlrev_b64_e32 v[8:9], 3, v[6:7]
	v_add_nc_u64_e32 v[10:11], s[4:5], v[8:9]
	v_add_nc_u64_e32 v[8:9], s[6:7], v[8:9]
	s_wait_xcnt 0x0
	s_load_b64 s[4:5], s[0:1], 0x40
	s_delay_alu instid0(VALU_DEP_2) | instskip(NEXT) | instid1(VALU_DEP_1)
	v_add_nc_u64_e32 v[10:11], 8, v[10:11]
	v_dual_cndmask_b32 v9, v9, v11 :: v_dual_cndmask_b32 v8, v8, v10
	global_load_b64 v[10:11], v[8:9], off
	s_wait_loadcnt 0x1
	s_wait_xcnt 0x0
	v_sub_nc_u64_e64 v[8:9], v[22:23], s[12:13]
	s_delay_alu instid0(VALU_DEP_1) | instskip(NEXT) | instid1(VALU_DEP_1)
	v_add_nc_u64_e32 v[8:9], v[8:9], v[0:1]
	v_lshlrev_b64_e32 v[12:13], 7, v[8:9]
	s_delay_alu instid0(VALU_DEP_1) | instskip(SKIP_2) | instid1(VALU_DEP_1)
	v_add_nc_u64_e32 v[12:13], s[10:11], v[12:13]
	s_wait_loadcnt 0x0
	v_sub_nc_u64_e64 v[10:11], v[10:11], s[12:13]
	v_cmp_lt_i64_e64 s3, v[8:9], v[10:11]
	s_cbranch_scc1 .LBB30_21
; %bb.10:
	v_dual_mov_b32 v21, v1 :: v_dual_mov_b32 v20, v1
	v_dual_mov_b32 v17, v1 :: v_dual_mov_b32 v16, v1
	v_dual_mov_b32 v19, v1 :: v_dual_mov_b32 v18, v1
	v_dual_mov_b32 v15, v1 :: v_dual_mov_b32 v14, v1
	s_and_saveexec_b32 s6, s3
	s_cbranch_execz .LBB30_20
; %bb.11:
	v_dual_mov_b32 v15, v1 :: v_dual_bitop2_b32 v14, 4, v0 bitop3:0x54
	v_sub_nc_u64_e32 v[16:17], s[12:13], v[0:1]
	v_not_b32_e32 v19, v23
	v_not_b32_e32 v18, v22
	v_mov_b64_e32 v[26:27], v[12:13]
	v_sub_nc_u64_e64 v[14:15], v[14:15], s[12:13]
	v_mov_b64_e32 v[24:25], v[8:9]
	s_delay_alu instid0(VALU_DEP_4) | instskip(NEXT) | instid1(VALU_DEP_3)
	v_add_nc_u64_e32 v[16:17], v[16:17], v[18:19]
	v_add_nc_u64_e32 v[14:15], v[14:15], v[22:23]
	s_delay_alu instid0(VALU_DEP_1) | instskip(NEXT) | instid1(VALU_DEP_1)
	v_max_i64 v[14:15], v[14:15], v[10:11]
	v_add_nc_u64_e32 v[28:29], v[16:17], v[14:15]
	s_delay_alu instid0(VALU_DEP_1) | instskip(NEXT) | instid1(VALU_DEP_1)
	v_dual_mov_b32 v15, 0 :: v_dual_bitop2_b32 v14, 12, v28 bitop3:0x40
	v_dual_mov_b32 v19, v15 :: v_dual_mov_b32 v18, v15
	v_dual_mov_b32 v17, v15 :: v_dual_mov_b32 v16, v15
	s_delay_alu instid0(VALU_DEP_3)
	v_cmp_ne_u64_e32 vcc_lo, 12, v[14:15]
	v_dual_mov_b32 v20, v15 :: v_dual_mov_b32 v14, v15
	v_mov_b32_e32 v21, v15
	s_and_saveexec_b32 s7, vcc_lo
	s_cbranch_execz .LBB30_15
; %bb.12:
	v_dual_lshrrev_b32 v7, 2, v28 :: v_dual_mov_b32 v15, 0
	v_mov_b64_e32 v[24:25], v[8:9]
	v_mov_b64_e32 v[26:27], v[12:13]
	v_lshl_add_u64 v[30:31], v[8:9], 2, s[8:9]
	s_delay_alu instid0(VALU_DEP_4) | instskip(SKIP_1) | instid1(VALU_DEP_2)
	v_dual_mov_b32 v18, v15 :: v_dual_add_nc_u32 v7, 1, v7
	v_dual_mov_b32 v16, v15 :: v_dual_mov_b32 v17, v15
	v_dual_mov_b32 v20, v15 :: v_dual_bitop2_b32 v14, 3, v7 bitop3:0x40
	v_dual_mov_b32 v19, v15 :: v_dual_mov_b32 v21, v15
	s_mov_b32 s10, 0
	s_delay_alu instid0(VALU_DEP_2)
	v_sub_nc_u64_e32 v[32:33], 0, v[14:15]
	v_mov_b32_e32 v14, v15
.LBB30_13:                              ; =>This Inner Loop Header: Depth=1
	global_load_b32 v7, v[30:31], off
	s_clause 0x6
	global_load_b128 v[34:37], v[26:27], off offset:48
	global_load_b128 v[38:41], v[26:27], off offset:32
	;; [unrolled: 1-line block ×3, first 2 shown]
	global_load_b128 v[46:49], v[26:27], off
	global_load_b128 v[54:57], v[26:27], off offset:80
	global_load_b128 v[58:61], v[26:27], off offset:64
	;; [unrolled: 1-line block ×3, first 2 shown]
	v_add_nc_u64_e32 v[32:33], 1, v[32:33]
	v_add_nc_u64_e32 v[24:25], 4, v[24:25]
	s_wait_xcnt 0x7
	v_add_nc_u64_e32 v[30:31], 16, v[30:31]
	s_delay_alu instid0(VALU_DEP_3)
	v_cmp_eq_u64_e32 vcc_lo, 0, v[32:33]
	s_or_b32 s10, vcc_lo, s10
	s_wait_loadcnt 0x7
	v_subrev_nc_u32_e32 v7, s12, v7
	s_wait_loadcnt 0x6
	v_xor_b32_e32 v80, 0x80000000, v37
	s_wait_loadcnt 0x5
	v_xor_b32_e32 v78, 0x80000000, v41
	v_dual_mov_b32 v79, v40 :: v_dual_mov_b32 v81, v36
	v_lshlrev_b32_e32 v62, 2, v7
	s_wait_loadcnt 0x1
	v_xor_b32_e32 v82, 0x80000000, v61
	v_xor_b32_e32 v76, 0x80000000, v45
	;; [unrolled: 1-line block ×3, first 2 shown]
	v_dual_mov_b32 v77, v44 :: v_dual_ashrrev_i32 v63, 31, v62
	v_mov_b32_e32 v85, v56
	s_wait_kmcnt 0x0
	s_delay_alu instid0(VALU_DEP_2)
	v_lshl_add_u64 v[74:75], v[62:63], 3, s[4:5]
	global_load_b128 v[62:65], v[26:27], off offset:96
	s_clause 0x1
	global_load_b128 v[66:69], v[74:75], off
	global_load_b128 v[70:73], v[74:75], off offset:16
	s_wait_xcnt 0x0
	v_xor_b32_e32 v74, 0x80000000, v49
	v_dual_mov_b32 v75, v48 :: v_dual_mov_b32 v83, v60
	v_add_nc_u64_e32 v[26:27], 0x200, v[26:27]
	s_wait_loadcnt 0x2
	v_xor_b32_e32 v86, 0x80000000, v65
	s_wait_loadcnt 0x1
	v_pk_fma_f32 v[20:21], v[46:47], v[66:67], v[20:21] op_sel_hi:[1,0,1]
	v_pk_fma_f32 v[14:15], v[38:39], v[66:67], v[14:15] op_sel_hi:[1,0,1]
	;; [unrolled: 1-line block ×4, first 2 shown]
	v_mov_b32_e32 v87, v64
	v_pk_fma_f32 v[20:21], v[46:47], v[66:67], v[20:21] op_sel:[1,1,0] op_sel_hi:[0,1,1] neg_lo:[1,0,0]
	v_pk_fma_f32 v[14:15], v[38:39], v[66:67], v[14:15] op_sel:[1,1,0] op_sel_hi:[0,1,1] neg_lo:[1,0,0]
	;; [unrolled: 1-line block ×4, first 2 shown]
	v_mov_b32_e32 v38, v69
	v_pk_fma_f32 v[20:21], v[48:49], v[68:69], v[20:21] op_sel_hi:[1,0,1]
	v_pk_fma_f32 v[14:15], v[40:41], v[68:69], v[14:15] op_sel_hi:[1,0,1]
	;; [unrolled: 1-line block ×4, first 2 shown]
	s_delay_alu instid0(VALU_DEP_4) | instskip(NEXT) | instid1(VALU_DEP_4)
	v_pk_fma_f32 v[20:21], v[74:75], v[38:39], v[20:21] op_sel_hi:[1,0,1]
	v_pk_fma_f32 v[14:15], v[78:79], v[38:39], v[14:15] op_sel_hi:[1,0,1]
	s_delay_alu instid0(VALU_DEP_4) | instskip(NEXT) | instid1(VALU_DEP_4)
	v_pk_fma_f32 v[18:19], v[82:83], v[38:39], v[18:19] op_sel_hi:[1,0,1]
	v_pk_fma_f32 v[16:17], v[86:87], v[38:39], v[16:17] op_sel_hi:[1,0,1]
	v_xor_b32_e32 v38, 0x80000000, v53
	s_wait_loadcnt 0x0
	v_pk_fma_f32 v[20:21], v[42:43], v[70:71], v[20:21] op_sel_hi:[1,0,1]
	v_pk_fma_f32 v[14:15], v[34:35], v[70:71], v[14:15] op_sel_hi:[1,0,1]
	;; [unrolled: 1-line block ×4, first 2 shown]
	v_mov_b32_e32 v39, v52
	v_pk_fma_f32 v[20:21], v[42:43], v[70:71], v[20:21] op_sel:[1,1,0] op_sel_hi:[0,1,1] neg_lo:[1,0,0]
	v_pk_fma_f32 v[14:15], v[34:35], v[70:71], v[14:15] op_sel:[1,1,0] op_sel_hi:[0,1,1] neg_lo:[1,0,0]
	;; [unrolled: 1-line block ×4, first 2 shown]
	v_mov_b32_e32 v34, v73
	v_pk_fma_f32 v[20:21], v[44:45], v[72:73], v[20:21] op_sel_hi:[1,0,1]
	v_pk_fma_f32 v[14:15], v[36:37], v[72:73], v[14:15] op_sel_hi:[1,0,1]
	;; [unrolled: 1-line block ×4, first 2 shown]
	s_delay_alu instid0(VALU_DEP_4) | instskip(NEXT) | instid1(VALU_DEP_4)
	v_pk_fma_f32 v[20:21], v[76:77], v[34:35], v[20:21] op_sel_hi:[1,0,1]
	v_pk_fma_f32 v[14:15], v[80:81], v[34:35], v[14:15] op_sel_hi:[1,0,1]
	s_delay_alu instid0(VALU_DEP_4) | instskip(NEXT) | instid1(VALU_DEP_4)
	v_pk_fma_f32 v[18:19], v[84:85], v[34:35], v[18:19] op_sel_hi:[1,0,1]
	v_pk_fma_f32 v[16:17], v[38:39], v[34:35], v[16:17] op_sel_hi:[1,0,1]
	s_and_not1_b32 exec_lo, exec_lo, s10
	s_cbranch_execnz .LBB30_13
; %bb.14:
	s_or_b32 exec_lo, exec_lo, s10
.LBB30_15:
	s_delay_alu instid0(SALU_CYCLE_1) | instskip(NEXT) | instid1(SALU_CYCLE_1)
	s_or_b32 exec_lo, exec_lo, s7
	s_mov_b32 s7, exec_lo
	v_cmpx_lt_u64_e32 11, v[28:29]
	s_cbranch_execz .LBB30_19
; %bb.16:
	v_lshl_add_u64 v[28:29], v[24:25], 2, s[8:9]
	s_mov_b32 s10, 0
	s_delay_alu instid0(VALU_DEP_1)
	v_add_nc_u64_e32 v[28:29], 32, v[28:29]
.LBB30_17:                              ; =>This Inner Loop Header: Depth=1
	global_load_b32 v7, v[28:29], off offset:-32
	s_clause 0xf
	global_load_b128 v[30:33], v[26:27], off
	global_load_b128 v[34:37], v[26:27], off offset:16
	global_load_b128 v[38:41], v[26:27], off offset:48
	;; [unrolled: 1-line block ×15, first 2 shown]
	s_clause 0x2
	global_load_b32 v140, v[28:29], off offset:-16
	global_load_b32 v141, v[28:29], off
	global_load_b32 v142, v[28:29], off offset:16
	s_clause 0x6
	global_load_b128 v[94:97], v[26:27], off offset:1072
	global_load_b128 v[98:101], v[26:27], off offset:1056
	global_load_b128 v[102:105], v[26:27], off offset:1040
	global_load_b128 v[106:109], v[26:27], off offset:1024
	global_load_b128 v[110:113], v[26:27], off offset:1136
	global_load_b128 v[114:117], v[26:27], off offset:1120
	global_load_b128 v[118:121], v[26:27], off offset:1104
	v_add_nc_u64_e32 v[24:25], 16, v[24:25]
	s_wait_xcnt 0x7
	v_add_nc_u64_e32 v[28:29], 64, v[28:29]
	s_delay_alu instid0(VALU_DEP_2)
	v_cmp_ge_i64_e32 vcc_lo, v[24:25], v[10:11]
	s_or_b32 s10, vcc_lo, s10
	s_wait_loadcnt 0x1a
	v_subrev_nc_u32_e32 v7, s12, v7
	s_wait_loadcnt 0x19
	v_mov_b32_e32 v131, v32
	v_xor_b32_e32 v130, 0x80000000, v33
	s_wait_loadcnt 0x16
	v_xor_b32_e32 v134, 0x80000000, v45
	v_dual_mov_b32 v135, v44 :: v_dual_lshlrev_b32 v122, 2, v7
	s_delay_alu instid0(VALU_DEP_1)
	v_ashrrev_i32_e32 v123, 31, v122
	s_wait_loadcnt 0xe
	v_xor_b32_e32 v138, 0x80000000, v77
	v_mov_b32_e32 v139, v76
	s_wait_kmcnt 0x0
	v_lshl_add_u64 v[132:133], v[122:123], 3, s[4:5]
	s_clause 0x1
	global_load_b128 v[122:125], v[132:133], off
	global_load_b128 v[126:129], v[132:133], off offset:16
	s_wait_loadcnt 0xb
	v_subrev_nc_u32_e32 v7, s12, v140
	s_wait_loadcnt 0x1
	v_pk_fma_f32 v[14:15], v[42:43], v[122:123], v[14:15] op_sel_hi:[1,0,1]
	v_pk_fma_f32 v[20:21], v[30:31], v[122:123], v[20:21] op_sel_hi:[1,0,1]
	s_delay_alu instid0(VALU_DEP_2) | instskip(NEXT) | instid1(VALU_DEP_2)
	v_pk_fma_f32 v[14:15], v[42:43], v[122:123], v[14:15] op_sel:[1,1,0] op_sel_hi:[0,1,1] neg_lo:[1,0,0]
	v_pk_fma_f32 v[20:21], v[30:31], v[122:123], v[20:21] op_sel:[1,1,0] op_sel_hi:[0,1,1] neg_lo:[1,0,0]
	s_delay_alu instid0(VALU_DEP_2) | instskip(SKIP_2) | instid1(VALU_DEP_3)
	v_pk_fma_f32 v[136:137], v[44:45], v[124:125], v[14:15] op_sel_hi:[1,0,1]
	v_pk_fma_f32 v[14:15], v[74:75], v[122:123], v[18:19] op_sel_hi:[1,0,1]
	s_wait_xcnt 0x0
	v_pk_fma_f32 v[132:133], v[32:33], v[124:125], v[20:21] op_sel_hi:[1,0,1]
	s_clause 0x2
	global_load_b128 v[30:33], v[26:27], off offset:1088
	global_load_b128 v[18:21], v[26:27], off offset:1584
	;; [unrolled: 1-line block ×3, first 2 shown]
	v_pk_fma_f32 v[14:15], v[74:75], v[122:123], v[14:15] op_sel:[1,1,0] op_sel_hi:[0,1,1] neg_lo:[1,0,0]
	s_delay_alu instid0(VALU_DEP_1) | instskip(SKIP_3) | instid1(VALU_DEP_3)
	v_pk_fma_f32 v[74:75], v[76:77], v[124:125], v[14:15] op_sel_hi:[1,0,1]
	v_pk_fma_f32 v[14:15], v[66:67], v[122:123], v[16:17] op_sel_hi:[1,0,1]
	v_xor_b32_e32 v76, 0x80000000, v69
	v_mov_b32_e32 v77, v68
	v_pk_fma_f32 v[14:15], v[66:67], v[122:123], v[14:15] op_sel:[1,1,0] op_sel_hi:[0,1,1] neg_lo:[1,0,0]
	s_delay_alu instid0(VALU_DEP_1)
	v_pk_fma_f32 v[122:123], v[68:69], v[124:125], v[14:15] op_sel_hi:[1,0,1]
	v_mov_b32_e32 v124, v125
	s_clause 0x1
	global_load_b128 v[14:17], v[26:27], off offset:1568
	global_load_b128 v[66:69], v[26:27], off offset:1536
	v_pk_fma_f32 v[76:77], v[76:77], v[124:125], v[122:123] op_sel_hi:[1,0,1]
	v_mov_b32_e32 v123, v36
	v_pk_fma_f32 v[130:131], v[130:131], v[124:125], v[132:133] op_sel_hi:[1,0,1]
	v_pk_fma_f32 v[132:133], v[134:135], v[124:125], v[136:137] op_sel_hi:[1,0,1]
	;; [unrolled: 1-line block ×3, first 2 shown]
	v_xor_b32_e32 v122, 0x80000000, v37
	v_xor_b32_e32 v134, 0x80000000, v73
	s_wait_loadcnt 0x5
	v_pk_fma_f32 v[124:125], v[34:35], v[126:127], v[130:131] op_sel_hi:[1,0,1]
	v_pk_fma_f32 v[132:133], v[38:39], v[126:127], v[132:133] op_sel_hi:[1,0,1]
	v_mov_b32_e32 v137, v52
	v_xor_b32_e32 v130, 0x80000000, v41
	v_dual_mov_b32 v131, v40 :: v_dual_mov_b32 v135, v72
	s_delay_alu instid0(VALU_DEP_4) | instskip(SKIP_2) | instid1(VALU_DEP_3)
	v_pk_fma_f32 v[38:39], v[38:39], v[126:127], v[132:133] op_sel:[1,1,0] op_sel_hi:[0,1,1] neg_lo:[1,0,0]
	v_pk_fma_f32 v[34:35], v[34:35], v[126:127], v[124:125] op_sel:[1,1,0] op_sel_hi:[0,1,1] neg_lo:[1,0,0]
	v_xor_b32_e32 v136, 0x80000000, v53
	v_pk_fma_f32 v[132:133], v[40:41], v[128:129], v[38:39] op_sel_hi:[1,0,1]
	v_pk_fma_f32 v[38:39], v[70:71], v[126:127], v[74:75] op_sel_hi:[1,0,1]
	;; [unrolled: 1-line block ×4, first 2 shown]
	v_subrev_nc_u32_e32 v77, s12, v142
	global_load_b128 v[34:37], v[26:27], off offset:1632
	v_pk_fma_f32 v[38:39], v[70:71], v[126:127], v[38:39] op_sel:[1,1,0] op_sel_hi:[0,1,1] neg_lo:[1,0,0]
	v_pk_fma_f32 v[62:63], v[62:63], v[126:127], v[74:75] op_sel:[1,1,0] op_sel_hi:[0,1,1] neg_lo:[1,0,0]
	v_mov_b32_e32 v127, v60
	v_xor_b32_e32 v126, 0x80000000, v61
	s_delay_alu instid0(VALU_DEP_4)
	v_pk_fma_f32 v[70:71], v[72:73], v[128:129], v[38:39] op_sel_hi:[1,0,1]
	v_mov_b32_e32 v73, v64
	v_pk_fma_f32 v[62:63], v[64:65], v[128:129], v[62:63] op_sel_hi:[1,0,1]
	v_mov_b32_e32 v64, v129
	v_xor_b32_e32 v72, 0x80000000, v65
	global_load_b128 v[38:41], v[26:27], off offset:1600
	v_mov_b32_e32 v129, v92
	v_xor_b32_e32 v128, 0x80000000, v93
	v_pk_fma_f32 v[74:75], v[122:123], v[64:65], v[124:125] op_sel_hi:[1,0,1]
	v_subrev_nc_u32_e32 v65, s12, v141
	v_lshlrev_b32_e32 v76, 2, v7
	v_xor_b32_e32 v122, 0x80000000, v85
	v_mov_b32_e32 v123, v84
	s_delay_alu instid0(VALU_DEP_4) | instskip(SKIP_4) | instid1(VALU_DEP_3)
	v_pk_fma_f32 v[124:125], v[130:131], v[64:65], v[132:133] op_sel_hi:[1,0,1]
	v_lshlrev_b32_e32 v130, 2, v65
	v_dual_lshlrev_b32 v132, 2, v77 :: v_dual_ashrrev_i32 v77, 31, v76
	v_pk_fma_f32 v[134:135], v[134:135], v[64:65], v[70:71] op_sel_hi:[1,0,1]
	v_pk_fma_f32 v[138:139], v[72:73], v[64:65], v[62:63] op_sel_hi:[1,0,1]
	v_dual_ashrrev_i32 v131, 31, v130 :: v_dual_ashrrev_i32 v133, 31, v132
	s_delay_alu instid0(VALU_DEP_4)
	v_lshl_add_u64 v[76:77], v[76:77], 3, s[4:5]
	s_clause 0x1
	global_load_b128 v[62:65], v[76:77], off
	global_load_b128 v[70:73], v[76:77], off offset:16
	s_wait_xcnt 0x0
	v_lshl_add_u64 v[76:77], v[130:131], 3, s[4:5]
	v_lshl_add_u64 v[130:131], v[132:133], 3, s[4:5]
	s_wait_loadcnt 0x1
	v_pk_fma_f32 v[74:75], v[58:59], v[62:63], v[74:75] op_sel_hi:[1,0,1]
	v_mov_b32_e32 v140, v65
	s_delay_alu instid0(VALU_DEP_2) | instskip(SKIP_1) | instid1(VALU_DEP_2)
	v_pk_fma_f32 v[58:59], v[58:59], v[62:63], v[74:75] op_sel:[1,1,0] op_sel_hi:[0,1,1] neg_lo:[1,0,0]
	v_pk_fma_f32 v[74:75], v[50:51], v[62:63], v[124:125] op_sel_hi:[1,0,1]
	v_pk_fma_f32 v[132:133], v[60:61], v[64:65], v[58:59] op_sel_hi:[1,0,1]
	global_load_b128 v[58:61], v[76:77], off
	v_pk_fma_f32 v[50:51], v[50:51], v[62:63], v[74:75] op_sel:[1,1,0] op_sel_hi:[0,1,1] neg_lo:[1,0,0]
	v_pk_fma_f32 v[74:75], v[90:91], v[62:63], v[134:135] op_sel_hi:[1,0,1]
	s_delay_alu instid0(VALU_DEP_2) | instskip(SKIP_3) | instid1(VALU_DEP_2)
	v_pk_fma_f32 v[124:125], v[52:53], v[64:65], v[50:51] op_sel_hi:[1,0,1]
	global_load_b128 v[50:53], v[76:77], off offset:16
	v_pk_fma_f32 v[74:75], v[90:91], v[62:63], v[74:75] op_sel:[1,1,0] op_sel_hi:[0,1,1] neg_lo:[1,0,0]
	v_pk_fma_f32 v[90:91], v[82:83], v[62:63], v[138:139] op_sel_hi:[1,0,1]
	v_pk_fma_f32 v[134:135], v[92:93], v[64:65], v[74:75] op_sel_hi:[1,0,1]
	global_load_b128 v[74:77], v[130:131], off
	v_pk_fma_f32 v[62:63], v[82:83], v[62:63], v[90:91] op_sel:[1,1,0] op_sel_hi:[0,1,1] neg_lo:[1,0,0]
	global_load_b128 v[90:93], v[130:131], off offset:16
	s_wait_xcnt 0x0
	v_mov_b32_e32 v131, v56
	v_pk_fma_f32 v[126:127], v[126:127], v[140:141], v[132:133] op_sel_hi:[1,0,1]
	v_pk_fma_f32 v[124:125], v[136:137], v[140:141], v[124:125] op_sel_hi:[1,0,1]
	v_pk_fma_f32 v[138:139], v[84:85], v[64:65], v[62:63] op_sel_hi:[1,0,1]
	s_clause 0x1
	global_load_b128 v[82:85], v[26:27], off offset:1616
	global_load_b128 v[62:65], v[26:27], off offset:1648
	v_pk_fma_f32 v[128:129], v[128:129], v[140:141], v[134:135] op_sel_hi:[1,0,1]
	s_wait_loadcnt 0x6
	v_pk_fma_f32 v[126:127], v[54:55], v[70:71], v[126:127] op_sel_hi:[1,0,1]
	v_pk_fma_f32 v[122:123], v[122:123], v[140:141], v[138:139] op_sel_hi:[1,0,1]
	;; [unrolled: 1-line block ×3, first 2 shown]
	v_xor_b32_e32 v130, 0x80000000, v57
	v_pk_fma_f32 v[128:129], v[86:87], v[70:71], v[128:129] op_sel_hi:[1,0,1]
	v_pk_fma_f32 v[54:55], v[54:55], v[70:71], v[126:127] op_sel:[1,1,0] op_sel_hi:[0,1,1] neg_lo:[1,0,0]
	v_pk_fma_f32 v[122:123], v[78:79], v[70:71], v[122:123] op_sel_hi:[1,0,1]
	v_pk_fma_f32 v[46:47], v[46:47], v[70:71], v[124:125] op_sel:[1,1,0] op_sel_hi:[0,1,1] neg_lo:[1,0,0]
	v_xor_b32_e32 v132, 0x80000000, v49
	v_pk_fma_f32 v[86:87], v[86:87], v[70:71], v[128:129] op_sel:[1,1,0] op_sel_hi:[0,1,1] neg_lo:[1,0,0]
	v_dual_mov_b32 v133, v48 :: v_dual_mov_b32 v135, v88
	v_pk_fma_f32 v[70:71], v[78:79], v[70:71], v[122:123] op_sel:[1,1,0] op_sel_hi:[0,1,1] neg_lo:[1,0,0]
	v_xor_b32_e32 v134, 0x80000000, v89
	v_xor_b32_e32 v136, 0x80000000, v81
	v_mov_b32_e32 v137, v80
	v_pk_fma_f32 v[54:55], v[56:57], v[72:73], v[54:55] op_sel_hi:[1,0,1]
	v_pk_fma_f32 v[46:47], v[48:49], v[72:73], v[46:47] op_sel_hi:[1,0,1]
	;; [unrolled: 1-line block ×4, first 2 shown]
	v_dual_mov_b32 v81, v96 :: v_dual_mov_b32 v72, v73
	v_mov_b32_e32 v57, v108
	v_xor_b32_e32 v56, 0x80000000, v109
	v_xor_b32_e32 v126, 0x80000000, v101
	v_dual_mov_b32 v127, v100 :: v_dual_mov_b32 v49, v32
	v_pk_fma_f32 v[54:55], v[130:131], v[72:73], v[54:55] op_sel_hi:[1,0,1]
	v_pk_fma_f32 v[46:47], v[132:133], v[72:73], v[46:47] op_sel_hi:[1,0,1]
	;; [unrolled: 1-line block ×4, first 2 shown]
	v_xor_b32_e32 v48, 0x80000000, v33
	v_xor_b32_e32 v124, 0x80000000, v117
	v_dual_mov_b32 v125, v116 :: v_dual_mov_b32 v89, v104
	v_mov_b32_e32 v133, v120
	v_xor_b32_e32 v88, 0x80000000, v105
	v_xor_b32_e32 v80, 0x80000000, v97
	v_xor_b32_e32 v132, 0x80000000, v121
	v_xor_b32_e32 v128, 0x80000000, v69
	v_dual_mov_b32 v129, v68 :: v_dual_mov_b32 v79, v44
	v_xor_b32_e32 v122, 0x80000000, v17
	v_dual_mov_b32 v123, v16 :: v_dual_mov_b32 v131, v20
	v_xor_b32_e32 v78, 0x80000000, v45
	v_xor_b32_e32 v130, 0x80000000, v21
	s_wait_xcnt 0x0
	v_add_nc_u64_e32 v[26:27], 0x800, v[26:27]
	s_wait_loadcnt 0x5
	v_pk_fma_f32 v[54:55], v[106:107], v[58:59], v[54:55] op_sel_hi:[1,0,1]
	v_pk_fma_f32 v[46:47], v[98:99], v[58:59], v[46:47] op_sel_hi:[1,0,1]
	;; [unrolled: 1-line block ×4, first 2 shown]
	v_mov_b32_e32 v87, v40
	v_pk_fma_f32 v[54:55], v[106:107], v[58:59], v[54:55] op_sel:[1,1,0] op_sel_hi:[0,1,1] neg_lo:[1,0,0]
	v_pk_fma_f32 v[46:47], v[98:99], v[58:59], v[46:47] op_sel:[1,1,0] op_sel_hi:[0,1,1] neg_lo:[1,0,0]
	v_pk_fma_f32 v[30:31], v[30:31], v[58:59], v[72:73] op_sel:[1,1,0] op_sel_hi:[0,1,1] neg_lo:[1,0,0]
	v_pk_fma_f32 v[58:59], v[114:115], v[58:59], v[70:71] op_sel:[1,1,0] op_sel_hi:[0,1,1] neg_lo:[1,0,0]
	v_mov_b32_e32 v70, v61
	v_pk_fma_f32 v[54:55], v[108:109], v[60:61], v[54:55] op_sel_hi:[1,0,1]
	v_pk_fma_f32 v[46:47], v[100:101], v[60:61], v[46:47] op_sel_hi:[1,0,1]
	;; [unrolled: 1-line block ×4, first 2 shown]
	v_xor_b32_e32 v86, 0x80000000, v41
	v_pk_fma_f32 v[54:55], v[56:57], v[70:71], v[54:55] op_sel_hi:[1,0,1]
	v_pk_fma_f32 v[46:47], v[126:127], v[70:71], v[46:47] op_sel_hi:[1,0,1]
	v_pk_fma_f32 v[30:31], v[48:49], v[70:71], v[30:31] op_sel_hi:[1,0,1]
	v_pk_fma_f32 v[32:33], v[124:125], v[70:71], v[32:33] op_sel_hi:[1,0,1]
	v_xor_b32_e32 v48, 0x80000000, v113
	s_wait_loadcnt 0x4
	v_pk_fma_f32 v[54:55], v[102:103], v[50:51], v[54:55] op_sel_hi:[1,0,1]
	v_pk_fma_f32 v[46:47], v[94:95], v[50:51], v[46:47] op_sel_hi:[1,0,1]
	;; [unrolled: 1-line block ×4, first 2 shown]
	v_mov_b32_e32 v49, v112
	v_pk_fma_f32 v[54:55], v[102:103], v[50:51], v[54:55] op_sel:[1,1,0] op_sel_hi:[0,1,1] neg_lo:[1,0,0]
	v_pk_fma_f32 v[46:47], v[94:95], v[50:51], v[46:47] op_sel:[1,1,0] op_sel_hi:[0,1,1] neg_lo:[1,0,0]
	;; [unrolled: 1-line block ×4, first 2 shown]
	v_mov_b32_e32 v50, v53
	v_pk_fma_f32 v[54:55], v[104:105], v[52:53], v[54:55] op_sel_hi:[1,0,1]
	v_pk_fma_f32 v[46:47], v[96:97], v[52:53], v[46:47] op_sel_hi:[1,0,1]
	;; [unrolled: 1-line block ×4, first 2 shown]
	s_wait_loadcnt 0x1
	v_mov_b32_e32 v53, v84
	v_xor_b32_e32 v52, 0x80000000, v85
	s_delay_alu instid0(VALU_DEP_3)
	v_pk_fma_f32 v[32:33], v[48:49], v[50:51], v[32:33] op_sel_hi:[1,0,1]
	v_mov_b32_e32 v49, v36
	v_pk_fma_f32 v[54:55], v[88:89], v[50:51], v[54:55] op_sel_hi:[1,0,1]
	v_pk_fma_f32 v[46:47], v[80:81], v[50:51], v[46:47] op_sel_hi:[1,0,1]
	;; [unrolled: 1-line block ×4, first 2 shown]
	v_xor_b32_e32 v48, 0x80000000, v37
	v_pk_fma_f32 v[50:51], v[66:67], v[74:75], v[54:55] op_sel_hi:[1,0,1]
	v_pk_fma_f32 v[46:47], v[14:15], v[74:75], v[46:47] op_sel_hi:[1,0,1]
	;; [unrolled: 1-line block ×3, first 2 shown]
	v_pk_fma_f32 v[32:33], v[34:35], v[74:75], v[32:33] op_sel:[1,1,0] op_sel_hi:[0,1,1] neg_lo:[1,0,0]
	v_mov_b32_e32 v34, v77
	v_pk_fma_f32 v[50:51], v[66:67], v[74:75], v[50:51] op_sel:[1,1,0] op_sel_hi:[0,1,1] neg_lo:[1,0,0]
	v_pk_fma_f32 v[14:15], v[14:15], v[74:75], v[46:47] op_sel:[1,1,0] op_sel_hi:[0,1,1] neg_lo:[1,0,0]
	;; [unrolled: 1-line block ×3, first 2 shown]
	s_delay_alu instid0(VALU_DEP_3) | instskip(NEXT) | instid1(VALU_DEP_3)
	v_pk_fma_f32 v[38:39], v[68:69], v[76:77], v[50:51] op_sel_hi:[1,0,1]
	v_pk_fma_f32 v[14:15], v[16:17], v[76:77], v[14:15] op_sel_hi:[1,0,1]
	s_delay_alu instid0(VALU_DEP_3) | instskip(SKIP_1) | instid1(VALU_DEP_4)
	v_pk_fma_f32 v[16:17], v[40:41], v[76:77], v[30:31] op_sel_hi:[1,0,1]
	v_pk_fma_f32 v[30:31], v[36:37], v[76:77], v[32:33] op_sel_hi:[1,0,1]
	;; [unrolled: 1-line block ×3, first 2 shown]
	s_delay_alu instid0(VALU_DEP_4) | instskip(NEXT) | instid1(VALU_DEP_4)
	v_pk_fma_f32 v[14:15], v[122:123], v[34:35], v[14:15] op_sel_hi:[1,0,1]
	v_pk_fma_f32 v[16:17], v[86:87], v[34:35], v[16:17] op_sel_hi:[1,0,1]
	s_delay_alu instid0(VALU_DEP_4)
	v_pk_fma_f32 v[30:31], v[48:49], v[34:35], v[30:31] op_sel_hi:[1,0,1]
	s_wait_loadcnt 0x0
	v_xor_b32_e32 v34, 0x80000000, v65
	v_pk_fma_f32 v[32:33], v[42:43], v[90:91], v[32:33] op_sel_hi:[1,0,1]
	v_pk_fma_f32 v[14:15], v[18:19], v[90:91], v[14:15] op_sel_hi:[1,0,1]
	;; [unrolled: 1-line block ×4, first 2 shown]
	v_mov_b32_e32 v35, v64
	v_pk_fma_f32 v[32:33], v[42:43], v[90:91], v[32:33] op_sel:[1,1,0] op_sel_hi:[0,1,1] neg_lo:[1,0,0]
	v_pk_fma_f32 v[14:15], v[18:19], v[90:91], v[14:15] op_sel:[1,1,0] op_sel_hi:[0,1,1] neg_lo:[1,0,0]
	;; [unrolled: 1-line block ×4, first 2 shown]
	v_mov_b32_e32 v30, v93
	v_pk_fma_f32 v[32:33], v[44:45], v[92:93], v[32:33] op_sel_hi:[1,0,1]
	v_pk_fma_f32 v[14:15], v[20:21], v[92:93], v[14:15] op_sel_hi:[1,0,1]
	;; [unrolled: 1-line block ×4, first 2 shown]
	s_delay_alu instid0(VALU_DEP_4) | instskip(NEXT) | instid1(VALU_DEP_4)
	v_pk_fma_f32 v[20:21], v[78:79], v[30:31], v[32:33] op_sel_hi:[1,0,1]
	v_pk_fma_f32 v[14:15], v[130:131], v[30:31], v[14:15] op_sel_hi:[1,0,1]
	s_delay_alu instid0(VALU_DEP_4) | instskip(NEXT) | instid1(VALU_DEP_4)
	v_pk_fma_f32 v[18:19], v[52:53], v[30:31], v[16:17] op_sel_hi:[1,0,1]
	v_pk_fma_f32 v[16:17], v[34:35], v[30:31], v[36:37] op_sel_hi:[1,0,1]
	s_and_not1_b32 exec_lo, exec_lo, s10
	s_cbranch_execnz .LBB30_17
; %bb.18:
	s_or_b32 exec_lo, exec_lo, s10
.LBB30_19:
	s_delay_alu instid0(SALU_CYCLE_1)
	s_or_b32 exec_lo, exec_lo, s7
.LBB30_20:
	s_delay_alu instid0(SALU_CYCLE_1)
	s_or_b32 exec_lo, exec_lo, s6
	s_cbranch_execz .LBB30_22
	s_branch .LBB30_33
.LBB30_21:
                                        ; implicit-def: $vgpr21
                                        ; implicit-def: $vgpr17
                                        ; implicit-def: $vgpr19
                                        ; implicit-def: $vgpr15
.LBB30_22:
	v_dual_mov_b32 v21, 0 :: v_dual_mov_b32 v20, 0
	v_dual_mov_b32 v17, 0 :: v_dual_mov_b32 v16, 0
	;; [unrolled: 1-line block ×4, first 2 shown]
	s_and_saveexec_b32 s6, s3
	s_cbranch_execz .LBB30_32
; %bb.23:
	v_dual_mov_b32 v15, v1 :: v_dual_bitop2_b32 v14, 4, v0 bitop3:0x54
	v_sub_nc_u64_e32 v[16:17], s[12:13], v[0:1]
	v_not_b32_e32 v19, v23
	v_not_b32_e32 v18, v22
	s_delay_alu instid0(VALU_DEP_4) | instskip(NEXT) | instid1(VALU_DEP_2)
	v_sub_nc_u64_e64 v[14:15], v[14:15], s[12:13]
	v_add_nc_u64_e32 v[16:17], v[16:17], v[18:19]
	s_delay_alu instid0(VALU_DEP_2) | instskip(NEXT) | instid1(VALU_DEP_1)
	v_add_nc_u64_e32 v[14:15], v[14:15], v[22:23]
	v_max_i64 v[14:15], v[14:15], v[10:11]
	s_delay_alu instid0(VALU_DEP_1) | instskip(NEXT) | instid1(VALU_DEP_1)
	v_add_nc_u64_e32 v[22:23], v[16:17], v[14:15]
	v_dual_mov_b32 v15, 0 :: v_dual_bitop2_b32 v14, 12, v22 bitop3:0x40
	s_delay_alu instid0(VALU_DEP_1) | instskip(SKIP_2) | instid1(VALU_DEP_4)
	v_dual_mov_b32 v19, v15 :: v_dual_mov_b32 v18, v15
	v_dual_mov_b32 v17, v15 :: v_dual_mov_b32 v16, v15
	v_mov_b32_e32 v20, v15
	v_cmp_ne_u64_e32 vcc_lo, 12, v[14:15]
	v_dual_mov_b32 v14, v15 :: v_dual_mov_b32 v21, v15
	s_and_saveexec_b32 s3, vcc_lo
	s_cbranch_execz .LBB30_27
; %bb.24:
	v_dual_lshrrev_b32 v1, 2, v22 :: v_dual_mov_b32 v15, 0
	v_lshl_add_u64 v[24:25], v[8:9], 2, s[8:9]
	s_mov_b32 s7, 0
	s_delay_alu instid0(VALU_DEP_2) | instskip(SKIP_1) | instid1(VALU_DEP_2)
	v_dual_mov_b32 v18, v15 :: v_dual_add_nc_u32 v1, 1, v1
	v_dual_mov_b32 v16, v15 :: v_dual_mov_b32 v17, v15
	v_dual_mov_b32 v20, v15 :: v_dual_bitop2_b32 v14, 3, v1 bitop3:0x40
	v_dual_mov_b32 v19, v15 :: v_dual_mov_b32 v21, v15
	s_delay_alu instid0(VALU_DEP_2)
	v_sub_nc_u64_e32 v[26:27], 0, v[14:15]
	v_mov_b32_e32 v14, v15
.LBB30_25:                              ; =>This Inner Loop Header: Depth=1
	global_load_b32 v1, v[24:25], off
	s_clause 0x4
	global_load_b128 v[28:31], v[12:13], off offset:32
	global_load_b128 v[32:35], v[12:13], off offset:16
	global_load_b128 v[36:39], v[12:13], off
	global_load_b128 v[40:43], v[12:13], off offset:64
	global_load_b128 v[44:47], v[12:13], off offset:96
	v_add_nc_u64_e32 v[26:27], 1, v[26:27]
	v_add_nc_u64_e32 v[8:9], 4, v[8:9]
	s_wait_xcnt 0x5
	v_add_nc_u64_e32 v[24:25], 16, v[24:25]
	s_delay_alu instid0(VALU_DEP_3)
	v_cmp_eq_u64_e32 vcc_lo, 0, v[26:27]
	s_or_b32 s7, vcc_lo, s7
	s_wait_loadcnt 0x5
	v_subrev_nc_u32_e32 v1, s12, v1
	s_wait_loadcnt 0x4
	v_xor_b32_e32 v70, 0x80000000, v31
	s_wait_loadcnt 0x3
	v_xor_b32_e32 v76, 0x80000000, v35
	v_mov_b32_e32 v71, v30
	s_wait_loadcnt 0x1
	v_xor_b32_e32 v72, 0x80000000, v43
	v_dual_mov_b32 v73, v42 :: v_dual_lshlrev_b32 v48, 2, v1
	s_wait_loadcnt 0x0
	v_mov_b32_e32 v75, v46
	v_xor_b32_e32 v74, 0x80000000, v47
	s_delay_alu instid0(VALU_DEP_3) | instskip(SKIP_1) | instid1(VALU_DEP_1)
	v_ashrrev_i32_e32 v49, 31, v48
	s_wait_kmcnt 0x0
	v_lshl_add_u64 v[68:69], v[48:49], 3, s[4:5]
	global_load_b128 v[48:51], v[12:13], off offset:48
	s_clause 0x1
	global_load_b128 v[52:55], v[68:69], off
	global_load_b128 v[56:59], v[68:69], off offset:16
	s_clause 0x1
	global_load_b128 v[60:63], v[12:13], off offset:80
	global_load_b128 v[64:67], v[12:13], off offset:112
	s_wait_xcnt 0x2
	v_xor_b32_e32 v68, 0x80000000, v39
	v_dual_mov_b32 v69, v38 :: v_dual_mov_b32 v77, v34
	s_wait_xcnt 0x0
	v_add_nc_u64_e32 v[12:13], 0x200, v[12:13]
	s_wait_loadcnt 0x4
	v_mov_b32_e32 v79, v50
	s_wait_loadcnt 0x3
	v_pk_fma_f32 v[20:21], v[36:37], v[52:53], v[20:21] op_sel_hi:[1,0,1]
	v_pk_fma_f32 v[14:15], v[38:39], v[52:53], v[14:15] op_sel_hi:[1,0,1]
	v_pk_fma_f32 v[18:19], v[32:33], v[52:53], v[18:19] op_sel_hi:[1,0,1]
	v_pk_fma_f32 v[16:17], v[34:35], v[52:53], v[16:17] op_sel_hi:[1,0,1]
	v_xor_b32_e32 v78, 0x80000000, v51
	v_pk_fma_f32 v[20:21], v[36:37], v[52:53], v[20:21] op_sel:[1,1,0] op_sel_hi:[0,1,1] neg_lo:[1,0,0]
	v_pk_fma_f32 v[14:15], v[68:69], v[52:53], v[14:15] op_sel:[0,1,0]
	v_pk_fma_f32 v[18:19], v[32:33], v[52:53], v[18:19] op_sel:[1,1,0] op_sel_hi:[0,1,1] neg_lo:[1,0,0]
	v_pk_fma_f32 v[16:17], v[76:77], v[52:53], v[16:17] op_sel:[0,1,0]
	s_wait_loadcnt 0x1
	v_dual_mov_b32 v32, v55 :: v_dual_mov_b32 v35, v62
	v_pk_fma_f32 v[20:21], v[28:29], v[54:55], v[20:21] op_sel_hi:[1,0,1]
	v_pk_fma_f32 v[14:15], v[30:31], v[54:55], v[14:15] op_sel_hi:[1,0,1]
	;; [unrolled: 1-line block ×4, first 2 shown]
	v_xor_b32_e32 v34, 0x80000000, v63
	v_pk_fma_f32 v[20:21], v[28:29], v[32:33], v[20:21] op_sel:[1,0,0] op_sel_hi:[0,0,1] neg_lo:[1,0,0]
	v_pk_fma_f32 v[14:15], v[70:71], v[32:33], v[14:15] op_sel_hi:[1,0,1]
	v_pk_fma_f32 v[18:19], v[48:49], v[32:33], v[18:19] op_sel:[1,0,0] op_sel_hi:[0,0,1] neg_lo:[1,0,0]
	v_pk_fma_f32 v[16:17], v[78:79], v[32:33], v[16:17] op_sel_hi:[1,0,1]
	s_wait_loadcnt 0x0
	v_xor_b32_e32 v28, 0x80000000, v67
	v_pk_fma_f32 v[20:21], v[40:41], v[56:57], v[20:21] op_sel_hi:[1,0,1]
	v_pk_fma_f32 v[14:15], v[42:43], v[56:57], v[14:15] op_sel_hi:[1,0,1]
	;; [unrolled: 1-line block ×4, first 2 shown]
	v_dual_mov_b32 v29, v66 :: v_dual_mov_b32 v30, v59
	v_pk_fma_f32 v[20:21], v[40:41], v[56:57], v[20:21] op_sel:[1,1,0] op_sel_hi:[0,1,1] neg_lo:[1,0,0]
	v_pk_fma_f32 v[14:15], v[72:73], v[56:57], v[14:15] op_sel:[0,1,0]
	v_pk_fma_f32 v[18:19], v[60:61], v[56:57], v[18:19] op_sel:[1,1,0] op_sel_hi:[0,1,1] neg_lo:[1,0,0]
	v_pk_fma_f32 v[16:17], v[34:35], v[56:57], v[16:17] op_sel:[0,1,0]
	s_delay_alu instid0(VALU_DEP_4) | instskip(NEXT) | instid1(VALU_DEP_4)
	v_pk_fma_f32 v[20:21], v[44:45], v[58:59], v[20:21] op_sel_hi:[1,0,1]
	v_pk_fma_f32 v[14:15], v[46:47], v[58:59], v[14:15] op_sel_hi:[1,0,1]
	s_delay_alu instid0(VALU_DEP_4) | instskip(NEXT) | instid1(VALU_DEP_4)
	v_pk_fma_f32 v[18:19], v[64:65], v[58:59], v[18:19] op_sel_hi:[1,0,1]
	v_pk_fma_f32 v[16:17], v[66:67], v[58:59], v[16:17] op_sel_hi:[1,0,1]
	s_delay_alu instid0(VALU_DEP_4) | instskip(NEXT) | instid1(VALU_DEP_4)
	v_pk_fma_f32 v[20:21], v[44:45], v[30:31], v[20:21] op_sel:[1,0,0] op_sel_hi:[0,0,1] neg_lo:[1,0,0]
	v_pk_fma_f32 v[14:15], v[74:75], v[30:31], v[14:15] op_sel_hi:[1,0,1]
	s_delay_alu instid0(VALU_DEP_4) | instskip(NEXT) | instid1(VALU_DEP_4)
	v_pk_fma_f32 v[18:19], v[64:65], v[30:31], v[18:19] op_sel:[1,0,0] op_sel_hi:[0,0,1] neg_lo:[1,0,0]
	v_pk_fma_f32 v[16:17], v[28:29], v[30:31], v[16:17] op_sel_hi:[1,0,1]
	s_and_not1_b32 exec_lo, exec_lo, s7
	s_cbranch_execnz .LBB30_25
; %bb.26:
	s_or_b32 exec_lo, exec_lo, s7
.LBB30_27:
	s_delay_alu instid0(SALU_CYCLE_1) | instskip(NEXT) | instid1(SALU_CYCLE_1)
	s_or_b32 exec_lo, exec_lo, s3
	s_mov_b32 s3, exec_lo
	v_cmpx_lt_u64_e32 11, v[22:23]
	s_cbranch_execz .LBB30_31
; %bb.28:
	v_lshl_add_u64 v[22:23], v[8:9], 2, s[8:9]
	s_mov_b32 s7, 0
	s_delay_alu instid0(VALU_DEP_1)
	v_add_nc_u64_e32 v[22:23], 32, v[22:23]
.LBB30_29:                              ; =>This Inner Loop Header: Depth=1
	global_load_b32 v1, v[22:23], off offset:-32
	s_clause 0xb
	global_load_b128 v[24:27], v[12:13], off
	global_load_b128 v[28:31], v[12:13], off offset:16
	global_load_b128 v[32:35], v[12:13], off offset:48
	;; [unrolled: 1-line block ×11, first 2 shown]
	s_clause 0x2
	global_load_b32 v7, v[22:23], off offset:-16
	global_load_b32 v116, v[22:23], off
	global_load_b32 v118, v[22:23], off offset:16
	s_clause 0x6
	global_load_b128 v[72:75], v[12:13], off offset:624
	global_load_b128 v[76:79], v[12:13], off offset:608
	;; [unrolled: 1-line block ×7, first 2 shown]
	v_add_nc_u64_e32 v[8:9], 16, v[8:9]
	s_wait_xcnt 0x7
	v_add_nc_u64_e32 v[22:23], 64, v[22:23]
	s_delay_alu instid0(VALU_DEP_2)
	v_cmp_ge_i64_e32 vcc_lo, v[8:9], v[10:11]
	s_or_b32 s7, vcc_lo, s7
	s_wait_loadcnt 0x16
	v_subrev_nc_u32_e32 v1, s12, v1
	s_wait_loadcnt 0x15
	v_mov_b32_e32 v109, v26
	v_xor_b32_e32 v108, 0x80000000, v27
	s_delay_alu instid0(VALU_DEP_3) | instskip(SKIP_1) | instid1(VALU_DEP_1)
	v_lshlrev_b32_e32 v100, 2, v1
	s_wait_loadcnt 0xc
	v_dual_ashrrev_i32 v101, 31, v100 :: v_dual_mov_b32 v117, v62
	s_wait_loadcnt 0x9
	v_subrev_nc_u32_e32 v1, s12, v7
	s_wait_kmcnt 0x0
	s_delay_alu instid0(VALU_DEP_2)
	v_lshl_add_u64 v[110:111], v[100:101], 3, s[4:5]
	s_clause 0x1
	global_load_b128 v[100:103], v[110:111], off
	global_load_b128 v[104:107], v[110:111], off offset:16
	s_wait_loadcnt 0x1
	v_pk_fma_f32 v[20:21], v[24:25], v[100:101], v[20:21] op_sel_hi:[1,0,1]
	s_wait_xcnt 0x0
	v_pk_fma_f32 v[110:111], v[26:27], v[100:101], v[14:15] op_sel_hi:[1,0,1]
	v_pk_fma_f32 v[14:15], v[28:29], v[100:101], v[18:19] op_sel_hi:[1,0,1]
	;; [unrolled: 1-line block ×3, first 2 shown]
	v_pk_fma_f32 v[112:113], v[24:25], v[100:101], v[20:21] op_sel:[1,1,0] op_sel_hi:[0,1,1] neg_lo:[1,0,0]
	v_xor_b32_e32 v20, 0x80000000, v31
	v_mov_b32_e32 v21, v30
	v_pk_fma_f32 v[28:29], v[28:29], v[100:101], v[14:15] op_sel:[1,1,0] op_sel_hi:[0,1,1] neg_lo:[1,0,0]
	v_pk_fma_f32 v[30:31], v[108:109], v[100:101], v[110:111] op_sel:[0,1,0]
	v_pk_fma_f32 v[108:109], v[36:37], v[102:103], v[112:113] op_sel_hi:[1,0,1]
	v_xor_b32_e32 v112, 0x80000000, v39
	v_pk_fma_f32 v[100:101], v[20:21], v[100:101], v[18:19] op_sel:[0,1,0]
	v_pk_fma_f32 v[28:29], v[32:33], v[102:103], v[28:29] op_sel_hi:[1,0,1]
	v_pk_fma_f32 v[110:111], v[38:39], v[102:103], v[30:31] op_sel_hi:[1,0,1]
	v_mov_b32_e32 v113, v38
	v_xor_b32_e32 v38, 0x80000000, v35
	v_pk_fma_f32 v[100:101], v[34:35], v[102:103], v[100:101] op_sel_hi:[1,0,1]
	v_dual_mov_b32 v102, v103 :: v_dual_mov_b32 v39, v34
	s_clause 0x2
	global_load_b128 v[24:27], v[12:13], off offset:1024
	global_load_b128 v[14:17], v[12:13], off offset:1136
	;; [unrolled: 1-line block ×3, first 2 shown]
	v_pk_fma_f32 v[36:37], v[36:37], v[102:103], v[108:109] op_sel:[1,0,0] op_sel_hi:[0,0,1] neg_lo:[1,0,0]
	v_pk_fma_f32 v[110:111], v[112:113], v[102:103], v[110:111] op_sel_hi:[1,0,1]
	v_pk_fma_f32 v[108:109], v[32:33], v[102:103], v[28:29] op_sel:[1,0,0] op_sel_hi:[0,0,1] neg_lo:[1,0,0]
	v_pk_fma_f32 v[100:101], v[38:39], v[102:103], v[100:101] op_sel_hi:[1,0,1]
	v_xor_b32_e32 v102, 0x80000000, v55
	v_mov_b32_e32 v103, v54
	s_wait_loadcnt 0x3
	v_pk_fma_f32 v[36:37], v[52:53], v[104:105], v[36:37] op_sel_hi:[1,0,1]
	v_pk_fma_f32 v[54:55], v[54:55], v[104:105], v[110:111] op_sel_hi:[1,0,1]
	;; [unrolled: 1-line block ×4, first 2 shown]
	v_mov_b32_e32 v113, v70
	v_pk_fma_f32 v[110:111], v[52:53], v[104:105], v[36:37] op_sel:[1,1,0] op_sel_hi:[0,1,1] neg_lo:[1,0,0]
	v_xor_b32_e32 v52, 0x80000000, v51
	v_mov_b32_e32 v53, v50
	v_pk_fma_f32 v[102:103], v[102:103], v[104:105], v[54:55] op_sel:[0,1,0]
	v_pk_fma_f32 v[108:109], v[48:49], v[104:105], v[108:109] op_sel:[1,1,0] op_sel_hi:[0,1,1] neg_lo:[1,0,0]
	s_clause 0x1
	global_load_b128 v[28:31], v[12:13], off offset:1104
	global_load_b128 v[32:35], v[12:13], off offset:1088
	v_pk_fma_f32 v[100:101], v[52:53], v[104:105], v[100:101] op_sel:[0,1,0]
	v_pk_fma_f32 v[104:105], v[44:45], v[106:107], v[110:111] op_sel_hi:[1,0,1]
	v_pk_fma_f32 v[102:103], v[46:47], v[106:107], v[102:103] op_sel_hi:[1,0,1]
	v_dual_mov_b32 v111, v46 :: v_dual_lshlrev_b32 v46, 2, v1
	v_pk_fma_f32 v[108:109], v[40:41], v[106:107], v[108:109] op_sel_hi:[1,0,1]
	v_pk_fma_f32 v[100:101], v[42:43], v[106:107], v[100:101] op_sel_hi:[1,0,1]
	v_mov_b32_e32 v106, v107
	v_xor_b32_e32 v110, 0x80000000, v47
	v_ashrrev_i32_e32 v47, 31, v46
	s_clause 0x1
	global_load_b128 v[36:39], v[12:13], off offset:1584
	global_load_b128 v[48:51], v[12:13], off offset:1568
	v_pk_fma_f32 v[104:105], v[44:45], v[106:107], v[104:105] op_sel:[1,0,0] op_sel_hi:[0,0,1] neg_lo:[1,0,0]
	v_xor_b32_e32 v44, 0x80000000, v43
	v_mov_b32_e32 v45, v42
	v_lshl_add_u64 v[114:115], v[46:47], 3, s[4:5]
	global_load_b128 v[52:55], v[12:13], off offset:1536
	v_pk_fma_f32 v[108:109], v[40:41], v[106:107], v[108:109] op_sel:[1,0,0] op_sel_hi:[0,0,1] neg_lo:[1,0,0]
	global_load_b128 v[40:43], v[12:13], off offset:1632
	v_pk_fma_f32 v[110:111], v[110:111], v[106:107], v[102:103] op_sel_hi:[1,0,1]
	v_pk_fma_f32 v[106:107], v[44:45], v[106:107], v[100:101] op_sel_hi:[1,0,1]
	s_clause 0x1
	global_load_b128 v[44:47], v[114:115], off
	global_load_b128 v[100:103], v[114:115], off offset:16
	v_subrev_nc_u32_e32 v1, s12, v116
	v_xor_b32_e32 v112, 0x80000000, v71
	v_xor_b32_e32 v116, 0x80000000, v63
	s_wait_loadcnt 0x1
	v_pk_fma_f32 v[70:71], v[70:71], v[44:45], v[110:111] op_sel_hi:[1,0,1]
	s_wait_xcnt 0x0
	v_dual_lshlrev_b32 v110, 2, v1 :: v_dual_mov_b32 v114, v47
	v_pk_fma_f32 v[104:105], v[68:69], v[44:45], v[104:105] op_sel_hi:[1,0,1]
	v_pk_fma_f32 v[108:109], v[64:65], v[44:45], v[108:109] op_sel_hi:[1,0,1]
	v_pk_fma_f32 v[106:107], v[66:67], v[44:45], v[106:107] op_sel_hi:[1,0,1]
	s_delay_alu instid0(VALU_DEP_4)
	v_ashrrev_i32_e32 v111, 31, v110
	v_pk_fma_f32 v[112:113], v[112:113], v[44:45], v[70:71] op_sel:[0,1,0]
	v_pk_fma_f32 v[104:105], v[68:69], v[44:45], v[104:105] op_sel:[1,1,0] op_sel_hi:[0,1,1] neg_lo:[1,0,0]
	v_xor_b32_e32 v68, 0x80000000, v67
	v_mov_b32_e32 v69, v66
	v_lshl_add_u64 v[110:111], v[110:111], 3, s[4:5]
	v_pk_fma_f32 v[108:109], v[64:65], v[44:45], v[108:109] op_sel:[1,1,0] op_sel_hi:[0,1,1] neg_lo:[1,0,0]
	v_pk_fma_f32 v[104:105], v[60:61], v[46:47], v[104:105] op_sel_hi:[1,0,1]
	v_subrev_nc_u32_e32 v1, s12, v118
	v_pk_fma_f32 v[44:45], v[68:69], v[44:45], v[106:107] op_sel:[0,1,0]
	global_load_b128 v[68:71], v[110:111], off
	v_pk_fma_f32 v[108:109], v[56:57], v[46:47], v[108:109] op_sel_hi:[1,0,1]
	v_pk_fma_f32 v[106:107], v[62:63], v[46:47], v[112:113] op_sel_hi:[1,0,1]
	v_pk_fma_f32 v[60:61], v[60:61], v[114:115], v[104:105] op_sel:[1,0,0] op_sel_hi:[0,0,1] neg_lo:[1,0,0]
	v_pk_fma_f32 v[112:113], v[58:59], v[46:47], v[44:45] op_sel_hi:[1,0,1]
	v_xor_b32_e32 v62, 0x80000000, v59
	v_mov_b32_e32 v63, v58
	v_pk_fma_f32 v[104:105], v[56:57], v[114:115], v[108:109] op_sel:[1,0,0] op_sel_hi:[0,0,1] neg_lo:[1,0,0]
	global_load_b128 v[56:59], v[110:111], off offset:16
	v_mov_b32_e32 v109, v86
	v_pk_fma_f32 v[106:107], v[116:117], v[114:115], v[106:107] op_sel_hi:[1,0,1]
	v_mov_b32_e32 v117, v82
	v_pk_fma_f32 v[112:113], v[62:63], v[114:115], v[112:113] op_sel_hi:[1,0,1]
	v_lshlrev_b32_e32 v62, 2, v1
	s_clause 0x1
	global_load_b128 v[64:67], v[12:13], off offset:1600
	global_load_b128 v[44:47], v[12:13], off offset:1552
	s_wait_loadcnt 0x4
	v_pk_fma_f32 v[60:61], v[84:85], v[100:101], v[60:61] op_sel_hi:[1,0,1]
	v_xor_b32_e32 v108, 0x80000000, v87
	v_ashrrev_i32_e32 v63, 31, v62
	v_xor_b32_e32 v116, 0x80000000, v83
	v_pk_fma_f32 v[106:107], v[86:87], v[100:101], v[106:107] op_sel_hi:[1,0,1]
	v_pk_fma_f32 v[114:115], v[84:85], v[100:101], v[60:61] op_sel:[1,1,0] op_sel_hi:[0,1,1] neg_lo:[1,0,0]
	v_pk_fma_f32 v[84:85], v[80:81], v[100:101], v[104:105] op_sel_hi:[1,0,1]
	s_wait_xcnt 0x2
	v_lshl_add_u64 v[110:111], v[62:63], 3, s[4:5]
	v_pk_fma_f32 v[104:105], v[82:83], v[100:101], v[112:113] op_sel_hi:[1,0,1]
	v_pk_fma_f32 v[108:109], v[108:109], v[100:101], v[106:107] op_sel:[0,1,0]
	v_pk_fma_f32 v[112:113], v[80:81], v[100:101], v[84:85] op_sel:[1,1,0] op_sel_hi:[0,1,1] neg_lo:[1,0,0]
	global_load_b128 v[60:63], v[110:111], off
	global_load_b128 v[80:83], v[12:13], off offset:1616
	global_load_b128 v[84:87], v[110:111], off offset:16
	v_pk_fma_f32 v[100:101], v[116:117], v[100:101], v[104:105] op_sel:[0,1,0]
	global_load_b128 v[104:107], v[12:13], off offset:1648
	s_wait_xcnt 0x1
	v_pk_fma_f32 v[110:111], v[76:77], v[102:103], v[114:115] op_sel_hi:[1,0,1]
	v_pk_fma_f32 v[108:109], v[78:79], v[102:103], v[108:109] op_sel_hi:[1,0,1]
	;; [unrolled: 1-line block ×4, first 2 shown]
	v_mov_b32_e32 v102, v103
	v_xor_b32_e32 v114, 0x80000000, v79
	v_dual_mov_b32 v115, v78 :: v_dual_mov_b32 v79, v74
	v_xor_b32_e32 v78, 0x80000000, v75
	s_delay_alu instid0(VALU_DEP_4) | instskip(SKIP_1) | instid1(VALU_DEP_4)
	v_pk_fma_f32 v[76:77], v[76:77], v[102:103], v[110:111] op_sel:[1,0,0] op_sel_hi:[0,0,1] neg_lo:[1,0,0]
	v_pk_fma_f32 v[72:73], v[72:73], v[102:103], v[112:113] op_sel:[1,0,0] op_sel_hi:[0,0,1] neg_lo:[1,0,0]
	v_pk_fma_f32 v[108:109], v[114:115], v[102:103], v[108:109] op_sel_hi:[1,0,1]
	v_xor_b32_e32 v74, 0x80000000, v27
	v_pk_fma_f32 v[78:79], v[78:79], v[102:103], v[100:101] op_sel_hi:[1,0,1]
	v_dual_mov_b32 v75, v26 :: v_dual_mov_b32 v111, v98
	v_xor_b32_e32 v110, 0x80000000, v99
	v_xor_b32_e32 v112, 0x80000000, v95
	v_dual_mov_b32 v113, v94 :: v_dual_mov_b32 v115, v90
	v_xor_b32_e32 v114, 0x80000000, v91
	v_xor_b32_e32 v100, 0x80000000, v35
	v_dual_mov_b32 v101, v34 :: v_dual_mov_b32 v103, v30
	v_xor_b32_e32 v102, 0x80000000, v31
	s_wait_xcnt 0x0
	v_add_nc_u64_e32 v[12:13], 0x800, v[12:13]
	s_wait_loadcnt 0x7
	v_pk_fma_f32 v[76:77], v[24:25], v[68:69], v[76:77] op_sel_hi:[1,0,1]
	v_pk_fma_f32 v[26:27], v[26:27], v[68:69], v[108:109] op_sel_hi:[1,0,1]
	;; [unrolled: 1-line block ×4, first 2 shown]
	v_mov_b32_e32 v109, v54
	v_pk_fma_f32 v[24:25], v[24:25], v[68:69], v[76:77] op_sel:[1,1,0] op_sel_hi:[0,1,1] neg_lo:[1,0,0]
	v_pk_fma_f32 v[26:27], v[74:75], v[68:69], v[26:27] op_sel:[0,1,0]
	v_pk_fma_f32 v[72:73], v[96:97], v[68:69], v[72:73] op_sel:[1,1,0] op_sel_hi:[0,1,1] neg_lo:[1,0,0]
	v_pk_fma_f32 v[68:69], v[110:111], v[68:69], v[78:79] op_sel:[0,1,0]
	v_mov_b32_e32 v75, v42
	v_pk_fma_f32 v[24:25], v[92:93], v[70:71], v[24:25] op_sel_hi:[1,0,1]
	v_pk_fma_f32 v[26:27], v[94:95], v[70:71], v[26:27] op_sel_hi:[1,0,1]
	;; [unrolled: 1-line block ×4, first 2 shown]
	v_mov_b32_e32 v70, v71
	v_xor_b32_e32 v76, 0x80000000, v21
	v_mov_b32_e32 v77, v20
	v_xor_b32_e32 v78, 0x80000000, v17
	v_mov_b32_e32 v79, v16
	v_pk_fma_f32 v[24:25], v[92:93], v[70:71], v[24:25] op_sel:[1,0,0] op_sel_hi:[0,0,1] neg_lo:[1,0,0]
	v_pk_fma_f32 v[26:27], v[112:113], v[70:71], v[26:27] op_sel_hi:[1,0,1]
	v_pk_fma_f32 v[72:73], v[88:89], v[70:71], v[72:73] op_sel:[1,0,0] op_sel_hi:[0,0,1] neg_lo:[1,0,0]
	v_pk_fma_f32 v[68:69], v[114:115], v[70:71], v[68:69] op_sel_hi:[1,0,1]
	s_wait_loadcnt 0x4
	v_mov_b32_e32 v71, v46
	v_pk_fma_f32 v[24:25], v[32:33], v[56:57], v[24:25] op_sel_hi:[1,0,1]
	v_pk_fma_f32 v[26:27], v[34:35], v[56:57], v[26:27] op_sel_hi:[1,0,1]
	v_pk_fma_f32 v[34:35], v[28:29], v[56:57], v[72:73] op_sel_hi:[1,0,1]
	v_pk_fma_f32 v[30:31], v[30:31], v[56:57], v[68:69] op_sel_hi:[1,0,1]
	v_xor_b32_e32 v108, 0x80000000, v55
	v_pk_fma_f32 v[24:25], v[32:33], v[56:57], v[24:25] op_sel:[1,1,0] op_sel_hi:[0,1,1] neg_lo:[1,0,0]
	v_pk_fma_f32 v[26:27], v[100:101], v[56:57], v[26:27] op_sel:[0,1,0]
	v_pk_fma_f32 v[28:29], v[28:29], v[56:57], v[34:35] op_sel:[1,1,0] op_sel_hi:[0,1,1] neg_lo:[1,0,0]
	v_pk_fma_f32 v[30:31], v[102:103], v[56:57], v[30:31] op_sel:[0,1,0]
	v_mov_b32_e32 v32, v59
	v_pk_fma_f32 v[24:25], v[18:19], v[58:59], v[24:25] op_sel_hi:[1,0,1]
	v_pk_fma_f32 v[20:21], v[20:21], v[58:59], v[26:27] op_sel_hi:[1,0,1]
	;; [unrolled: 1-line block ×4, first 2 shown]
	v_mov_b32_e32 v29, v38
	v_pk_fma_f32 v[18:19], v[18:19], v[32:33], v[24:25] op_sel:[1,0,0] op_sel_hi:[0,0,1] neg_lo:[1,0,0]
	v_pk_fma_f32 v[20:21], v[76:77], v[32:33], v[20:21] op_sel_hi:[1,0,1]
	v_pk_fma_f32 v[14:15], v[14:15], v[32:33], v[26:27] op_sel:[1,0,0] op_sel_hi:[0,0,1] neg_lo:[1,0,0]
	v_pk_fma_f32 v[16:17], v[78:79], v[32:33], v[16:17] op_sel_hi:[1,0,1]
	v_xor_b32_e32 v70, 0x80000000, v47
	s_wait_loadcnt 0x3
	v_pk_fma_f32 v[18:19], v[52:53], v[60:61], v[18:19] op_sel_hi:[1,0,1]
	v_pk_fma_f32 v[20:21], v[54:55], v[60:61], v[20:21] op_sel_hi:[1,0,1]
	;; [unrolled: 1-line block ×4, first 2 shown]
	v_xor_b32_e32 v96, 0x80000000, v51
	v_pk_fma_f32 v[18:19], v[52:53], v[60:61], v[18:19] op_sel:[1,1,0] op_sel_hi:[0,1,1] neg_lo:[1,0,0]
	v_pk_fma_f32 v[20:21], v[108:109], v[60:61], v[20:21] op_sel:[0,1,0]
	v_pk_fma_f32 v[14:15], v[44:45], v[60:61], v[14:15] op_sel:[1,1,0] op_sel_hi:[0,1,1] neg_lo:[1,0,0]
	v_pk_fma_f32 v[16:17], v[70:71], v[60:61], v[16:17] op_sel:[0,1,0]
	v_dual_mov_b32 v97, v50 :: v_dual_mov_b32 v99, v66
	v_xor_b32_e32 v28, 0x80000000, v39
	s_wait_loadcnt 0x2
	v_dual_mov_b32 v26, v63 :: v_dual_mov_b32 v25, v82
	v_pk_fma_f32 v[18:19], v[48:49], v[62:63], v[18:19] op_sel_hi:[1,0,1]
	v_pk_fma_f32 v[20:21], v[50:51], v[62:63], v[20:21] op_sel_hi:[1,0,1]
	;; [unrolled: 1-line block ×4, first 2 shown]
	v_xor_b32_e32 v98, 0x80000000, v67
	v_pk_fma_f32 v[18:19], v[48:49], v[26:27], v[18:19] op_sel:[1,0,0] op_sel_hi:[0,0,1] neg_lo:[1,0,0]
	v_pk_fma_f32 v[20:21], v[96:97], v[26:27], v[20:21] op_sel_hi:[1,0,1]
	v_pk_fma_f32 v[14:15], v[36:37], v[26:27], v[14:15] op_sel:[1,0,0] op_sel_hi:[0,0,1] neg_lo:[1,0,0]
	v_pk_fma_f32 v[16:17], v[28:29], v[26:27], v[16:17] op_sel_hi:[1,0,1]
	v_xor_b32_e32 v24, 0x80000000, v83
	s_wait_loadcnt 0x1
	v_pk_fma_f32 v[18:19], v[64:65], v[84:85], v[18:19] op_sel_hi:[1,0,1]
	v_pk_fma_f32 v[20:21], v[66:67], v[84:85], v[20:21] op_sel_hi:[1,0,1]
	;; [unrolled: 1-line block ×4, first 2 shown]
	v_xor_b32_e32 v74, 0x80000000, v43
	v_pk_fma_f32 v[18:19], v[64:65], v[84:85], v[18:19] op_sel:[1,1,0] op_sel_hi:[0,1,1] neg_lo:[1,0,0]
	v_pk_fma_f32 v[20:21], v[98:99], v[84:85], v[20:21] op_sel:[0,1,0]
	v_pk_fma_f32 v[14:15], v[80:81], v[84:85], v[14:15] op_sel:[1,1,0] op_sel_hi:[0,1,1] neg_lo:[1,0,0]
	v_pk_fma_f32 v[16:17], v[24:25], v[84:85], v[16:17] op_sel:[0,1,0]
	s_wait_loadcnt 0x0
	v_xor_b32_e32 v26, 0x80000000, v107
	v_dual_mov_b32 v27, v106 :: v_dual_mov_b32 v24, v87
	v_pk_fma_f32 v[18:19], v[40:41], v[86:87], v[18:19] op_sel_hi:[1,0,1]
	v_pk_fma_f32 v[28:29], v[42:43], v[86:87], v[20:21] op_sel_hi:[1,0,1]
	;; [unrolled: 1-line block ×4, first 2 shown]
	s_delay_alu instid0(VALU_DEP_4) | instskip(NEXT) | instid1(VALU_DEP_4)
	v_pk_fma_f32 v[20:21], v[40:41], v[24:25], v[18:19] op_sel:[1,0,0] op_sel_hi:[0,0,1] neg_lo:[1,0,0]
	v_pk_fma_f32 v[14:15], v[74:75], v[24:25], v[28:29] op_sel_hi:[1,0,1]
	s_delay_alu instid0(VALU_DEP_4) | instskip(NEXT) | instid1(VALU_DEP_4)
	v_pk_fma_f32 v[18:19], v[104:105], v[24:25], v[30:31] op_sel:[1,0,0] op_sel_hi:[0,0,1] neg_lo:[1,0,0]
	v_pk_fma_f32 v[16:17], v[26:27], v[24:25], v[16:17] op_sel_hi:[1,0,1]
	s_and_not1_b32 exec_lo, exec_lo, s7
	s_cbranch_execnz .LBB30_29
; %bb.30:
	s_or_b32 exec_lo, exec_lo, s7
.LBB30_31:
	s_delay_alu instid0(SALU_CYCLE_1)
	s_or_b32 exec_lo, exec_lo, s3
.LBB30_32:
	s_delay_alu instid0(SALU_CYCLE_1)
	s_or_b32 exec_lo, exec_lo, s6
.LBB30_33:
	v_mbcnt_lo_u32_b32 v1, -1, 0
	s_delay_alu instid0(VALU_DEP_1) | instskip(NEXT) | instid1(VALU_DEP_1)
	v_xor_b32_e32 v7, 2, v1
	v_cmp_gt_i32_e32 vcc_lo, 32, v7
	v_cndmask_b32_e32 v7, v1, v7, vcc_lo
	s_delay_alu instid0(VALU_DEP_1)
	v_lshlrev_b32_e32 v7, 2, v7
	ds_bpermute_b32 v8, v7, v20
	ds_bpermute_b32 v9, v7, v21
	;; [unrolled: 1-line block ×8, first 2 shown]
	v_xor_b32_e32 v7, 1, v1
	s_delay_alu instid0(VALU_DEP_1) | instskip(SKIP_4) | instid1(VALU_DEP_3)
	v_cmp_gt_i32_e32 vcc_lo, 32, v7
	v_cndmask_b32_e32 v1, v1, v7, vcc_lo
	v_cmp_eq_u32_e32 vcc_lo, 3, v0
	s_wait_dscnt 0x6
	v_add_f32_e32 v7, v21, v9
	v_dual_add_f32 v1, v20, v8 :: v_dual_lshlrev_b32 v24, 2, v1
	s_wait_dscnt 0x4
	v_dual_add_f32 v8, v14, v10 :: v_dual_add_f32 v9, v15, v11
	s_wait_dscnt 0x2
	v_dual_add_f32 v10, v18, v12 :: v_dual_add_f32 v11, v19, v13
	;; [unrolled: 2-line block ×3, first 2 shown]
	ds_bpermute_b32 v14, v24, v1
	ds_bpermute_b32 v15, v24, v7
	ds_bpermute_b32 v16, v24, v8
	ds_bpermute_b32 v17, v24, v9
	ds_bpermute_b32 v18, v24, v10
	ds_bpermute_b32 v19, v24, v11
	ds_bpermute_b32 v21, v24, v12
	ds_bpermute_b32 v23, v24, v13
	s_and_b32 exec_lo, exec_lo, vcc_lo
	s_cbranch_execz .LBB30_6
; %bb.34:
	s_load_b64 s[0:1], s[0:1], 0x50
	v_cmp_eq_f32_e32 vcc_lo, 0, v4
	s_wait_dscnt 0x6
	v_dual_add_f32 v0, v1, v14 :: v_dual_add_f32 v22, v7, v15
	s_wait_dscnt 0x4
	v_dual_add_f32 v8, v8, v16 :: v_dual_add_f32 v20, v9, v17
	;; [unrolled: 2-line block ×4, first 2 shown]
	v_xor_b32_e32 v18, 0x80000000, v3
	v_lshlrev_b32_e32 v6, 2, v6
	s_xor_b32 s2, s2, -1
	s_delay_alu instid0(SALU_CYCLE_1) | instskip(NEXT) | instid1(SALU_CYCLE_1)
	s_and_b32 s2, vcc_lo, s2
	s_and_saveexec_b32 s3, s2
	s_delay_alu instid0(SALU_CYCLE_1)
	s_xor_b32 s2, exec_lo, s3
	s_cbranch_execz .LBB30_36
; %bb.35:
	v_dual_mov_b32 v19, v2 :: v_dual_ashrrev_i32 v7, 31, v6
	s_delay_alu instid0(VALU_DEP_1)
	v_pk_mul_f32 v[4:5], v[22:23], v[18:19] op_sel_hi:[0,1]
	v_pk_mul_f32 v[20:21], v[20:21], v[18:19] op_sel_hi:[0,1]
	v_pk_mul_f32 v[16:17], v[16:17], v[18:19] op_sel_hi:[0,1]
	v_pk_mul_f32 v[14:15], v[14:15], v[18:19] op_sel_hi:[0,1]
	s_wait_kmcnt 0x0
	v_lshl_add_u64 v[18:19], v[6:7], 3, s[0:1]
	v_pk_fma_f32 v[4:5], v[2:3], v[0:1], v[4:5] op_sel_hi:[1,0,1]
	v_pk_fma_f32 v[6:7], v[2:3], v[8:9], v[20:21] op_sel_hi:[1,0,1]
	;; [unrolled: 1-line block ×4, first 2 shown]
                                        ; implicit-def: $vgpr22
                                        ; implicit-def: $vgpr8
                                        ; implicit-def: $vgpr20
                                        ; implicit-def: $vgpr10
                                        ; implicit-def: $vgpr16
                                        ; implicit-def: $vgpr12
                                        ; implicit-def: $vgpr14
	s_clause 0x1
	global_store_b128 v[18:19], v[4:7], off
	global_store_b128 v[18:19], v[0:3], off offset:16
                                        ; implicit-def: $vgpr0
                                        ; implicit-def: $vgpr2_vgpr3
                                        ; implicit-def: $vgpr4_vgpr5
                                        ; implicit-def: $vgpr18
                                        ; implicit-def: $vgpr6
.LBB30_36:
	s_wait_xcnt 0x0
	s_and_not1_saveexec_b32 s2, s2
	s_cbranch_execz .LBB30_6
; %bb.37:
	v_dual_ashrrev_i32 v7, 31, v6 :: v_dual_mov_b32 v19, v2
	s_wait_kmcnt 0x0
	s_delay_alu instid0(VALU_DEP_1) | instskip(NEXT) | instid1(VALU_DEP_2)
	v_lshl_add_u64 v[32:33], v[6:7], 3, s[0:1]
	v_pk_mul_f32 v[6:7], v[22:23], v[18:19] op_sel_hi:[0,1]
	v_pk_mul_f32 v[20:21], v[20:21], v[18:19] op_sel_hi:[0,1]
	;; [unrolled: 1-line block ×4, first 2 shown]
	s_clause 0x1
	global_load_b128 v[24:27], v[32:33], off
	global_load_b128 v[28:31], v[32:33], off offset:16
	v_pk_fma_f32 v[0:1], v[2:3], v[0:1], v[6:7] op_sel_hi:[1,0,1]
	v_pk_fma_f32 v[6:7], v[2:3], v[8:9], v[20:21] op_sel_hi:[1,0,1]
	;; [unrolled: 1-line block ×4, first 2 shown]
	v_xor_b32_e32 v22, 0x80000000, v5
	s_wait_loadcnt 0x1
	v_dual_mov_b32 v23, v4 :: v_dual_mov_b32 v10, v27
	v_pk_fma_f32 v[0:1], v[4:5], v[24:25], v[0:1] op_sel_hi:[1,0,1]
	v_pk_fma_f32 v[6:7], v[4:5], v[26:27], v[6:7] op_sel_hi:[1,0,1]
	s_wait_loadcnt 0x0
	v_pk_fma_f32 v[8:9], v[4:5], v[28:29], v[8:9] op_sel_hi:[1,0,1]
	v_pk_fma_f32 v[12:13], v[4:5], v[30:31], v[2:3] op_sel_hi:[1,0,1]
	v_mov_b32_e32 v14, v31
	v_pk_fma_f32 v[0:1], v[22:23], v[24:25], v[0:1] op_sel:[0,1,0]
	v_pk_fma_f32 v[2:3], v[22:23], v[10:11], v[6:7] op_sel_hi:[1,0,1]
	v_pk_fma_f32 v[4:5], v[22:23], v[28:29], v[8:9] op_sel:[0,1,0]
	s_delay_alu instid0(VALU_DEP_4)
	v_pk_fma_f32 v[6:7], v[22:23], v[14:15], v[12:13] op_sel_hi:[1,0,1]
	s_clause 0x1
	global_store_b128 v[32:33], v[0:3], off
	global_store_b128 v[32:33], v[4:7], off offset:16
	s_sendmsg sendmsg(MSG_DEALLOC_VGPRS)
	s_endpgm
	.section	.rodata,"a",@progbits
	.p2align	6, 0x0
	.amdhsa_kernel _ZN9rocsparseL18bsrxmvn_4x4_kernelILj128ELj4E21rocsparse_complex_numIfEliS2_S2_S2_EEvT3_20rocsparse_direction_NS_24const_host_device_scalarIT1_EES3_PKS3_PKT2_SC_S9_PKT4_PKT5_S7_PT6_21rocsparse_index_base_b
		.amdhsa_group_segment_fixed_size 0
		.amdhsa_private_segment_fixed_size 0
		.amdhsa_kernarg_size 96
		.amdhsa_user_sgpr_count 2
		.amdhsa_user_sgpr_dispatch_ptr 0
		.amdhsa_user_sgpr_queue_ptr 0
		.amdhsa_user_sgpr_kernarg_segment_ptr 1
		.amdhsa_user_sgpr_dispatch_id 0
		.amdhsa_user_sgpr_kernarg_preload_length 0
		.amdhsa_user_sgpr_kernarg_preload_offset 0
		.amdhsa_user_sgpr_private_segment_size 0
		.amdhsa_wavefront_size32 1
		.amdhsa_uses_dynamic_stack 0
		.amdhsa_enable_private_segment 0
		.amdhsa_system_sgpr_workgroup_id_x 1
		.amdhsa_system_sgpr_workgroup_id_y 0
		.amdhsa_system_sgpr_workgroup_id_z 0
		.amdhsa_system_sgpr_workgroup_info 0
		.amdhsa_system_vgpr_workitem_id 0
		.amdhsa_next_free_vgpr 143
		.amdhsa_next_free_sgpr 16
		.amdhsa_named_barrier_count 0
		.amdhsa_reserve_vcc 1
		.amdhsa_float_round_mode_32 0
		.amdhsa_float_round_mode_16_64 0
		.amdhsa_float_denorm_mode_32 3
		.amdhsa_float_denorm_mode_16_64 3
		.amdhsa_fp16_overflow 0
		.amdhsa_memory_ordered 1
		.amdhsa_forward_progress 1
		.amdhsa_inst_pref_size 61
		.amdhsa_round_robin_scheduling 0
		.amdhsa_exception_fp_ieee_invalid_op 0
		.amdhsa_exception_fp_denorm_src 0
		.amdhsa_exception_fp_ieee_div_zero 0
		.amdhsa_exception_fp_ieee_overflow 0
		.amdhsa_exception_fp_ieee_underflow 0
		.amdhsa_exception_fp_ieee_inexact 0
		.amdhsa_exception_int_div_zero 0
	.end_amdhsa_kernel
	.section	.text._ZN9rocsparseL18bsrxmvn_4x4_kernelILj128ELj4E21rocsparse_complex_numIfEliS2_S2_S2_EEvT3_20rocsparse_direction_NS_24const_host_device_scalarIT1_EES3_PKS3_PKT2_SC_S9_PKT4_PKT5_S7_PT6_21rocsparse_index_base_b,"axG",@progbits,_ZN9rocsparseL18bsrxmvn_4x4_kernelILj128ELj4E21rocsparse_complex_numIfEliS2_S2_S2_EEvT3_20rocsparse_direction_NS_24const_host_device_scalarIT1_EES3_PKS3_PKT2_SC_S9_PKT4_PKT5_S7_PT6_21rocsparse_index_base_b,comdat
.Lfunc_end30:
	.size	_ZN9rocsparseL18bsrxmvn_4x4_kernelILj128ELj4E21rocsparse_complex_numIfEliS2_S2_S2_EEvT3_20rocsparse_direction_NS_24const_host_device_scalarIT1_EES3_PKS3_PKT2_SC_S9_PKT4_PKT5_S7_PT6_21rocsparse_index_base_b, .Lfunc_end30-_ZN9rocsparseL18bsrxmvn_4x4_kernelILj128ELj4E21rocsparse_complex_numIfEliS2_S2_S2_EEvT3_20rocsparse_direction_NS_24const_host_device_scalarIT1_EES3_PKS3_PKT2_SC_S9_PKT4_PKT5_S7_PT6_21rocsparse_index_base_b
                                        ; -- End function
	.set _ZN9rocsparseL18bsrxmvn_4x4_kernelILj128ELj4E21rocsparse_complex_numIfEliS2_S2_S2_EEvT3_20rocsparse_direction_NS_24const_host_device_scalarIT1_EES3_PKS3_PKT2_SC_S9_PKT4_PKT5_S7_PT6_21rocsparse_index_base_b.num_vgpr, 143
	.set _ZN9rocsparseL18bsrxmvn_4x4_kernelILj128ELj4E21rocsparse_complex_numIfEliS2_S2_S2_EEvT3_20rocsparse_direction_NS_24const_host_device_scalarIT1_EES3_PKS3_PKT2_SC_S9_PKT4_PKT5_S7_PT6_21rocsparse_index_base_b.num_agpr, 0
	.set _ZN9rocsparseL18bsrxmvn_4x4_kernelILj128ELj4E21rocsparse_complex_numIfEliS2_S2_S2_EEvT3_20rocsparse_direction_NS_24const_host_device_scalarIT1_EES3_PKS3_PKT2_SC_S9_PKT4_PKT5_S7_PT6_21rocsparse_index_base_b.numbered_sgpr, 16
	.set _ZN9rocsparseL18bsrxmvn_4x4_kernelILj128ELj4E21rocsparse_complex_numIfEliS2_S2_S2_EEvT3_20rocsparse_direction_NS_24const_host_device_scalarIT1_EES3_PKS3_PKT2_SC_S9_PKT4_PKT5_S7_PT6_21rocsparse_index_base_b.num_named_barrier, 0
	.set _ZN9rocsparseL18bsrxmvn_4x4_kernelILj128ELj4E21rocsparse_complex_numIfEliS2_S2_S2_EEvT3_20rocsparse_direction_NS_24const_host_device_scalarIT1_EES3_PKS3_PKT2_SC_S9_PKT4_PKT5_S7_PT6_21rocsparse_index_base_b.private_seg_size, 0
	.set _ZN9rocsparseL18bsrxmvn_4x4_kernelILj128ELj4E21rocsparse_complex_numIfEliS2_S2_S2_EEvT3_20rocsparse_direction_NS_24const_host_device_scalarIT1_EES3_PKS3_PKT2_SC_S9_PKT4_PKT5_S7_PT6_21rocsparse_index_base_b.uses_vcc, 1
	.set _ZN9rocsparseL18bsrxmvn_4x4_kernelILj128ELj4E21rocsparse_complex_numIfEliS2_S2_S2_EEvT3_20rocsparse_direction_NS_24const_host_device_scalarIT1_EES3_PKS3_PKT2_SC_S9_PKT4_PKT5_S7_PT6_21rocsparse_index_base_b.uses_flat_scratch, 1
	.set _ZN9rocsparseL18bsrxmvn_4x4_kernelILj128ELj4E21rocsparse_complex_numIfEliS2_S2_S2_EEvT3_20rocsparse_direction_NS_24const_host_device_scalarIT1_EES3_PKS3_PKT2_SC_S9_PKT4_PKT5_S7_PT6_21rocsparse_index_base_b.has_dyn_sized_stack, 0
	.set _ZN9rocsparseL18bsrxmvn_4x4_kernelILj128ELj4E21rocsparse_complex_numIfEliS2_S2_S2_EEvT3_20rocsparse_direction_NS_24const_host_device_scalarIT1_EES3_PKS3_PKT2_SC_S9_PKT4_PKT5_S7_PT6_21rocsparse_index_base_b.has_recursion, 0
	.set _ZN9rocsparseL18bsrxmvn_4x4_kernelILj128ELj4E21rocsparse_complex_numIfEliS2_S2_S2_EEvT3_20rocsparse_direction_NS_24const_host_device_scalarIT1_EES3_PKS3_PKT2_SC_S9_PKT4_PKT5_S7_PT6_21rocsparse_index_base_b.has_indirect_call, 0
	.section	.AMDGPU.csdata,"",@progbits
; Kernel info:
; codeLenInByte = 7752
; TotalNumSgprs: 18
; NumVgprs: 143
; ScratchSize: 0
; MemoryBound: 0
; FloatMode: 240
; IeeeMode: 1
; LDSByteSize: 0 bytes/workgroup (compile time only)
; SGPRBlocks: 0
; VGPRBlocks: 8
; NumSGPRsForWavesPerEU: 18
; NumVGPRsForWavesPerEU: 143
; NamedBarCnt: 0
; Occupancy: 7
; WaveLimiterHint : 1
; COMPUTE_PGM_RSRC2:SCRATCH_EN: 0
; COMPUTE_PGM_RSRC2:USER_SGPR: 2
; COMPUTE_PGM_RSRC2:TRAP_HANDLER: 0
; COMPUTE_PGM_RSRC2:TGID_X_EN: 1
; COMPUTE_PGM_RSRC2:TGID_Y_EN: 0
; COMPUTE_PGM_RSRC2:TGID_Z_EN: 0
; COMPUTE_PGM_RSRC2:TIDIG_COMP_CNT: 0
	.section	.text._ZN9rocsparseL18bsrxmvn_4x4_kernelILj128ELj8E21rocsparse_complex_numIfEliS2_S2_S2_EEvT3_20rocsparse_direction_NS_24const_host_device_scalarIT1_EES3_PKS3_PKT2_SC_S9_PKT4_PKT5_S7_PT6_21rocsparse_index_base_b,"axG",@progbits,_ZN9rocsparseL18bsrxmvn_4x4_kernelILj128ELj8E21rocsparse_complex_numIfEliS2_S2_S2_EEvT3_20rocsparse_direction_NS_24const_host_device_scalarIT1_EES3_PKS3_PKT2_SC_S9_PKT4_PKT5_S7_PT6_21rocsparse_index_base_b,comdat
	.globl	_ZN9rocsparseL18bsrxmvn_4x4_kernelILj128ELj8E21rocsparse_complex_numIfEliS2_S2_S2_EEvT3_20rocsparse_direction_NS_24const_host_device_scalarIT1_EES3_PKS3_PKT2_SC_S9_PKT4_PKT5_S7_PT6_21rocsparse_index_base_b ; -- Begin function _ZN9rocsparseL18bsrxmvn_4x4_kernelILj128ELj8E21rocsparse_complex_numIfEliS2_S2_S2_EEvT3_20rocsparse_direction_NS_24const_host_device_scalarIT1_EES3_PKS3_PKT2_SC_S9_PKT4_PKT5_S7_PT6_21rocsparse_index_base_b
	.p2align	8
	.type	_ZN9rocsparseL18bsrxmvn_4x4_kernelILj128ELj8E21rocsparse_complex_numIfEliS2_S2_S2_EEvT3_20rocsparse_direction_NS_24const_host_device_scalarIT1_EES3_PKS3_PKT2_SC_S9_PKT4_PKT5_S7_PT6_21rocsparse_index_base_b,@function
_ZN9rocsparseL18bsrxmvn_4x4_kernelILj128ELj8E21rocsparse_complex_numIfEliS2_S2_S2_EEvT3_20rocsparse_direction_NS_24const_host_device_scalarIT1_EES3_PKS3_PKT2_SC_S9_PKT4_PKT5_S7_PT6_21rocsparse_index_base_b: ; @_ZN9rocsparseL18bsrxmvn_4x4_kernelILj128ELj8E21rocsparse_complex_numIfEliS2_S2_S2_EEvT3_20rocsparse_direction_NS_24const_host_device_scalarIT1_EES3_PKS3_PKT2_SC_S9_PKT4_PKT5_S7_PT6_21rocsparse_index_base_b
; %bb.0:
	s_clause 0x2
	s_load_b64 s[12:13], s[0:1], 0x58
	s_load_b64 s[2:3], s[0:1], 0x8
	;; [unrolled: 1-line block ×3, first 2 shown]
	v_mov_b32_e32 v1, 0
	s_add_nc_u64 s[6:7], s[0:1], 8
	s_add_nc_u64 s[8:9], s[0:1], 0x48
	s_wait_kmcnt 0x0
	s_bitcmp1_b32 s13, 0
	s_cselect_b32 s3, s7, s3
	s_cselect_b32 s2, s6, s2
	;; [unrolled: 1-line block ×4, first 2 shown]
	s_clause 0x1
	flat_load_b64 v[2:3], v1, s[2:3]
	flat_load_b64 v[4:5], v1, s[4:5]
	s_wait_loadcnt_dscnt 0x101
	v_cmp_neq_f32_e32 vcc_lo, 0, v2
	v_cmp_neq_f32_e64 s3, 0, v3
	s_wait_loadcnt_dscnt 0x0
	v_cmp_neq_f32_e64 s4, 1.0, v4
	v_cmp_neq_f32_e64 s2, 0, v5
	s_or_b32 s5, vcc_lo, s3
	s_mov_b32 s3, 0
	s_or_b32 s4, s4, s2
	s_delay_alu instid0(SALU_CYCLE_1) | instskip(NEXT) | instid1(SALU_CYCLE_1)
	s_or_b32 s4, s5, s4
	s_and_saveexec_b32 s5, s4
	s_cbranch_execz .LBB31_6
; %bb.1:
	s_clause 0x1
	s_load_b64 s[4:5], s[0:1], 0x18
	s_load_b64 s[14:15], s[0:1], 0x0
	s_bfe_u32 s6, ttmp6, 0x4000c
	s_and_b32 s7, ttmp6, 15
	s_add_co_i32 s6, s6, 1
	s_getreg_b32 s8, hwreg(HW_REG_IB_STS2, 6, 4)
	s_mul_i32 s6, ttmp9, s6
	v_lshrrev_b32_e32 v1, 3, v0
	s_add_co_i32 s7, s7, s6
	s_cmp_eq_u32 s8, 0
	s_cselect_b32 s6, ttmp9, s7
	s_delay_alu instid0(VALU_DEP_1) | instid1(SALU_CYCLE_1)
	v_lshl_or_b32 v6, s6, 4, v1
	s_wait_kmcnt 0x0
	s_cmp_lg_u64 s[4:5], 0
	s_cbranch_scc0 .LBB31_7
; %bb.2:
	s_load_b32 s3, s[0:1], 0x10
	s_mov_b32 s6, 0
                                        ; implicit-def: $vgpr1
	s_wait_kmcnt 0x0
	v_cmp_gt_i32_e32 vcc_lo, s3, v6
	s_mov_b32 s3, 0
	s_and_saveexec_b32 s7, vcc_lo
	s_delay_alu instid0(SALU_CYCLE_1)
	s_xor_b32 s7, exec_lo, s7
	s_cbranch_execz .LBB31_4
; %bb.3:
	global_load_b32 v1, v6, s[4:5] scale_offset
	s_mov_b32 s3, exec_lo
	s_wait_loadcnt 0x0
	v_subrev_nc_u32_e32 v1, s12, v1
.LBB31_4:
	s_or_b32 exec_lo, exec_lo, s7
	s_delay_alu instid0(SALU_CYCLE_1)
	s_and_b32 vcc_lo, exec_lo, s6
	s_cbranch_vccz .LBB31_8
.LBB31_5:
	v_cmp_gt_i32_e32 vcc_lo, s14, v6
	s_and_not1_b32 s3, s3, exec_lo
	s_and_b32 s4, vcc_lo, exec_lo
	s_delay_alu instid0(SALU_CYCLE_1) | instskip(NEXT) | instid1(SALU_CYCLE_1)
	s_or_b32 s3, s3, s4
	s_and_b32 exec_lo, exec_lo, s3
	s_cbranch_execnz .LBB31_9
.LBB31_6:
	s_sendmsg sendmsg(MSG_DEALLOC_VGPRS)
	s_endpgm
.LBB31_7:
                                        ; implicit-def: $vgpr1
	s_cbranch_execnz .LBB31_5
.LBB31_8:
	s_delay_alu instid0(VALU_DEP_1)
	v_mov_b32_e32 v6, v1
	s_and_b32 exec_lo, exec_lo, s3
	s_cbranch_execz .LBB31_6
.LBB31_9:
	s_load_b256 s[4:11], s[0:1], 0x20
	s_mov_b32 s13, 0
	v_dual_mov_b32 v1, 0 :: v_dual_bitop2_b32 v0, 7, v0 bitop3:0x40
	s_wait_kmcnt 0x0
	s_cmp_eq_u64 s[6:7], 0
	global_load_b64 v[22:23], v6, s[4:5] scale_offset
	s_cselect_b32 vcc_lo, -1, 0
	v_ashrrev_i32_e32 v7, 31, v6
	s_cmp_eq_u32 s15, 1
	s_delay_alu instid0(VALU_DEP_1) | instskip(NEXT) | instid1(VALU_DEP_1)
	v_lshlrev_b64_e32 v[8:9], 3, v[6:7]
	v_add_nc_u64_e32 v[10:11], s[4:5], v[8:9]
	v_add_nc_u64_e32 v[8:9], s[6:7], v[8:9]
	s_wait_xcnt 0x0
	s_load_b64 s[4:5], s[0:1], 0x40
	s_delay_alu instid0(VALU_DEP_2) | instskip(NEXT) | instid1(VALU_DEP_1)
	v_add_nc_u64_e32 v[10:11], 8, v[10:11]
	v_dual_cndmask_b32 v9, v9, v11 :: v_dual_cndmask_b32 v8, v8, v10
	global_load_b64 v[10:11], v[8:9], off
	s_wait_loadcnt 0x1
	s_wait_xcnt 0x0
	v_sub_nc_u64_e64 v[8:9], v[22:23], s[12:13]
	s_delay_alu instid0(VALU_DEP_1) | instskip(NEXT) | instid1(VALU_DEP_1)
	v_add_nc_u64_e32 v[8:9], v[8:9], v[0:1]
	v_lshlrev_b64_e32 v[12:13], 7, v[8:9]
	s_delay_alu instid0(VALU_DEP_1) | instskip(SKIP_2) | instid1(VALU_DEP_1)
	v_add_nc_u64_e32 v[12:13], s[10:11], v[12:13]
	s_wait_loadcnt 0x0
	v_sub_nc_u64_e64 v[10:11], v[10:11], s[12:13]
	v_cmp_lt_i64_e64 s3, v[8:9], v[10:11]
	s_cbranch_scc1 .LBB31_21
; %bb.10:
	v_dual_mov_b32 v21, v1 :: v_dual_mov_b32 v20, v1
	v_dual_mov_b32 v17, v1 :: v_dual_mov_b32 v16, v1
	;; [unrolled: 1-line block ×4, first 2 shown]
	s_and_saveexec_b32 s6, s3
	s_cbranch_execz .LBB31_20
; %bb.11:
	v_dual_mov_b32 v15, v1 :: v_dual_bitop2_b32 v14, 8, v0 bitop3:0x54
	v_sub_nc_u64_e32 v[16:17], s[12:13], v[0:1]
	v_not_b32_e32 v19, v23
	v_not_b32_e32 v18, v22
	v_mov_b64_e32 v[26:27], v[12:13]
	v_sub_nc_u64_e64 v[14:15], v[14:15], s[12:13]
	v_mov_b64_e32 v[24:25], v[8:9]
	s_delay_alu instid0(VALU_DEP_4) | instskip(NEXT) | instid1(VALU_DEP_3)
	v_add_nc_u64_e32 v[16:17], v[16:17], v[18:19]
	v_add_nc_u64_e32 v[14:15], v[14:15], v[22:23]
	s_delay_alu instid0(VALU_DEP_1) | instskip(NEXT) | instid1(VALU_DEP_1)
	v_max_i64 v[14:15], v[14:15], v[10:11]
	v_add_nc_u64_e32 v[28:29], v[16:17], v[14:15]
	s_delay_alu instid0(VALU_DEP_1) | instskip(NEXT) | instid1(VALU_DEP_1)
	v_dual_mov_b32 v15, 0 :: v_dual_bitop2_b32 v14, 24, v28 bitop3:0x40
	v_dual_mov_b32 v19, v15 :: v_dual_mov_b32 v18, v15
	v_dual_mov_b32 v17, v15 :: v_dual_mov_b32 v16, v15
	s_delay_alu instid0(VALU_DEP_3)
	v_cmp_ne_u64_e32 vcc_lo, 24, v[14:15]
	v_dual_mov_b32 v20, v15 :: v_dual_mov_b32 v14, v15
	v_mov_b32_e32 v21, v15
	s_and_saveexec_b32 s7, vcc_lo
	s_cbranch_execz .LBB31_15
; %bb.12:
	v_dual_lshrrev_b32 v7, 3, v28 :: v_dual_mov_b32 v15, 0
	v_mov_b64_e32 v[24:25], v[8:9]
	v_mov_b64_e32 v[26:27], v[12:13]
	v_lshl_add_u64 v[30:31], v[8:9], 2, s[8:9]
	s_delay_alu instid0(VALU_DEP_4) | instskip(SKIP_1) | instid1(VALU_DEP_2)
	v_dual_mov_b32 v18, v15 :: v_dual_add_nc_u32 v7, 1, v7
	v_dual_mov_b32 v16, v15 :: v_dual_mov_b32 v17, v15
	v_dual_mov_b32 v20, v15 :: v_dual_bitop2_b32 v14, 3, v7 bitop3:0x40
	v_dual_mov_b32 v19, v15 :: v_dual_mov_b32 v21, v15
	s_mov_b32 s10, 0
	s_delay_alu instid0(VALU_DEP_2)
	v_sub_nc_u64_e32 v[32:33], 0, v[14:15]
	v_mov_b32_e32 v14, v15
.LBB31_13:                              ; =>This Inner Loop Header: Depth=1
	global_load_b32 v7, v[30:31], off
	s_clause 0x6
	global_load_b128 v[34:37], v[26:27], off offset:48
	global_load_b128 v[38:41], v[26:27], off offset:32
	;; [unrolled: 1-line block ×3, first 2 shown]
	global_load_b128 v[46:49], v[26:27], off
	global_load_b128 v[54:57], v[26:27], off offset:80
	global_load_b128 v[58:61], v[26:27], off offset:64
	;; [unrolled: 1-line block ×3, first 2 shown]
	v_add_nc_u64_e32 v[32:33], 1, v[32:33]
	v_add_nc_u64_e32 v[24:25], 8, v[24:25]
	s_wait_xcnt 0x7
	v_add_nc_u64_e32 v[30:31], 32, v[30:31]
	s_delay_alu instid0(VALU_DEP_3)
	v_cmp_eq_u64_e32 vcc_lo, 0, v[32:33]
	s_or_b32 s10, vcc_lo, s10
	s_wait_loadcnt 0x7
	v_subrev_nc_u32_e32 v7, s12, v7
	s_wait_loadcnt 0x6
	v_xor_b32_e32 v80, 0x80000000, v37
	s_wait_loadcnt 0x5
	v_xor_b32_e32 v78, 0x80000000, v41
	v_dual_mov_b32 v79, v40 :: v_dual_mov_b32 v81, v36
	v_lshlrev_b32_e32 v62, 2, v7
	s_wait_loadcnt 0x1
	v_xor_b32_e32 v82, 0x80000000, v61
	v_xor_b32_e32 v76, 0x80000000, v45
	;; [unrolled: 1-line block ×3, first 2 shown]
	v_dual_mov_b32 v77, v44 :: v_dual_ashrrev_i32 v63, 31, v62
	v_mov_b32_e32 v85, v56
	s_wait_kmcnt 0x0
	s_delay_alu instid0(VALU_DEP_2)
	v_lshl_add_u64 v[74:75], v[62:63], 3, s[4:5]
	global_load_b128 v[62:65], v[26:27], off offset:96
	s_clause 0x1
	global_load_b128 v[66:69], v[74:75], off
	global_load_b128 v[70:73], v[74:75], off offset:16
	s_wait_xcnt 0x0
	v_xor_b32_e32 v74, 0x80000000, v49
	v_dual_mov_b32 v75, v48 :: v_dual_mov_b32 v83, v60
	v_add_nc_u64_e32 v[26:27], 0x400, v[26:27]
	s_wait_loadcnt 0x2
	v_xor_b32_e32 v86, 0x80000000, v65
	s_wait_loadcnt 0x1
	v_pk_fma_f32 v[20:21], v[46:47], v[66:67], v[20:21] op_sel_hi:[1,0,1]
	v_pk_fma_f32 v[14:15], v[38:39], v[66:67], v[14:15] op_sel_hi:[1,0,1]
	;; [unrolled: 1-line block ×4, first 2 shown]
	v_mov_b32_e32 v87, v64
	v_pk_fma_f32 v[20:21], v[46:47], v[66:67], v[20:21] op_sel:[1,1,0] op_sel_hi:[0,1,1] neg_lo:[1,0,0]
	v_pk_fma_f32 v[14:15], v[38:39], v[66:67], v[14:15] op_sel:[1,1,0] op_sel_hi:[0,1,1] neg_lo:[1,0,0]
	;; [unrolled: 1-line block ×4, first 2 shown]
	v_mov_b32_e32 v38, v69
	v_pk_fma_f32 v[20:21], v[48:49], v[68:69], v[20:21] op_sel_hi:[1,0,1]
	v_pk_fma_f32 v[14:15], v[40:41], v[68:69], v[14:15] op_sel_hi:[1,0,1]
	;; [unrolled: 1-line block ×4, first 2 shown]
	s_delay_alu instid0(VALU_DEP_4) | instskip(NEXT) | instid1(VALU_DEP_4)
	v_pk_fma_f32 v[20:21], v[74:75], v[38:39], v[20:21] op_sel_hi:[1,0,1]
	v_pk_fma_f32 v[14:15], v[78:79], v[38:39], v[14:15] op_sel_hi:[1,0,1]
	s_delay_alu instid0(VALU_DEP_4) | instskip(NEXT) | instid1(VALU_DEP_4)
	v_pk_fma_f32 v[18:19], v[82:83], v[38:39], v[18:19] op_sel_hi:[1,0,1]
	v_pk_fma_f32 v[16:17], v[86:87], v[38:39], v[16:17] op_sel_hi:[1,0,1]
	v_xor_b32_e32 v38, 0x80000000, v53
	s_wait_loadcnt 0x0
	v_pk_fma_f32 v[20:21], v[42:43], v[70:71], v[20:21] op_sel_hi:[1,0,1]
	v_pk_fma_f32 v[14:15], v[34:35], v[70:71], v[14:15] op_sel_hi:[1,0,1]
	;; [unrolled: 1-line block ×4, first 2 shown]
	v_mov_b32_e32 v39, v52
	v_pk_fma_f32 v[20:21], v[42:43], v[70:71], v[20:21] op_sel:[1,1,0] op_sel_hi:[0,1,1] neg_lo:[1,0,0]
	v_pk_fma_f32 v[14:15], v[34:35], v[70:71], v[14:15] op_sel:[1,1,0] op_sel_hi:[0,1,1] neg_lo:[1,0,0]
	v_pk_fma_f32 v[18:19], v[54:55], v[70:71], v[18:19] op_sel:[1,1,0] op_sel_hi:[0,1,1] neg_lo:[1,0,0]
	v_pk_fma_f32 v[16:17], v[50:51], v[70:71], v[16:17] op_sel:[1,1,0] op_sel_hi:[0,1,1] neg_lo:[1,0,0]
	v_mov_b32_e32 v34, v73
	v_pk_fma_f32 v[20:21], v[44:45], v[72:73], v[20:21] op_sel_hi:[1,0,1]
	v_pk_fma_f32 v[14:15], v[36:37], v[72:73], v[14:15] op_sel_hi:[1,0,1]
	;; [unrolled: 1-line block ×4, first 2 shown]
	s_delay_alu instid0(VALU_DEP_4) | instskip(NEXT) | instid1(VALU_DEP_4)
	v_pk_fma_f32 v[20:21], v[76:77], v[34:35], v[20:21] op_sel_hi:[1,0,1]
	v_pk_fma_f32 v[14:15], v[80:81], v[34:35], v[14:15] op_sel_hi:[1,0,1]
	s_delay_alu instid0(VALU_DEP_4) | instskip(NEXT) | instid1(VALU_DEP_4)
	v_pk_fma_f32 v[18:19], v[84:85], v[34:35], v[18:19] op_sel_hi:[1,0,1]
	v_pk_fma_f32 v[16:17], v[38:39], v[34:35], v[16:17] op_sel_hi:[1,0,1]
	s_and_not1_b32 exec_lo, exec_lo, s10
	s_cbranch_execnz .LBB31_13
; %bb.14:
	s_or_b32 exec_lo, exec_lo, s10
.LBB31_15:
	s_delay_alu instid0(SALU_CYCLE_1) | instskip(NEXT) | instid1(SALU_CYCLE_1)
	s_or_b32 exec_lo, exec_lo, s7
	s_mov_b32 s7, exec_lo
	v_cmpx_lt_u64_e32 23, v[28:29]
	s_cbranch_execz .LBB31_19
; %bb.16:
	v_lshl_add_u64 v[28:29], v[24:25], 2, s[8:9]
	s_mov_b32 s10, 0
	s_delay_alu instid0(VALU_DEP_1)
	v_add_nc_u64_e32 v[28:29], 64, v[28:29]
.LBB31_17:                              ; =>This Inner Loop Header: Depth=1
	global_load_b32 v7, v[28:29], off offset:-64
	s_clause 0xf
	global_load_b128 v[30:33], v[26:27], off
	global_load_b128 v[34:37], v[26:27], off offset:16
	global_load_b128 v[38:41], v[26:27], off offset:48
	;; [unrolled: 1-line block ×15, first 2 shown]
	s_clause 0x2
	global_load_b32 v140, v[28:29], off offset:-32
	global_load_b32 v141, v[28:29], off
	global_load_b32 v142, v[28:29], off offset:32
	s_clause 0x6
	global_load_b128 v[94:97], v[26:27], off offset:2096
	global_load_b128 v[98:101], v[26:27], off offset:2080
	;; [unrolled: 1-line block ×7, first 2 shown]
	v_add_nc_u64_e32 v[24:25], 32, v[24:25]
	s_wait_xcnt 0x7
	v_add_nc_u64_e32 v[28:29], 0x80, v[28:29]
	s_delay_alu instid0(VALU_DEP_2)
	v_cmp_ge_i64_e32 vcc_lo, v[24:25], v[10:11]
	s_or_b32 s10, vcc_lo, s10
	s_wait_loadcnt 0x1a
	v_subrev_nc_u32_e32 v7, s12, v7
	s_wait_loadcnt 0x19
	v_mov_b32_e32 v131, v32
	v_xor_b32_e32 v130, 0x80000000, v33
	s_wait_loadcnt 0x16
	v_xor_b32_e32 v134, 0x80000000, v45
	v_dual_mov_b32 v135, v44 :: v_dual_lshlrev_b32 v122, 2, v7
	s_delay_alu instid0(VALU_DEP_1)
	v_ashrrev_i32_e32 v123, 31, v122
	s_wait_loadcnt 0xe
	v_xor_b32_e32 v138, 0x80000000, v77
	v_mov_b32_e32 v139, v76
	s_wait_kmcnt 0x0
	v_lshl_add_u64 v[132:133], v[122:123], 3, s[4:5]
	s_clause 0x1
	global_load_b128 v[122:125], v[132:133], off
	global_load_b128 v[126:129], v[132:133], off offset:16
	s_wait_loadcnt 0xb
	v_subrev_nc_u32_e32 v7, s12, v140
	s_wait_loadcnt 0x1
	v_pk_fma_f32 v[14:15], v[42:43], v[122:123], v[14:15] op_sel_hi:[1,0,1]
	v_pk_fma_f32 v[20:21], v[30:31], v[122:123], v[20:21] op_sel_hi:[1,0,1]
	s_delay_alu instid0(VALU_DEP_2) | instskip(NEXT) | instid1(VALU_DEP_2)
	v_pk_fma_f32 v[14:15], v[42:43], v[122:123], v[14:15] op_sel:[1,1,0] op_sel_hi:[0,1,1] neg_lo:[1,0,0]
	v_pk_fma_f32 v[20:21], v[30:31], v[122:123], v[20:21] op_sel:[1,1,0] op_sel_hi:[0,1,1] neg_lo:[1,0,0]
	s_delay_alu instid0(VALU_DEP_2) | instskip(SKIP_2) | instid1(VALU_DEP_3)
	v_pk_fma_f32 v[136:137], v[44:45], v[124:125], v[14:15] op_sel_hi:[1,0,1]
	v_pk_fma_f32 v[14:15], v[74:75], v[122:123], v[18:19] op_sel_hi:[1,0,1]
	s_wait_xcnt 0x0
	v_pk_fma_f32 v[132:133], v[32:33], v[124:125], v[20:21] op_sel_hi:[1,0,1]
	s_clause 0x2
	global_load_b128 v[30:33], v[26:27], off offset:2112
	global_load_b128 v[18:21], v[26:27], off offset:3120
	;; [unrolled: 1-line block ×3, first 2 shown]
	v_pk_fma_f32 v[14:15], v[74:75], v[122:123], v[14:15] op_sel:[1,1,0] op_sel_hi:[0,1,1] neg_lo:[1,0,0]
	s_delay_alu instid0(VALU_DEP_1) | instskip(SKIP_3) | instid1(VALU_DEP_3)
	v_pk_fma_f32 v[74:75], v[76:77], v[124:125], v[14:15] op_sel_hi:[1,0,1]
	v_pk_fma_f32 v[14:15], v[66:67], v[122:123], v[16:17] op_sel_hi:[1,0,1]
	v_xor_b32_e32 v76, 0x80000000, v69
	v_mov_b32_e32 v77, v68
	v_pk_fma_f32 v[14:15], v[66:67], v[122:123], v[14:15] op_sel:[1,1,0] op_sel_hi:[0,1,1] neg_lo:[1,0,0]
	s_delay_alu instid0(VALU_DEP_1)
	v_pk_fma_f32 v[122:123], v[68:69], v[124:125], v[14:15] op_sel_hi:[1,0,1]
	v_mov_b32_e32 v124, v125
	s_clause 0x1
	global_load_b128 v[14:17], v[26:27], off offset:3104
	global_load_b128 v[66:69], v[26:27], off offset:3072
	v_pk_fma_f32 v[76:77], v[76:77], v[124:125], v[122:123] op_sel_hi:[1,0,1]
	v_mov_b32_e32 v123, v36
	v_pk_fma_f32 v[130:131], v[130:131], v[124:125], v[132:133] op_sel_hi:[1,0,1]
	v_pk_fma_f32 v[132:133], v[134:135], v[124:125], v[136:137] op_sel_hi:[1,0,1]
	;; [unrolled: 1-line block ×3, first 2 shown]
	v_xor_b32_e32 v122, 0x80000000, v37
	v_xor_b32_e32 v134, 0x80000000, v73
	s_wait_loadcnt 0x5
	v_pk_fma_f32 v[124:125], v[34:35], v[126:127], v[130:131] op_sel_hi:[1,0,1]
	v_pk_fma_f32 v[132:133], v[38:39], v[126:127], v[132:133] op_sel_hi:[1,0,1]
	v_mov_b32_e32 v137, v52
	v_xor_b32_e32 v130, 0x80000000, v41
	v_dual_mov_b32 v131, v40 :: v_dual_mov_b32 v135, v72
	s_delay_alu instid0(VALU_DEP_4) | instskip(SKIP_2) | instid1(VALU_DEP_3)
	v_pk_fma_f32 v[38:39], v[38:39], v[126:127], v[132:133] op_sel:[1,1,0] op_sel_hi:[0,1,1] neg_lo:[1,0,0]
	v_pk_fma_f32 v[34:35], v[34:35], v[126:127], v[124:125] op_sel:[1,1,0] op_sel_hi:[0,1,1] neg_lo:[1,0,0]
	v_xor_b32_e32 v136, 0x80000000, v53
	v_pk_fma_f32 v[132:133], v[40:41], v[128:129], v[38:39] op_sel_hi:[1,0,1]
	v_pk_fma_f32 v[38:39], v[70:71], v[126:127], v[74:75] op_sel_hi:[1,0,1]
	;; [unrolled: 1-line block ×4, first 2 shown]
	v_subrev_nc_u32_e32 v77, s12, v142
	global_load_b128 v[34:37], v[26:27], off offset:3168
	v_pk_fma_f32 v[38:39], v[70:71], v[126:127], v[38:39] op_sel:[1,1,0] op_sel_hi:[0,1,1] neg_lo:[1,0,0]
	v_pk_fma_f32 v[62:63], v[62:63], v[126:127], v[74:75] op_sel:[1,1,0] op_sel_hi:[0,1,1] neg_lo:[1,0,0]
	v_mov_b32_e32 v127, v60
	v_xor_b32_e32 v126, 0x80000000, v61
	s_delay_alu instid0(VALU_DEP_4)
	v_pk_fma_f32 v[70:71], v[72:73], v[128:129], v[38:39] op_sel_hi:[1,0,1]
	v_mov_b32_e32 v73, v64
	v_pk_fma_f32 v[62:63], v[64:65], v[128:129], v[62:63] op_sel_hi:[1,0,1]
	v_mov_b32_e32 v64, v129
	v_xor_b32_e32 v72, 0x80000000, v65
	global_load_b128 v[38:41], v[26:27], off offset:3136
	v_mov_b32_e32 v129, v92
	v_xor_b32_e32 v128, 0x80000000, v93
	v_pk_fma_f32 v[74:75], v[122:123], v[64:65], v[124:125] op_sel_hi:[1,0,1]
	v_subrev_nc_u32_e32 v65, s12, v141
	v_lshlrev_b32_e32 v76, 2, v7
	v_xor_b32_e32 v122, 0x80000000, v85
	v_mov_b32_e32 v123, v84
	s_delay_alu instid0(VALU_DEP_4) | instskip(SKIP_4) | instid1(VALU_DEP_3)
	v_pk_fma_f32 v[124:125], v[130:131], v[64:65], v[132:133] op_sel_hi:[1,0,1]
	v_lshlrev_b32_e32 v130, 2, v65
	v_dual_lshlrev_b32 v132, 2, v77 :: v_dual_ashrrev_i32 v77, 31, v76
	v_pk_fma_f32 v[134:135], v[134:135], v[64:65], v[70:71] op_sel_hi:[1,0,1]
	v_pk_fma_f32 v[138:139], v[72:73], v[64:65], v[62:63] op_sel_hi:[1,0,1]
	v_dual_ashrrev_i32 v131, 31, v130 :: v_dual_ashrrev_i32 v133, 31, v132
	s_delay_alu instid0(VALU_DEP_4)
	v_lshl_add_u64 v[76:77], v[76:77], 3, s[4:5]
	s_clause 0x1
	global_load_b128 v[62:65], v[76:77], off
	global_load_b128 v[70:73], v[76:77], off offset:16
	s_wait_xcnt 0x0
	v_lshl_add_u64 v[76:77], v[130:131], 3, s[4:5]
	v_lshl_add_u64 v[130:131], v[132:133], 3, s[4:5]
	s_wait_loadcnt 0x1
	v_pk_fma_f32 v[74:75], v[58:59], v[62:63], v[74:75] op_sel_hi:[1,0,1]
	v_mov_b32_e32 v140, v65
	s_delay_alu instid0(VALU_DEP_2) | instskip(SKIP_1) | instid1(VALU_DEP_2)
	v_pk_fma_f32 v[58:59], v[58:59], v[62:63], v[74:75] op_sel:[1,1,0] op_sel_hi:[0,1,1] neg_lo:[1,0,0]
	v_pk_fma_f32 v[74:75], v[50:51], v[62:63], v[124:125] op_sel_hi:[1,0,1]
	v_pk_fma_f32 v[132:133], v[60:61], v[64:65], v[58:59] op_sel_hi:[1,0,1]
	global_load_b128 v[58:61], v[76:77], off
	v_pk_fma_f32 v[50:51], v[50:51], v[62:63], v[74:75] op_sel:[1,1,0] op_sel_hi:[0,1,1] neg_lo:[1,0,0]
	v_pk_fma_f32 v[74:75], v[90:91], v[62:63], v[134:135] op_sel_hi:[1,0,1]
	s_delay_alu instid0(VALU_DEP_2) | instskip(SKIP_3) | instid1(VALU_DEP_2)
	v_pk_fma_f32 v[124:125], v[52:53], v[64:65], v[50:51] op_sel_hi:[1,0,1]
	global_load_b128 v[50:53], v[76:77], off offset:16
	v_pk_fma_f32 v[74:75], v[90:91], v[62:63], v[74:75] op_sel:[1,1,0] op_sel_hi:[0,1,1] neg_lo:[1,0,0]
	v_pk_fma_f32 v[90:91], v[82:83], v[62:63], v[138:139] op_sel_hi:[1,0,1]
	v_pk_fma_f32 v[134:135], v[92:93], v[64:65], v[74:75] op_sel_hi:[1,0,1]
	global_load_b128 v[74:77], v[130:131], off
	v_pk_fma_f32 v[62:63], v[82:83], v[62:63], v[90:91] op_sel:[1,1,0] op_sel_hi:[0,1,1] neg_lo:[1,0,0]
	global_load_b128 v[90:93], v[130:131], off offset:16
	s_wait_xcnt 0x0
	v_mov_b32_e32 v131, v56
	v_pk_fma_f32 v[126:127], v[126:127], v[140:141], v[132:133] op_sel_hi:[1,0,1]
	v_pk_fma_f32 v[124:125], v[136:137], v[140:141], v[124:125] op_sel_hi:[1,0,1]
	v_pk_fma_f32 v[138:139], v[84:85], v[64:65], v[62:63] op_sel_hi:[1,0,1]
	s_clause 0x1
	global_load_b128 v[82:85], v[26:27], off offset:3152
	global_load_b128 v[62:65], v[26:27], off offset:3184
	v_pk_fma_f32 v[128:129], v[128:129], v[140:141], v[134:135] op_sel_hi:[1,0,1]
	s_wait_loadcnt 0x6
	v_pk_fma_f32 v[126:127], v[54:55], v[70:71], v[126:127] op_sel_hi:[1,0,1]
	v_pk_fma_f32 v[122:123], v[122:123], v[140:141], v[138:139] op_sel_hi:[1,0,1]
	;; [unrolled: 1-line block ×3, first 2 shown]
	v_xor_b32_e32 v130, 0x80000000, v57
	v_pk_fma_f32 v[128:129], v[86:87], v[70:71], v[128:129] op_sel_hi:[1,0,1]
	v_pk_fma_f32 v[54:55], v[54:55], v[70:71], v[126:127] op_sel:[1,1,0] op_sel_hi:[0,1,1] neg_lo:[1,0,0]
	v_pk_fma_f32 v[122:123], v[78:79], v[70:71], v[122:123] op_sel_hi:[1,0,1]
	v_pk_fma_f32 v[46:47], v[46:47], v[70:71], v[124:125] op_sel:[1,1,0] op_sel_hi:[0,1,1] neg_lo:[1,0,0]
	v_xor_b32_e32 v132, 0x80000000, v49
	v_pk_fma_f32 v[86:87], v[86:87], v[70:71], v[128:129] op_sel:[1,1,0] op_sel_hi:[0,1,1] neg_lo:[1,0,0]
	v_dual_mov_b32 v133, v48 :: v_dual_mov_b32 v135, v88
	v_pk_fma_f32 v[70:71], v[78:79], v[70:71], v[122:123] op_sel:[1,1,0] op_sel_hi:[0,1,1] neg_lo:[1,0,0]
	v_xor_b32_e32 v134, 0x80000000, v89
	v_xor_b32_e32 v136, 0x80000000, v81
	v_mov_b32_e32 v137, v80
	v_pk_fma_f32 v[54:55], v[56:57], v[72:73], v[54:55] op_sel_hi:[1,0,1]
	v_pk_fma_f32 v[46:47], v[48:49], v[72:73], v[46:47] op_sel_hi:[1,0,1]
	;; [unrolled: 1-line block ×4, first 2 shown]
	v_dual_mov_b32 v81, v96 :: v_dual_mov_b32 v72, v73
	v_mov_b32_e32 v57, v108
	v_xor_b32_e32 v56, 0x80000000, v109
	v_xor_b32_e32 v126, 0x80000000, v101
	v_dual_mov_b32 v127, v100 :: v_dual_mov_b32 v49, v32
	v_pk_fma_f32 v[54:55], v[130:131], v[72:73], v[54:55] op_sel_hi:[1,0,1]
	v_pk_fma_f32 v[46:47], v[132:133], v[72:73], v[46:47] op_sel_hi:[1,0,1]
	;; [unrolled: 1-line block ×4, first 2 shown]
	v_xor_b32_e32 v48, 0x80000000, v33
	v_xor_b32_e32 v124, 0x80000000, v117
	v_dual_mov_b32 v125, v116 :: v_dual_mov_b32 v89, v104
	v_mov_b32_e32 v133, v120
	v_xor_b32_e32 v88, 0x80000000, v105
	v_xor_b32_e32 v80, 0x80000000, v97
	;; [unrolled: 1-line block ×4, first 2 shown]
	v_dual_mov_b32 v129, v68 :: v_dual_mov_b32 v79, v44
	v_xor_b32_e32 v122, 0x80000000, v17
	v_dual_mov_b32 v123, v16 :: v_dual_mov_b32 v131, v20
	v_xor_b32_e32 v78, 0x80000000, v45
	v_xor_b32_e32 v130, 0x80000000, v21
	s_wait_xcnt 0x0
	v_add_nc_u64_e32 v[26:27], 0x1000, v[26:27]
	s_wait_loadcnt 0x5
	v_pk_fma_f32 v[54:55], v[106:107], v[58:59], v[54:55] op_sel_hi:[1,0,1]
	v_pk_fma_f32 v[46:47], v[98:99], v[58:59], v[46:47] op_sel_hi:[1,0,1]
	;; [unrolled: 1-line block ×4, first 2 shown]
	v_mov_b32_e32 v87, v40
	v_pk_fma_f32 v[54:55], v[106:107], v[58:59], v[54:55] op_sel:[1,1,0] op_sel_hi:[0,1,1] neg_lo:[1,0,0]
	v_pk_fma_f32 v[46:47], v[98:99], v[58:59], v[46:47] op_sel:[1,1,0] op_sel_hi:[0,1,1] neg_lo:[1,0,0]
	;; [unrolled: 1-line block ×4, first 2 shown]
	v_mov_b32_e32 v70, v61
	v_pk_fma_f32 v[54:55], v[108:109], v[60:61], v[54:55] op_sel_hi:[1,0,1]
	v_pk_fma_f32 v[46:47], v[100:101], v[60:61], v[46:47] op_sel_hi:[1,0,1]
	;; [unrolled: 1-line block ×4, first 2 shown]
	v_xor_b32_e32 v86, 0x80000000, v41
	v_pk_fma_f32 v[54:55], v[56:57], v[70:71], v[54:55] op_sel_hi:[1,0,1]
	v_pk_fma_f32 v[46:47], v[126:127], v[70:71], v[46:47] op_sel_hi:[1,0,1]
	;; [unrolled: 1-line block ×4, first 2 shown]
	v_xor_b32_e32 v48, 0x80000000, v113
	s_wait_loadcnt 0x4
	v_pk_fma_f32 v[54:55], v[102:103], v[50:51], v[54:55] op_sel_hi:[1,0,1]
	v_pk_fma_f32 v[46:47], v[94:95], v[50:51], v[46:47] op_sel_hi:[1,0,1]
	;; [unrolled: 1-line block ×4, first 2 shown]
	v_mov_b32_e32 v49, v112
	v_pk_fma_f32 v[54:55], v[102:103], v[50:51], v[54:55] op_sel:[1,1,0] op_sel_hi:[0,1,1] neg_lo:[1,0,0]
	v_pk_fma_f32 v[46:47], v[94:95], v[50:51], v[46:47] op_sel:[1,1,0] op_sel_hi:[0,1,1] neg_lo:[1,0,0]
	;; [unrolled: 1-line block ×4, first 2 shown]
	v_mov_b32_e32 v50, v53
	v_pk_fma_f32 v[54:55], v[104:105], v[52:53], v[54:55] op_sel_hi:[1,0,1]
	v_pk_fma_f32 v[46:47], v[96:97], v[52:53], v[46:47] op_sel_hi:[1,0,1]
	;; [unrolled: 1-line block ×4, first 2 shown]
	s_wait_loadcnt 0x1
	v_mov_b32_e32 v53, v84
	v_xor_b32_e32 v52, 0x80000000, v85
	s_delay_alu instid0(VALU_DEP_3)
	v_pk_fma_f32 v[32:33], v[48:49], v[50:51], v[32:33] op_sel_hi:[1,0,1]
	v_mov_b32_e32 v49, v36
	v_pk_fma_f32 v[54:55], v[88:89], v[50:51], v[54:55] op_sel_hi:[1,0,1]
	v_pk_fma_f32 v[46:47], v[80:81], v[50:51], v[46:47] op_sel_hi:[1,0,1]
	;; [unrolled: 1-line block ×4, first 2 shown]
	v_xor_b32_e32 v48, 0x80000000, v37
	v_pk_fma_f32 v[50:51], v[66:67], v[74:75], v[54:55] op_sel_hi:[1,0,1]
	v_pk_fma_f32 v[46:47], v[14:15], v[74:75], v[46:47] op_sel_hi:[1,0,1]
	;; [unrolled: 1-line block ×3, first 2 shown]
	v_pk_fma_f32 v[32:33], v[34:35], v[74:75], v[32:33] op_sel:[1,1,0] op_sel_hi:[0,1,1] neg_lo:[1,0,0]
	v_mov_b32_e32 v34, v77
	v_pk_fma_f32 v[50:51], v[66:67], v[74:75], v[50:51] op_sel:[1,1,0] op_sel_hi:[0,1,1] neg_lo:[1,0,0]
	v_pk_fma_f32 v[14:15], v[14:15], v[74:75], v[46:47] op_sel:[1,1,0] op_sel_hi:[0,1,1] neg_lo:[1,0,0]
	;; [unrolled: 1-line block ×3, first 2 shown]
	s_delay_alu instid0(VALU_DEP_3) | instskip(NEXT) | instid1(VALU_DEP_3)
	v_pk_fma_f32 v[38:39], v[68:69], v[76:77], v[50:51] op_sel_hi:[1,0,1]
	v_pk_fma_f32 v[14:15], v[16:17], v[76:77], v[14:15] op_sel_hi:[1,0,1]
	s_delay_alu instid0(VALU_DEP_3) | instskip(SKIP_1) | instid1(VALU_DEP_4)
	v_pk_fma_f32 v[16:17], v[40:41], v[76:77], v[30:31] op_sel_hi:[1,0,1]
	v_pk_fma_f32 v[30:31], v[36:37], v[76:77], v[32:33] op_sel_hi:[1,0,1]
	;; [unrolled: 1-line block ×3, first 2 shown]
	s_delay_alu instid0(VALU_DEP_4) | instskip(NEXT) | instid1(VALU_DEP_4)
	v_pk_fma_f32 v[14:15], v[122:123], v[34:35], v[14:15] op_sel_hi:[1,0,1]
	v_pk_fma_f32 v[16:17], v[86:87], v[34:35], v[16:17] op_sel_hi:[1,0,1]
	s_delay_alu instid0(VALU_DEP_4)
	v_pk_fma_f32 v[30:31], v[48:49], v[34:35], v[30:31] op_sel_hi:[1,0,1]
	s_wait_loadcnt 0x0
	v_xor_b32_e32 v34, 0x80000000, v65
	v_pk_fma_f32 v[32:33], v[42:43], v[90:91], v[32:33] op_sel_hi:[1,0,1]
	v_pk_fma_f32 v[14:15], v[18:19], v[90:91], v[14:15] op_sel_hi:[1,0,1]
	;; [unrolled: 1-line block ×4, first 2 shown]
	v_mov_b32_e32 v35, v64
	v_pk_fma_f32 v[32:33], v[42:43], v[90:91], v[32:33] op_sel:[1,1,0] op_sel_hi:[0,1,1] neg_lo:[1,0,0]
	v_pk_fma_f32 v[14:15], v[18:19], v[90:91], v[14:15] op_sel:[1,1,0] op_sel_hi:[0,1,1] neg_lo:[1,0,0]
	;; [unrolled: 1-line block ×4, first 2 shown]
	v_mov_b32_e32 v30, v93
	v_pk_fma_f32 v[32:33], v[44:45], v[92:93], v[32:33] op_sel_hi:[1,0,1]
	v_pk_fma_f32 v[14:15], v[20:21], v[92:93], v[14:15] op_sel_hi:[1,0,1]
	;; [unrolled: 1-line block ×4, first 2 shown]
	s_delay_alu instid0(VALU_DEP_4) | instskip(NEXT) | instid1(VALU_DEP_4)
	v_pk_fma_f32 v[20:21], v[78:79], v[30:31], v[32:33] op_sel_hi:[1,0,1]
	v_pk_fma_f32 v[14:15], v[130:131], v[30:31], v[14:15] op_sel_hi:[1,0,1]
	s_delay_alu instid0(VALU_DEP_4) | instskip(NEXT) | instid1(VALU_DEP_4)
	v_pk_fma_f32 v[18:19], v[52:53], v[30:31], v[16:17] op_sel_hi:[1,0,1]
	v_pk_fma_f32 v[16:17], v[34:35], v[30:31], v[36:37] op_sel_hi:[1,0,1]
	s_and_not1_b32 exec_lo, exec_lo, s10
	s_cbranch_execnz .LBB31_17
; %bb.18:
	s_or_b32 exec_lo, exec_lo, s10
.LBB31_19:
	s_delay_alu instid0(SALU_CYCLE_1)
	s_or_b32 exec_lo, exec_lo, s7
.LBB31_20:
	s_delay_alu instid0(SALU_CYCLE_1)
	s_or_b32 exec_lo, exec_lo, s6
	s_cbranch_execz .LBB31_22
	s_branch .LBB31_33
.LBB31_21:
                                        ; implicit-def: $vgpr21
                                        ; implicit-def: $vgpr17
                                        ; implicit-def: $vgpr19
                                        ; implicit-def: $vgpr15
.LBB31_22:
	v_dual_mov_b32 v21, 0 :: v_dual_mov_b32 v20, 0
	v_dual_mov_b32 v17, 0 :: v_dual_mov_b32 v16, 0
	;; [unrolled: 1-line block ×4, first 2 shown]
	s_and_saveexec_b32 s6, s3
	s_cbranch_execz .LBB31_32
; %bb.23:
	v_dual_mov_b32 v15, v1 :: v_dual_bitop2_b32 v14, 8, v0 bitop3:0x54
	v_sub_nc_u64_e32 v[16:17], s[12:13], v[0:1]
	v_not_b32_e32 v19, v23
	v_not_b32_e32 v18, v22
	s_delay_alu instid0(VALU_DEP_4) | instskip(NEXT) | instid1(VALU_DEP_2)
	v_sub_nc_u64_e64 v[14:15], v[14:15], s[12:13]
	v_add_nc_u64_e32 v[16:17], v[16:17], v[18:19]
	s_delay_alu instid0(VALU_DEP_2) | instskip(NEXT) | instid1(VALU_DEP_1)
	v_add_nc_u64_e32 v[14:15], v[14:15], v[22:23]
	v_max_i64 v[14:15], v[14:15], v[10:11]
	s_delay_alu instid0(VALU_DEP_1) | instskip(NEXT) | instid1(VALU_DEP_1)
	v_add_nc_u64_e32 v[22:23], v[16:17], v[14:15]
	v_dual_mov_b32 v15, 0 :: v_dual_bitop2_b32 v14, 24, v22 bitop3:0x40
	s_delay_alu instid0(VALU_DEP_1) | instskip(SKIP_2) | instid1(VALU_DEP_4)
	v_dual_mov_b32 v19, v15 :: v_dual_mov_b32 v18, v15
	v_dual_mov_b32 v17, v15 :: v_dual_mov_b32 v16, v15
	v_mov_b32_e32 v20, v15
	v_cmp_ne_u64_e32 vcc_lo, 24, v[14:15]
	v_dual_mov_b32 v14, v15 :: v_dual_mov_b32 v21, v15
	s_and_saveexec_b32 s3, vcc_lo
	s_cbranch_execz .LBB31_27
; %bb.24:
	v_dual_lshrrev_b32 v1, 3, v22 :: v_dual_mov_b32 v15, 0
	v_lshl_add_u64 v[24:25], v[8:9], 2, s[8:9]
	s_mov_b32 s7, 0
	s_delay_alu instid0(VALU_DEP_2) | instskip(SKIP_1) | instid1(VALU_DEP_2)
	v_dual_mov_b32 v18, v15 :: v_dual_add_nc_u32 v1, 1, v1
	v_dual_mov_b32 v16, v15 :: v_dual_mov_b32 v17, v15
	v_dual_mov_b32 v20, v15 :: v_dual_bitop2_b32 v14, 3, v1 bitop3:0x40
	v_dual_mov_b32 v19, v15 :: v_dual_mov_b32 v21, v15
	s_delay_alu instid0(VALU_DEP_2)
	v_sub_nc_u64_e32 v[26:27], 0, v[14:15]
	v_mov_b32_e32 v14, v15
.LBB31_25:                              ; =>This Inner Loop Header: Depth=1
	global_load_b32 v1, v[24:25], off
	s_clause 0x4
	global_load_b128 v[28:31], v[12:13], off offset:32
	global_load_b128 v[32:35], v[12:13], off offset:16
	global_load_b128 v[36:39], v[12:13], off
	global_load_b128 v[40:43], v[12:13], off offset:64
	global_load_b128 v[44:47], v[12:13], off offset:96
	v_add_nc_u64_e32 v[26:27], 1, v[26:27]
	v_add_nc_u64_e32 v[8:9], 8, v[8:9]
	s_wait_xcnt 0x5
	v_add_nc_u64_e32 v[24:25], 32, v[24:25]
	s_delay_alu instid0(VALU_DEP_3)
	v_cmp_eq_u64_e32 vcc_lo, 0, v[26:27]
	s_or_b32 s7, vcc_lo, s7
	s_wait_loadcnt 0x5
	v_subrev_nc_u32_e32 v1, s12, v1
	s_wait_loadcnt 0x4
	v_xor_b32_e32 v70, 0x80000000, v31
	s_wait_loadcnt 0x3
	v_xor_b32_e32 v76, 0x80000000, v35
	v_mov_b32_e32 v71, v30
	s_wait_loadcnt 0x1
	v_xor_b32_e32 v72, 0x80000000, v43
	v_dual_mov_b32 v73, v42 :: v_dual_lshlrev_b32 v48, 2, v1
	s_wait_loadcnt 0x0
	v_mov_b32_e32 v75, v46
	v_xor_b32_e32 v74, 0x80000000, v47
	s_delay_alu instid0(VALU_DEP_3) | instskip(SKIP_1) | instid1(VALU_DEP_1)
	v_ashrrev_i32_e32 v49, 31, v48
	s_wait_kmcnt 0x0
	v_lshl_add_u64 v[68:69], v[48:49], 3, s[4:5]
	global_load_b128 v[48:51], v[12:13], off offset:48
	s_clause 0x1
	global_load_b128 v[52:55], v[68:69], off
	global_load_b128 v[56:59], v[68:69], off offset:16
	s_clause 0x1
	global_load_b128 v[60:63], v[12:13], off offset:80
	global_load_b128 v[64:67], v[12:13], off offset:112
	s_wait_xcnt 0x2
	v_xor_b32_e32 v68, 0x80000000, v39
	v_dual_mov_b32 v69, v38 :: v_dual_mov_b32 v77, v34
	s_wait_xcnt 0x0
	v_add_nc_u64_e32 v[12:13], 0x400, v[12:13]
	s_wait_loadcnt 0x4
	v_mov_b32_e32 v79, v50
	s_wait_loadcnt 0x3
	v_pk_fma_f32 v[20:21], v[36:37], v[52:53], v[20:21] op_sel_hi:[1,0,1]
	v_pk_fma_f32 v[14:15], v[38:39], v[52:53], v[14:15] op_sel_hi:[1,0,1]
	;; [unrolled: 1-line block ×4, first 2 shown]
	v_xor_b32_e32 v78, 0x80000000, v51
	v_pk_fma_f32 v[20:21], v[36:37], v[52:53], v[20:21] op_sel:[1,1,0] op_sel_hi:[0,1,1] neg_lo:[1,0,0]
	v_pk_fma_f32 v[14:15], v[68:69], v[52:53], v[14:15] op_sel:[0,1,0]
	v_pk_fma_f32 v[18:19], v[32:33], v[52:53], v[18:19] op_sel:[1,1,0] op_sel_hi:[0,1,1] neg_lo:[1,0,0]
	v_pk_fma_f32 v[16:17], v[76:77], v[52:53], v[16:17] op_sel:[0,1,0]
	s_wait_loadcnt 0x1
	v_dual_mov_b32 v32, v55 :: v_dual_mov_b32 v35, v62
	v_pk_fma_f32 v[20:21], v[28:29], v[54:55], v[20:21] op_sel_hi:[1,0,1]
	v_pk_fma_f32 v[14:15], v[30:31], v[54:55], v[14:15] op_sel_hi:[1,0,1]
	;; [unrolled: 1-line block ×4, first 2 shown]
	v_xor_b32_e32 v34, 0x80000000, v63
	v_pk_fma_f32 v[20:21], v[28:29], v[32:33], v[20:21] op_sel:[1,0,0] op_sel_hi:[0,0,1] neg_lo:[1,0,0]
	v_pk_fma_f32 v[14:15], v[70:71], v[32:33], v[14:15] op_sel_hi:[1,0,1]
	v_pk_fma_f32 v[18:19], v[48:49], v[32:33], v[18:19] op_sel:[1,0,0] op_sel_hi:[0,0,1] neg_lo:[1,0,0]
	v_pk_fma_f32 v[16:17], v[78:79], v[32:33], v[16:17] op_sel_hi:[1,0,1]
	s_wait_loadcnt 0x0
	v_xor_b32_e32 v28, 0x80000000, v67
	v_pk_fma_f32 v[20:21], v[40:41], v[56:57], v[20:21] op_sel_hi:[1,0,1]
	v_pk_fma_f32 v[14:15], v[42:43], v[56:57], v[14:15] op_sel_hi:[1,0,1]
	;; [unrolled: 1-line block ×4, first 2 shown]
	v_dual_mov_b32 v29, v66 :: v_dual_mov_b32 v30, v59
	v_pk_fma_f32 v[20:21], v[40:41], v[56:57], v[20:21] op_sel:[1,1,0] op_sel_hi:[0,1,1] neg_lo:[1,0,0]
	v_pk_fma_f32 v[14:15], v[72:73], v[56:57], v[14:15] op_sel:[0,1,0]
	v_pk_fma_f32 v[18:19], v[60:61], v[56:57], v[18:19] op_sel:[1,1,0] op_sel_hi:[0,1,1] neg_lo:[1,0,0]
	v_pk_fma_f32 v[16:17], v[34:35], v[56:57], v[16:17] op_sel:[0,1,0]
	s_delay_alu instid0(VALU_DEP_4) | instskip(NEXT) | instid1(VALU_DEP_4)
	v_pk_fma_f32 v[20:21], v[44:45], v[58:59], v[20:21] op_sel_hi:[1,0,1]
	v_pk_fma_f32 v[14:15], v[46:47], v[58:59], v[14:15] op_sel_hi:[1,0,1]
	s_delay_alu instid0(VALU_DEP_4) | instskip(NEXT) | instid1(VALU_DEP_4)
	v_pk_fma_f32 v[18:19], v[64:65], v[58:59], v[18:19] op_sel_hi:[1,0,1]
	v_pk_fma_f32 v[16:17], v[66:67], v[58:59], v[16:17] op_sel_hi:[1,0,1]
	s_delay_alu instid0(VALU_DEP_4) | instskip(NEXT) | instid1(VALU_DEP_4)
	v_pk_fma_f32 v[20:21], v[44:45], v[30:31], v[20:21] op_sel:[1,0,0] op_sel_hi:[0,0,1] neg_lo:[1,0,0]
	v_pk_fma_f32 v[14:15], v[74:75], v[30:31], v[14:15] op_sel_hi:[1,0,1]
	s_delay_alu instid0(VALU_DEP_4) | instskip(NEXT) | instid1(VALU_DEP_4)
	v_pk_fma_f32 v[18:19], v[64:65], v[30:31], v[18:19] op_sel:[1,0,0] op_sel_hi:[0,0,1] neg_lo:[1,0,0]
	v_pk_fma_f32 v[16:17], v[28:29], v[30:31], v[16:17] op_sel_hi:[1,0,1]
	s_and_not1_b32 exec_lo, exec_lo, s7
	s_cbranch_execnz .LBB31_25
; %bb.26:
	s_or_b32 exec_lo, exec_lo, s7
.LBB31_27:
	s_delay_alu instid0(SALU_CYCLE_1) | instskip(NEXT) | instid1(SALU_CYCLE_1)
	s_or_b32 exec_lo, exec_lo, s3
	s_mov_b32 s3, exec_lo
	v_cmpx_lt_u64_e32 23, v[22:23]
	s_cbranch_execz .LBB31_31
; %bb.28:
	v_lshl_add_u64 v[22:23], v[8:9], 2, s[8:9]
	s_mov_b32 s7, 0
	s_delay_alu instid0(VALU_DEP_1)
	v_add_nc_u64_e32 v[22:23], 64, v[22:23]
.LBB31_29:                              ; =>This Inner Loop Header: Depth=1
	global_load_b32 v1, v[22:23], off offset:-64
	s_clause 0xb
	global_load_b128 v[24:27], v[12:13], off
	global_load_b128 v[28:31], v[12:13], off offset:16
	global_load_b128 v[32:35], v[12:13], off offset:48
	global_load_b128 v[36:39], v[12:13], off offset:32
	global_load_b128 v[40:43], v[12:13], off offset:112
	global_load_b128 v[44:47], v[12:13], off offset:96
	global_load_b128 v[48:51], v[12:13], off offset:80
	global_load_b128 v[52:55], v[12:13], off offset:64
	global_load_b128 v[56:59], v[12:13], off offset:1072
	global_load_b128 v[60:63], v[12:13], off offset:1056
	global_load_b128 v[64:67], v[12:13], off offset:1040
	global_load_b128 v[68:71], v[12:13], off offset:1024
	s_clause 0x2
	global_load_b32 v7, v[22:23], off offset:-32
	global_load_b32 v116, v[22:23], off
	global_load_b32 v118, v[22:23], off offset:32
	s_clause 0x6
	global_load_b128 v[72:75], v[12:13], off offset:1136
	global_load_b128 v[76:79], v[12:13], off offset:1120
	;; [unrolled: 1-line block ×7, first 2 shown]
	v_add_nc_u64_e32 v[8:9], 32, v[8:9]
	s_wait_xcnt 0x7
	v_add_nc_u64_e32 v[22:23], 0x80, v[22:23]
	s_delay_alu instid0(VALU_DEP_2)
	v_cmp_ge_i64_e32 vcc_lo, v[8:9], v[10:11]
	s_or_b32 s7, vcc_lo, s7
	s_wait_loadcnt 0x16
	v_subrev_nc_u32_e32 v1, s12, v1
	s_wait_loadcnt 0x15
	v_mov_b32_e32 v109, v26
	v_xor_b32_e32 v108, 0x80000000, v27
	s_delay_alu instid0(VALU_DEP_3) | instskip(SKIP_1) | instid1(VALU_DEP_1)
	v_lshlrev_b32_e32 v100, 2, v1
	s_wait_loadcnt 0xc
	v_dual_ashrrev_i32 v101, 31, v100 :: v_dual_mov_b32 v117, v62
	s_wait_loadcnt 0x9
	v_subrev_nc_u32_e32 v1, s12, v7
	s_wait_kmcnt 0x0
	s_delay_alu instid0(VALU_DEP_2)
	v_lshl_add_u64 v[110:111], v[100:101], 3, s[4:5]
	s_clause 0x1
	global_load_b128 v[100:103], v[110:111], off
	global_load_b128 v[104:107], v[110:111], off offset:16
	s_wait_loadcnt 0x1
	v_pk_fma_f32 v[20:21], v[24:25], v[100:101], v[20:21] op_sel_hi:[1,0,1]
	s_wait_xcnt 0x0
	v_pk_fma_f32 v[110:111], v[26:27], v[100:101], v[14:15] op_sel_hi:[1,0,1]
	v_pk_fma_f32 v[14:15], v[28:29], v[100:101], v[18:19] op_sel_hi:[1,0,1]
	;; [unrolled: 1-line block ×3, first 2 shown]
	v_pk_fma_f32 v[112:113], v[24:25], v[100:101], v[20:21] op_sel:[1,1,0] op_sel_hi:[0,1,1] neg_lo:[1,0,0]
	v_xor_b32_e32 v20, 0x80000000, v31
	v_mov_b32_e32 v21, v30
	v_pk_fma_f32 v[28:29], v[28:29], v[100:101], v[14:15] op_sel:[1,1,0] op_sel_hi:[0,1,1] neg_lo:[1,0,0]
	v_pk_fma_f32 v[30:31], v[108:109], v[100:101], v[110:111] op_sel:[0,1,0]
	v_pk_fma_f32 v[108:109], v[36:37], v[102:103], v[112:113] op_sel_hi:[1,0,1]
	v_xor_b32_e32 v112, 0x80000000, v39
	v_pk_fma_f32 v[100:101], v[20:21], v[100:101], v[18:19] op_sel:[0,1,0]
	v_pk_fma_f32 v[28:29], v[32:33], v[102:103], v[28:29] op_sel_hi:[1,0,1]
	v_pk_fma_f32 v[110:111], v[38:39], v[102:103], v[30:31] op_sel_hi:[1,0,1]
	v_mov_b32_e32 v113, v38
	v_xor_b32_e32 v38, 0x80000000, v35
	v_pk_fma_f32 v[100:101], v[34:35], v[102:103], v[100:101] op_sel_hi:[1,0,1]
	v_dual_mov_b32 v102, v103 :: v_dual_mov_b32 v39, v34
	s_clause 0x2
	global_load_b128 v[24:27], v[12:13], off offset:2048
	global_load_b128 v[14:17], v[12:13], off offset:2160
	;; [unrolled: 1-line block ×3, first 2 shown]
	v_pk_fma_f32 v[36:37], v[36:37], v[102:103], v[108:109] op_sel:[1,0,0] op_sel_hi:[0,0,1] neg_lo:[1,0,0]
	v_pk_fma_f32 v[110:111], v[112:113], v[102:103], v[110:111] op_sel_hi:[1,0,1]
	v_pk_fma_f32 v[108:109], v[32:33], v[102:103], v[28:29] op_sel:[1,0,0] op_sel_hi:[0,0,1] neg_lo:[1,0,0]
	v_pk_fma_f32 v[100:101], v[38:39], v[102:103], v[100:101] op_sel_hi:[1,0,1]
	v_xor_b32_e32 v102, 0x80000000, v55
	v_mov_b32_e32 v103, v54
	s_wait_loadcnt 0x3
	v_pk_fma_f32 v[36:37], v[52:53], v[104:105], v[36:37] op_sel_hi:[1,0,1]
	v_pk_fma_f32 v[54:55], v[54:55], v[104:105], v[110:111] op_sel_hi:[1,0,1]
	;; [unrolled: 1-line block ×4, first 2 shown]
	v_mov_b32_e32 v113, v70
	v_pk_fma_f32 v[110:111], v[52:53], v[104:105], v[36:37] op_sel:[1,1,0] op_sel_hi:[0,1,1] neg_lo:[1,0,0]
	v_xor_b32_e32 v52, 0x80000000, v51
	v_mov_b32_e32 v53, v50
	v_pk_fma_f32 v[102:103], v[102:103], v[104:105], v[54:55] op_sel:[0,1,0]
	v_pk_fma_f32 v[108:109], v[48:49], v[104:105], v[108:109] op_sel:[1,1,0] op_sel_hi:[0,1,1] neg_lo:[1,0,0]
	s_clause 0x1
	global_load_b128 v[28:31], v[12:13], off offset:2128
	global_load_b128 v[32:35], v[12:13], off offset:2112
	v_pk_fma_f32 v[100:101], v[52:53], v[104:105], v[100:101] op_sel:[0,1,0]
	v_pk_fma_f32 v[104:105], v[44:45], v[106:107], v[110:111] op_sel_hi:[1,0,1]
	v_pk_fma_f32 v[102:103], v[46:47], v[106:107], v[102:103] op_sel_hi:[1,0,1]
	v_dual_mov_b32 v111, v46 :: v_dual_lshlrev_b32 v46, 2, v1
	v_pk_fma_f32 v[108:109], v[40:41], v[106:107], v[108:109] op_sel_hi:[1,0,1]
	v_pk_fma_f32 v[100:101], v[42:43], v[106:107], v[100:101] op_sel_hi:[1,0,1]
	v_mov_b32_e32 v106, v107
	v_xor_b32_e32 v110, 0x80000000, v47
	v_ashrrev_i32_e32 v47, 31, v46
	s_clause 0x1
	global_load_b128 v[36:39], v[12:13], off offset:3120
	global_load_b128 v[48:51], v[12:13], off offset:3104
	v_pk_fma_f32 v[104:105], v[44:45], v[106:107], v[104:105] op_sel:[1,0,0] op_sel_hi:[0,0,1] neg_lo:[1,0,0]
	v_xor_b32_e32 v44, 0x80000000, v43
	v_mov_b32_e32 v45, v42
	v_lshl_add_u64 v[114:115], v[46:47], 3, s[4:5]
	global_load_b128 v[52:55], v[12:13], off offset:3072
	v_pk_fma_f32 v[108:109], v[40:41], v[106:107], v[108:109] op_sel:[1,0,0] op_sel_hi:[0,0,1] neg_lo:[1,0,0]
	global_load_b128 v[40:43], v[12:13], off offset:3168
	v_pk_fma_f32 v[110:111], v[110:111], v[106:107], v[102:103] op_sel_hi:[1,0,1]
	v_pk_fma_f32 v[106:107], v[44:45], v[106:107], v[100:101] op_sel_hi:[1,0,1]
	s_clause 0x1
	global_load_b128 v[44:47], v[114:115], off
	global_load_b128 v[100:103], v[114:115], off offset:16
	v_subrev_nc_u32_e32 v1, s12, v116
	v_xor_b32_e32 v112, 0x80000000, v71
	v_xor_b32_e32 v116, 0x80000000, v63
	s_wait_loadcnt 0x1
	v_pk_fma_f32 v[70:71], v[70:71], v[44:45], v[110:111] op_sel_hi:[1,0,1]
	s_wait_xcnt 0x0
	v_dual_lshlrev_b32 v110, 2, v1 :: v_dual_mov_b32 v114, v47
	v_pk_fma_f32 v[104:105], v[68:69], v[44:45], v[104:105] op_sel_hi:[1,0,1]
	v_pk_fma_f32 v[108:109], v[64:65], v[44:45], v[108:109] op_sel_hi:[1,0,1]
	;; [unrolled: 1-line block ×3, first 2 shown]
	s_delay_alu instid0(VALU_DEP_4)
	v_ashrrev_i32_e32 v111, 31, v110
	v_pk_fma_f32 v[112:113], v[112:113], v[44:45], v[70:71] op_sel:[0,1,0]
	v_pk_fma_f32 v[104:105], v[68:69], v[44:45], v[104:105] op_sel:[1,1,0] op_sel_hi:[0,1,1] neg_lo:[1,0,0]
	v_xor_b32_e32 v68, 0x80000000, v67
	v_mov_b32_e32 v69, v66
	v_lshl_add_u64 v[110:111], v[110:111], 3, s[4:5]
	v_pk_fma_f32 v[108:109], v[64:65], v[44:45], v[108:109] op_sel:[1,1,0] op_sel_hi:[0,1,1] neg_lo:[1,0,0]
	v_pk_fma_f32 v[104:105], v[60:61], v[46:47], v[104:105] op_sel_hi:[1,0,1]
	v_subrev_nc_u32_e32 v1, s12, v118
	v_pk_fma_f32 v[44:45], v[68:69], v[44:45], v[106:107] op_sel:[0,1,0]
	global_load_b128 v[68:71], v[110:111], off
	v_pk_fma_f32 v[108:109], v[56:57], v[46:47], v[108:109] op_sel_hi:[1,0,1]
	v_pk_fma_f32 v[106:107], v[62:63], v[46:47], v[112:113] op_sel_hi:[1,0,1]
	v_pk_fma_f32 v[60:61], v[60:61], v[114:115], v[104:105] op_sel:[1,0,0] op_sel_hi:[0,0,1] neg_lo:[1,0,0]
	v_pk_fma_f32 v[112:113], v[58:59], v[46:47], v[44:45] op_sel_hi:[1,0,1]
	v_xor_b32_e32 v62, 0x80000000, v59
	v_mov_b32_e32 v63, v58
	v_pk_fma_f32 v[104:105], v[56:57], v[114:115], v[108:109] op_sel:[1,0,0] op_sel_hi:[0,0,1] neg_lo:[1,0,0]
	global_load_b128 v[56:59], v[110:111], off offset:16
	v_mov_b32_e32 v109, v86
	v_pk_fma_f32 v[106:107], v[116:117], v[114:115], v[106:107] op_sel_hi:[1,0,1]
	v_mov_b32_e32 v117, v82
	v_pk_fma_f32 v[112:113], v[62:63], v[114:115], v[112:113] op_sel_hi:[1,0,1]
	v_lshlrev_b32_e32 v62, 2, v1
	s_clause 0x1
	global_load_b128 v[64:67], v[12:13], off offset:3136
	global_load_b128 v[44:47], v[12:13], off offset:3088
	s_wait_loadcnt 0x4
	v_pk_fma_f32 v[60:61], v[84:85], v[100:101], v[60:61] op_sel_hi:[1,0,1]
	v_xor_b32_e32 v108, 0x80000000, v87
	v_ashrrev_i32_e32 v63, 31, v62
	v_xor_b32_e32 v116, 0x80000000, v83
	v_pk_fma_f32 v[106:107], v[86:87], v[100:101], v[106:107] op_sel_hi:[1,0,1]
	v_pk_fma_f32 v[114:115], v[84:85], v[100:101], v[60:61] op_sel:[1,1,0] op_sel_hi:[0,1,1] neg_lo:[1,0,0]
	v_pk_fma_f32 v[84:85], v[80:81], v[100:101], v[104:105] op_sel_hi:[1,0,1]
	s_wait_xcnt 0x2
	v_lshl_add_u64 v[110:111], v[62:63], 3, s[4:5]
	v_pk_fma_f32 v[104:105], v[82:83], v[100:101], v[112:113] op_sel_hi:[1,0,1]
	v_pk_fma_f32 v[108:109], v[108:109], v[100:101], v[106:107] op_sel:[0,1,0]
	v_pk_fma_f32 v[112:113], v[80:81], v[100:101], v[84:85] op_sel:[1,1,0] op_sel_hi:[0,1,1] neg_lo:[1,0,0]
	global_load_b128 v[60:63], v[110:111], off
	global_load_b128 v[80:83], v[12:13], off offset:3152
	global_load_b128 v[84:87], v[110:111], off offset:16
	v_pk_fma_f32 v[100:101], v[116:117], v[100:101], v[104:105] op_sel:[0,1,0]
	global_load_b128 v[104:107], v[12:13], off offset:3184
	s_wait_xcnt 0x1
	v_pk_fma_f32 v[110:111], v[76:77], v[102:103], v[114:115] op_sel_hi:[1,0,1]
	v_pk_fma_f32 v[108:109], v[78:79], v[102:103], v[108:109] op_sel_hi:[1,0,1]
	;; [unrolled: 1-line block ×4, first 2 shown]
	v_mov_b32_e32 v102, v103
	v_xor_b32_e32 v114, 0x80000000, v79
	v_dual_mov_b32 v115, v78 :: v_dual_mov_b32 v79, v74
	v_xor_b32_e32 v78, 0x80000000, v75
	s_delay_alu instid0(VALU_DEP_4) | instskip(SKIP_1) | instid1(VALU_DEP_4)
	v_pk_fma_f32 v[76:77], v[76:77], v[102:103], v[110:111] op_sel:[1,0,0] op_sel_hi:[0,0,1] neg_lo:[1,0,0]
	v_pk_fma_f32 v[72:73], v[72:73], v[102:103], v[112:113] op_sel:[1,0,0] op_sel_hi:[0,0,1] neg_lo:[1,0,0]
	v_pk_fma_f32 v[108:109], v[114:115], v[102:103], v[108:109] op_sel_hi:[1,0,1]
	v_xor_b32_e32 v74, 0x80000000, v27
	v_pk_fma_f32 v[78:79], v[78:79], v[102:103], v[100:101] op_sel_hi:[1,0,1]
	v_dual_mov_b32 v75, v26 :: v_dual_mov_b32 v111, v98
	v_xor_b32_e32 v110, 0x80000000, v99
	v_xor_b32_e32 v112, 0x80000000, v95
	v_dual_mov_b32 v113, v94 :: v_dual_mov_b32 v115, v90
	v_xor_b32_e32 v114, 0x80000000, v91
	v_xor_b32_e32 v100, 0x80000000, v35
	v_dual_mov_b32 v101, v34 :: v_dual_mov_b32 v103, v30
	v_xor_b32_e32 v102, 0x80000000, v31
	s_wait_xcnt 0x0
	v_add_nc_u64_e32 v[12:13], 0x1000, v[12:13]
	s_wait_loadcnt 0x7
	v_pk_fma_f32 v[76:77], v[24:25], v[68:69], v[76:77] op_sel_hi:[1,0,1]
	v_pk_fma_f32 v[26:27], v[26:27], v[68:69], v[108:109] op_sel_hi:[1,0,1]
	;; [unrolled: 1-line block ×4, first 2 shown]
	v_mov_b32_e32 v109, v54
	v_pk_fma_f32 v[24:25], v[24:25], v[68:69], v[76:77] op_sel:[1,1,0] op_sel_hi:[0,1,1] neg_lo:[1,0,0]
	v_pk_fma_f32 v[26:27], v[74:75], v[68:69], v[26:27] op_sel:[0,1,0]
	v_pk_fma_f32 v[72:73], v[96:97], v[68:69], v[72:73] op_sel:[1,1,0] op_sel_hi:[0,1,1] neg_lo:[1,0,0]
	v_pk_fma_f32 v[68:69], v[110:111], v[68:69], v[78:79] op_sel:[0,1,0]
	v_mov_b32_e32 v75, v42
	v_pk_fma_f32 v[24:25], v[92:93], v[70:71], v[24:25] op_sel_hi:[1,0,1]
	v_pk_fma_f32 v[26:27], v[94:95], v[70:71], v[26:27] op_sel_hi:[1,0,1]
	v_pk_fma_f32 v[72:73], v[88:89], v[70:71], v[72:73] op_sel_hi:[1,0,1]
	v_pk_fma_f32 v[68:69], v[90:91], v[70:71], v[68:69] op_sel_hi:[1,0,1]
	v_mov_b32_e32 v70, v71
	v_xor_b32_e32 v76, 0x80000000, v21
	v_mov_b32_e32 v77, v20
	v_xor_b32_e32 v78, 0x80000000, v17
	v_mov_b32_e32 v79, v16
	v_pk_fma_f32 v[24:25], v[92:93], v[70:71], v[24:25] op_sel:[1,0,0] op_sel_hi:[0,0,1] neg_lo:[1,0,0]
	v_pk_fma_f32 v[26:27], v[112:113], v[70:71], v[26:27] op_sel_hi:[1,0,1]
	v_pk_fma_f32 v[72:73], v[88:89], v[70:71], v[72:73] op_sel:[1,0,0] op_sel_hi:[0,0,1] neg_lo:[1,0,0]
	v_pk_fma_f32 v[68:69], v[114:115], v[70:71], v[68:69] op_sel_hi:[1,0,1]
	s_wait_loadcnt 0x4
	v_mov_b32_e32 v71, v46
	v_pk_fma_f32 v[24:25], v[32:33], v[56:57], v[24:25] op_sel_hi:[1,0,1]
	v_pk_fma_f32 v[26:27], v[34:35], v[56:57], v[26:27] op_sel_hi:[1,0,1]
	;; [unrolled: 1-line block ×4, first 2 shown]
	v_xor_b32_e32 v108, 0x80000000, v55
	v_pk_fma_f32 v[24:25], v[32:33], v[56:57], v[24:25] op_sel:[1,1,0] op_sel_hi:[0,1,1] neg_lo:[1,0,0]
	v_pk_fma_f32 v[26:27], v[100:101], v[56:57], v[26:27] op_sel:[0,1,0]
	v_pk_fma_f32 v[28:29], v[28:29], v[56:57], v[34:35] op_sel:[1,1,0] op_sel_hi:[0,1,1] neg_lo:[1,0,0]
	v_pk_fma_f32 v[30:31], v[102:103], v[56:57], v[30:31] op_sel:[0,1,0]
	v_mov_b32_e32 v32, v59
	v_pk_fma_f32 v[24:25], v[18:19], v[58:59], v[24:25] op_sel_hi:[1,0,1]
	v_pk_fma_f32 v[20:21], v[20:21], v[58:59], v[26:27] op_sel_hi:[1,0,1]
	;; [unrolled: 1-line block ×4, first 2 shown]
	v_mov_b32_e32 v29, v38
	v_pk_fma_f32 v[18:19], v[18:19], v[32:33], v[24:25] op_sel:[1,0,0] op_sel_hi:[0,0,1] neg_lo:[1,0,0]
	v_pk_fma_f32 v[20:21], v[76:77], v[32:33], v[20:21] op_sel_hi:[1,0,1]
	v_pk_fma_f32 v[14:15], v[14:15], v[32:33], v[26:27] op_sel:[1,0,0] op_sel_hi:[0,0,1] neg_lo:[1,0,0]
	v_pk_fma_f32 v[16:17], v[78:79], v[32:33], v[16:17] op_sel_hi:[1,0,1]
	v_xor_b32_e32 v70, 0x80000000, v47
	s_wait_loadcnt 0x3
	v_pk_fma_f32 v[18:19], v[52:53], v[60:61], v[18:19] op_sel_hi:[1,0,1]
	v_pk_fma_f32 v[20:21], v[54:55], v[60:61], v[20:21] op_sel_hi:[1,0,1]
	;; [unrolled: 1-line block ×4, first 2 shown]
	v_xor_b32_e32 v96, 0x80000000, v51
	v_pk_fma_f32 v[18:19], v[52:53], v[60:61], v[18:19] op_sel:[1,1,0] op_sel_hi:[0,1,1] neg_lo:[1,0,0]
	v_pk_fma_f32 v[20:21], v[108:109], v[60:61], v[20:21] op_sel:[0,1,0]
	v_pk_fma_f32 v[14:15], v[44:45], v[60:61], v[14:15] op_sel:[1,1,0] op_sel_hi:[0,1,1] neg_lo:[1,0,0]
	v_pk_fma_f32 v[16:17], v[70:71], v[60:61], v[16:17] op_sel:[0,1,0]
	v_dual_mov_b32 v97, v50 :: v_dual_mov_b32 v99, v66
	v_xor_b32_e32 v28, 0x80000000, v39
	s_wait_loadcnt 0x2
	v_dual_mov_b32 v26, v63 :: v_dual_mov_b32 v25, v82
	v_pk_fma_f32 v[18:19], v[48:49], v[62:63], v[18:19] op_sel_hi:[1,0,1]
	v_pk_fma_f32 v[20:21], v[50:51], v[62:63], v[20:21] op_sel_hi:[1,0,1]
	;; [unrolled: 1-line block ×4, first 2 shown]
	v_xor_b32_e32 v98, 0x80000000, v67
	v_pk_fma_f32 v[18:19], v[48:49], v[26:27], v[18:19] op_sel:[1,0,0] op_sel_hi:[0,0,1] neg_lo:[1,0,0]
	v_pk_fma_f32 v[20:21], v[96:97], v[26:27], v[20:21] op_sel_hi:[1,0,1]
	v_pk_fma_f32 v[14:15], v[36:37], v[26:27], v[14:15] op_sel:[1,0,0] op_sel_hi:[0,0,1] neg_lo:[1,0,0]
	v_pk_fma_f32 v[16:17], v[28:29], v[26:27], v[16:17] op_sel_hi:[1,0,1]
	v_xor_b32_e32 v24, 0x80000000, v83
	s_wait_loadcnt 0x1
	v_pk_fma_f32 v[18:19], v[64:65], v[84:85], v[18:19] op_sel_hi:[1,0,1]
	v_pk_fma_f32 v[20:21], v[66:67], v[84:85], v[20:21] op_sel_hi:[1,0,1]
	;; [unrolled: 1-line block ×4, first 2 shown]
	v_xor_b32_e32 v74, 0x80000000, v43
	v_pk_fma_f32 v[18:19], v[64:65], v[84:85], v[18:19] op_sel:[1,1,0] op_sel_hi:[0,1,1] neg_lo:[1,0,0]
	v_pk_fma_f32 v[20:21], v[98:99], v[84:85], v[20:21] op_sel:[0,1,0]
	v_pk_fma_f32 v[14:15], v[80:81], v[84:85], v[14:15] op_sel:[1,1,0] op_sel_hi:[0,1,1] neg_lo:[1,0,0]
	v_pk_fma_f32 v[16:17], v[24:25], v[84:85], v[16:17] op_sel:[0,1,0]
	s_wait_loadcnt 0x0
	v_xor_b32_e32 v26, 0x80000000, v107
	v_dual_mov_b32 v27, v106 :: v_dual_mov_b32 v24, v87
	v_pk_fma_f32 v[18:19], v[40:41], v[86:87], v[18:19] op_sel_hi:[1,0,1]
	v_pk_fma_f32 v[28:29], v[42:43], v[86:87], v[20:21] op_sel_hi:[1,0,1]
	;; [unrolled: 1-line block ×4, first 2 shown]
	s_delay_alu instid0(VALU_DEP_4) | instskip(NEXT) | instid1(VALU_DEP_4)
	v_pk_fma_f32 v[20:21], v[40:41], v[24:25], v[18:19] op_sel:[1,0,0] op_sel_hi:[0,0,1] neg_lo:[1,0,0]
	v_pk_fma_f32 v[14:15], v[74:75], v[24:25], v[28:29] op_sel_hi:[1,0,1]
	s_delay_alu instid0(VALU_DEP_4) | instskip(NEXT) | instid1(VALU_DEP_4)
	v_pk_fma_f32 v[18:19], v[104:105], v[24:25], v[30:31] op_sel:[1,0,0] op_sel_hi:[0,0,1] neg_lo:[1,0,0]
	v_pk_fma_f32 v[16:17], v[26:27], v[24:25], v[16:17] op_sel_hi:[1,0,1]
	s_and_not1_b32 exec_lo, exec_lo, s7
	s_cbranch_execnz .LBB31_29
; %bb.30:
	s_or_b32 exec_lo, exec_lo, s7
.LBB31_31:
	s_delay_alu instid0(SALU_CYCLE_1)
	s_or_b32 exec_lo, exec_lo, s3
.LBB31_32:
	s_delay_alu instid0(SALU_CYCLE_1)
	s_or_b32 exec_lo, exec_lo, s6
.LBB31_33:
	v_mbcnt_lo_u32_b32 v1, -1, 0
	s_delay_alu instid0(VALU_DEP_1) | instskip(SKIP_1) | instid1(VALU_DEP_1)
	v_xor_b32_e32 v23, 2, v1
	v_xor_b32_e32 v7, 4, v1
	v_cmp_gt_i32_e32 vcc_lo, 32, v7
	v_cndmask_b32_e32 v7, v1, v7, vcc_lo
	s_delay_alu instid0(VALU_DEP_1)
	v_lshlrev_b32_e32 v7, 2, v7
	ds_bpermute_b32 v9, v7, v21
	s_wait_dscnt 0x0
	v_add_f32_e32 v9, v21, v9
	ds_bpermute_b32 v10, v7, v14
	ds_bpermute_b32 v8, v7, v20
	;; [unrolled: 1-line block ×7, first 2 shown]
	s_wait_dscnt 0x6
	v_add_f32_e32 v10, v14, v10
	v_cmp_gt_i32_e32 vcc_lo, 32, v23
	s_wait_dscnt 0x4
	v_dual_add_f32 v8, v20, v8 :: v_dual_add_f32 v11, v15, v11
	s_wait_dscnt 0x1
	v_dual_add_f32 v13, v19, v13 :: v_dual_add_f32 v14, v16, v22
	v_cndmask_b32_e32 v23, v1, v23, vcc_lo
	s_wait_dscnt 0x0
	v_dual_add_f32 v15, v17, v7 :: v_dual_add_f32 v12, v18, v12
	s_delay_alu instid0(VALU_DEP_2)
	v_lshlrev_b32_e32 v23, 2, v23
	ds_bpermute_b32 v7, v23, v8
	ds_bpermute_b32 v16, v23, v9
	;; [unrolled: 1-line block ×8, first 2 shown]
	v_xor_b32_e32 v23, 1, v1
	s_delay_alu instid0(VALU_DEP_1) | instskip(SKIP_3) | instid1(VALU_DEP_2)
	v_cmp_gt_i32_e32 vcc_lo, 32, v23
	v_cndmask_b32_e32 v1, v1, v23, vcc_lo
	v_cmp_eq_u32_e32 vcc_lo, 7, v0
	s_wait_dscnt 0x7
	v_dual_lshlrev_b32 v23, 2, v1 :: v_dual_add_f32 v1, v8, v7
	s_wait_dscnt 0x5
	v_dual_add_f32 v7, v9, v16 :: v_dual_add_f32 v8, v10, v17
	s_wait_dscnt 0x3
	v_dual_add_f32 v9, v11, v18 :: v_dual_add_f32 v10, v12, v19
	;; [unrolled: 2-line block ×3, first 2 shown]
	s_wait_dscnt 0x0
	v_add_f32_e32 v13, v15, v22
	ds_bpermute_b32 v14, v23, v1
	ds_bpermute_b32 v15, v23, v7
	;; [unrolled: 1-line block ×8, first 2 shown]
	s_and_b32 exec_lo, exec_lo, vcc_lo
	s_cbranch_execz .LBB31_6
; %bb.34:
	s_load_b64 s[0:1], s[0:1], 0x50
	v_cmp_eq_f32_e32 vcc_lo, 0, v4
	s_wait_dscnt 0x6
	v_dual_add_f32 v0, v1, v14 :: v_dual_add_f32 v22, v7, v15
	s_wait_dscnt 0x4
	v_dual_add_f32 v8, v8, v16 :: v_dual_add_f32 v20, v9, v17
	;; [unrolled: 2-line block ×4, first 2 shown]
	v_xor_b32_e32 v18, 0x80000000, v3
	v_lshlrev_b32_e32 v6, 2, v6
	s_xor_b32 s2, s2, -1
	s_delay_alu instid0(SALU_CYCLE_1) | instskip(NEXT) | instid1(SALU_CYCLE_1)
	s_and_b32 s2, vcc_lo, s2
	s_and_saveexec_b32 s3, s2
	s_delay_alu instid0(SALU_CYCLE_1)
	s_xor_b32 s2, exec_lo, s3
	s_cbranch_execz .LBB31_36
; %bb.35:
	v_dual_mov_b32 v19, v2 :: v_dual_ashrrev_i32 v7, 31, v6
	s_delay_alu instid0(VALU_DEP_1)
	v_pk_mul_f32 v[4:5], v[22:23], v[18:19] op_sel_hi:[0,1]
	v_pk_mul_f32 v[20:21], v[20:21], v[18:19] op_sel_hi:[0,1]
	;; [unrolled: 1-line block ×4, first 2 shown]
	s_wait_kmcnt 0x0
	v_lshl_add_u64 v[18:19], v[6:7], 3, s[0:1]
	v_pk_fma_f32 v[4:5], v[2:3], v[0:1], v[4:5] op_sel_hi:[1,0,1]
	v_pk_fma_f32 v[6:7], v[2:3], v[8:9], v[20:21] op_sel_hi:[1,0,1]
	;; [unrolled: 1-line block ×4, first 2 shown]
                                        ; implicit-def: $vgpr22
                                        ; implicit-def: $vgpr8
                                        ; implicit-def: $vgpr20
                                        ; implicit-def: $vgpr10
                                        ; implicit-def: $vgpr16
                                        ; implicit-def: $vgpr12
                                        ; implicit-def: $vgpr14
	s_clause 0x1
	global_store_b128 v[18:19], v[4:7], off
	global_store_b128 v[18:19], v[0:3], off offset:16
                                        ; implicit-def: $vgpr0
                                        ; implicit-def: $vgpr2_vgpr3
                                        ; implicit-def: $vgpr4_vgpr5
                                        ; implicit-def: $vgpr18
                                        ; implicit-def: $vgpr6
.LBB31_36:
	s_wait_xcnt 0x0
	s_and_not1_saveexec_b32 s2, s2
	s_cbranch_execz .LBB31_6
; %bb.37:
	v_dual_ashrrev_i32 v7, 31, v6 :: v_dual_mov_b32 v19, v2
	s_wait_kmcnt 0x0
	s_delay_alu instid0(VALU_DEP_1) | instskip(NEXT) | instid1(VALU_DEP_2)
	v_lshl_add_u64 v[32:33], v[6:7], 3, s[0:1]
	v_pk_mul_f32 v[6:7], v[22:23], v[18:19] op_sel_hi:[0,1]
	v_pk_mul_f32 v[20:21], v[20:21], v[18:19] op_sel_hi:[0,1]
	v_pk_mul_f32 v[16:17], v[16:17], v[18:19] op_sel_hi:[0,1]
	v_pk_mul_f32 v[14:15], v[14:15], v[18:19] op_sel_hi:[0,1]
	s_clause 0x1
	global_load_b128 v[24:27], v[32:33], off
	global_load_b128 v[28:31], v[32:33], off offset:16
	v_pk_fma_f32 v[0:1], v[2:3], v[0:1], v[6:7] op_sel_hi:[1,0,1]
	v_pk_fma_f32 v[6:7], v[2:3], v[8:9], v[20:21] op_sel_hi:[1,0,1]
	;; [unrolled: 1-line block ×4, first 2 shown]
	v_xor_b32_e32 v22, 0x80000000, v5
	s_wait_loadcnt 0x1
	v_dual_mov_b32 v23, v4 :: v_dual_mov_b32 v10, v27
	v_pk_fma_f32 v[0:1], v[4:5], v[24:25], v[0:1] op_sel_hi:[1,0,1]
	v_pk_fma_f32 v[6:7], v[4:5], v[26:27], v[6:7] op_sel_hi:[1,0,1]
	s_wait_loadcnt 0x0
	v_pk_fma_f32 v[8:9], v[4:5], v[28:29], v[8:9] op_sel_hi:[1,0,1]
	v_pk_fma_f32 v[12:13], v[4:5], v[30:31], v[2:3] op_sel_hi:[1,0,1]
	v_mov_b32_e32 v14, v31
	v_pk_fma_f32 v[0:1], v[22:23], v[24:25], v[0:1] op_sel:[0,1,0]
	v_pk_fma_f32 v[2:3], v[22:23], v[10:11], v[6:7] op_sel_hi:[1,0,1]
	v_pk_fma_f32 v[4:5], v[22:23], v[28:29], v[8:9] op_sel:[0,1,0]
	s_delay_alu instid0(VALU_DEP_4)
	v_pk_fma_f32 v[6:7], v[22:23], v[14:15], v[12:13] op_sel_hi:[1,0,1]
	s_clause 0x1
	global_store_b128 v[32:33], v[0:3], off
	global_store_b128 v[32:33], v[4:7], off offset:16
	s_sendmsg sendmsg(MSG_DEALLOC_VGPRS)
	s_endpgm
	.section	.rodata,"a",@progbits
	.p2align	6, 0x0
	.amdhsa_kernel _ZN9rocsparseL18bsrxmvn_4x4_kernelILj128ELj8E21rocsparse_complex_numIfEliS2_S2_S2_EEvT3_20rocsparse_direction_NS_24const_host_device_scalarIT1_EES3_PKS3_PKT2_SC_S9_PKT4_PKT5_S7_PT6_21rocsparse_index_base_b
		.amdhsa_group_segment_fixed_size 0
		.amdhsa_private_segment_fixed_size 0
		.amdhsa_kernarg_size 96
		.amdhsa_user_sgpr_count 2
		.amdhsa_user_sgpr_dispatch_ptr 0
		.amdhsa_user_sgpr_queue_ptr 0
		.amdhsa_user_sgpr_kernarg_segment_ptr 1
		.amdhsa_user_sgpr_dispatch_id 0
		.amdhsa_user_sgpr_kernarg_preload_length 0
		.amdhsa_user_sgpr_kernarg_preload_offset 0
		.amdhsa_user_sgpr_private_segment_size 0
		.amdhsa_wavefront_size32 1
		.amdhsa_uses_dynamic_stack 0
		.amdhsa_enable_private_segment 0
		.amdhsa_system_sgpr_workgroup_id_x 1
		.amdhsa_system_sgpr_workgroup_id_y 0
		.amdhsa_system_sgpr_workgroup_id_z 0
		.amdhsa_system_sgpr_workgroup_info 0
		.amdhsa_system_vgpr_workitem_id 0
		.amdhsa_next_free_vgpr 143
		.amdhsa_next_free_sgpr 16
		.amdhsa_named_barrier_count 0
		.amdhsa_reserve_vcc 1
		.amdhsa_float_round_mode_32 0
		.amdhsa_float_round_mode_16_64 0
		.amdhsa_float_denorm_mode_32 3
		.amdhsa_float_denorm_mode_16_64 3
		.amdhsa_fp16_overflow 0
		.amdhsa_memory_ordered 1
		.amdhsa_forward_progress 1
		.amdhsa_inst_pref_size 62
		.amdhsa_round_robin_scheduling 0
		.amdhsa_exception_fp_ieee_invalid_op 0
		.amdhsa_exception_fp_denorm_src 0
		.amdhsa_exception_fp_ieee_div_zero 0
		.amdhsa_exception_fp_ieee_overflow 0
		.amdhsa_exception_fp_ieee_underflow 0
		.amdhsa_exception_fp_ieee_inexact 0
		.amdhsa_exception_int_div_zero 0
	.end_amdhsa_kernel
	.section	.text._ZN9rocsparseL18bsrxmvn_4x4_kernelILj128ELj8E21rocsparse_complex_numIfEliS2_S2_S2_EEvT3_20rocsparse_direction_NS_24const_host_device_scalarIT1_EES3_PKS3_PKT2_SC_S9_PKT4_PKT5_S7_PT6_21rocsparse_index_base_b,"axG",@progbits,_ZN9rocsparseL18bsrxmvn_4x4_kernelILj128ELj8E21rocsparse_complex_numIfEliS2_S2_S2_EEvT3_20rocsparse_direction_NS_24const_host_device_scalarIT1_EES3_PKS3_PKT2_SC_S9_PKT4_PKT5_S7_PT6_21rocsparse_index_base_b,comdat
.Lfunc_end31:
	.size	_ZN9rocsparseL18bsrxmvn_4x4_kernelILj128ELj8E21rocsparse_complex_numIfEliS2_S2_S2_EEvT3_20rocsparse_direction_NS_24const_host_device_scalarIT1_EES3_PKS3_PKT2_SC_S9_PKT4_PKT5_S7_PT6_21rocsparse_index_base_b, .Lfunc_end31-_ZN9rocsparseL18bsrxmvn_4x4_kernelILj128ELj8E21rocsparse_complex_numIfEliS2_S2_S2_EEvT3_20rocsparse_direction_NS_24const_host_device_scalarIT1_EES3_PKS3_PKT2_SC_S9_PKT4_PKT5_S7_PT6_21rocsparse_index_base_b
                                        ; -- End function
	.set _ZN9rocsparseL18bsrxmvn_4x4_kernelILj128ELj8E21rocsparse_complex_numIfEliS2_S2_S2_EEvT3_20rocsparse_direction_NS_24const_host_device_scalarIT1_EES3_PKS3_PKT2_SC_S9_PKT4_PKT5_S7_PT6_21rocsparse_index_base_b.num_vgpr, 143
	.set _ZN9rocsparseL18bsrxmvn_4x4_kernelILj128ELj8E21rocsparse_complex_numIfEliS2_S2_S2_EEvT3_20rocsparse_direction_NS_24const_host_device_scalarIT1_EES3_PKS3_PKT2_SC_S9_PKT4_PKT5_S7_PT6_21rocsparse_index_base_b.num_agpr, 0
	.set _ZN9rocsparseL18bsrxmvn_4x4_kernelILj128ELj8E21rocsparse_complex_numIfEliS2_S2_S2_EEvT3_20rocsparse_direction_NS_24const_host_device_scalarIT1_EES3_PKS3_PKT2_SC_S9_PKT4_PKT5_S7_PT6_21rocsparse_index_base_b.numbered_sgpr, 16
	.set _ZN9rocsparseL18bsrxmvn_4x4_kernelILj128ELj8E21rocsparse_complex_numIfEliS2_S2_S2_EEvT3_20rocsparse_direction_NS_24const_host_device_scalarIT1_EES3_PKS3_PKT2_SC_S9_PKT4_PKT5_S7_PT6_21rocsparse_index_base_b.num_named_barrier, 0
	.set _ZN9rocsparseL18bsrxmvn_4x4_kernelILj128ELj8E21rocsparse_complex_numIfEliS2_S2_S2_EEvT3_20rocsparse_direction_NS_24const_host_device_scalarIT1_EES3_PKS3_PKT2_SC_S9_PKT4_PKT5_S7_PT6_21rocsparse_index_base_b.private_seg_size, 0
	.set _ZN9rocsparseL18bsrxmvn_4x4_kernelILj128ELj8E21rocsparse_complex_numIfEliS2_S2_S2_EEvT3_20rocsparse_direction_NS_24const_host_device_scalarIT1_EES3_PKS3_PKT2_SC_S9_PKT4_PKT5_S7_PT6_21rocsparse_index_base_b.uses_vcc, 1
	.set _ZN9rocsparseL18bsrxmvn_4x4_kernelILj128ELj8E21rocsparse_complex_numIfEliS2_S2_S2_EEvT3_20rocsparse_direction_NS_24const_host_device_scalarIT1_EES3_PKS3_PKT2_SC_S9_PKT4_PKT5_S7_PT6_21rocsparse_index_base_b.uses_flat_scratch, 1
	.set _ZN9rocsparseL18bsrxmvn_4x4_kernelILj128ELj8E21rocsparse_complex_numIfEliS2_S2_S2_EEvT3_20rocsparse_direction_NS_24const_host_device_scalarIT1_EES3_PKS3_PKT2_SC_S9_PKT4_PKT5_S7_PT6_21rocsparse_index_base_b.has_dyn_sized_stack, 0
	.set _ZN9rocsparseL18bsrxmvn_4x4_kernelILj128ELj8E21rocsparse_complex_numIfEliS2_S2_S2_EEvT3_20rocsparse_direction_NS_24const_host_device_scalarIT1_EES3_PKS3_PKT2_SC_S9_PKT4_PKT5_S7_PT6_21rocsparse_index_base_b.has_recursion, 0
	.set _ZN9rocsparseL18bsrxmvn_4x4_kernelILj128ELj8E21rocsparse_complex_numIfEliS2_S2_S2_EEvT3_20rocsparse_direction_NS_24const_host_device_scalarIT1_EES3_PKS3_PKT2_SC_S9_PKT4_PKT5_S7_PT6_21rocsparse_index_base_b.has_indirect_call, 0
	.section	.AMDGPU.csdata,"",@progbits
; Kernel info:
; codeLenInByte = 7904
; TotalNumSgprs: 18
; NumVgprs: 143
; ScratchSize: 0
; MemoryBound: 0
; FloatMode: 240
; IeeeMode: 1
; LDSByteSize: 0 bytes/workgroup (compile time only)
; SGPRBlocks: 0
; VGPRBlocks: 8
; NumSGPRsForWavesPerEU: 18
; NumVGPRsForWavesPerEU: 143
; NamedBarCnt: 0
; Occupancy: 7
; WaveLimiterHint : 1
; COMPUTE_PGM_RSRC2:SCRATCH_EN: 0
; COMPUTE_PGM_RSRC2:USER_SGPR: 2
; COMPUTE_PGM_RSRC2:TRAP_HANDLER: 0
; COMPUTE_PGM_RSRC2:TGID_X_EN: 1
; COMPUTE_PGM_RSRC2:TGID_Y_EN: 0
; COMPUTE_PGM_RSRC2:TGID_Z_EN: 0
; COMPUTE_PGM_RSRC2:TIDIG_COMP_CNT: 0
	.section	.text._ZN9rocsparseL18bsrxmvn_4x4_kernelILj128ELj16E21rocsparse_complex_numIfEliS2_S2_S2_EEvT3_20rocsparse_direction_NS_24const_host_device_scalarIT1_EES3_PKS3_PKT2_SC_S9_PKT4_PKT5_S7_PT6_21rocsparse_index_base_b,"axG",@progbits,_ZN9rocsparseL18bsrxmvn_4x4_kernelILj128ELj16E21rocsparse_complex_numIfEliS2_S2_S2_EEvT3_20rocsparse_direction_NS_24const_host_device_scalarIT1_EES3_PKS3_PKT2_SC_S9_PKT4_PKT5_S7_PT6_21rocsparse_index_base_b,comdat
	.globl	_ZN9rocsparseL18bsrxmvn_4x4_kernelILj128ELj16E21rocsparse_complex_numIfEliS2_S2_S2_EEvT3_20rocsparse_direction_NS_24const_host_device_scalarIT1_EES3_PKS3_PKT2_SC_S9_PKT4_PKT5_S7_PT6_21rocsparse_index_base_b ; -- Begin function _ZN9rocsparseL18bsrxmvn_4x4_kernelILj128ELj16E21rocsparse_complex_numIfEliS2_S2_S2_EEvT3_20rocsparse_direction_NS_24const_host_device_scalarIT1_EES3_PKS3_PKT2_SC_S9_PKT4_PKT5_S7_PT6_21rocsparse_index_base_b
	.p2align	8
	.type	_ZN9rocsparseL18bsrxmvn_4x4_kernelILj128ELj16E21rocsparse_complex_numIfEliS2_S2_S2_EEvT3_20rocsparse_direction_NS_24const_host_device_scalarIT1_EES3_PKS3_PKT2_SC_S9_PKT4_PKT5_S7_PT6_21rocsparse_index_base_b,@function
_ZN9rocsparseL18bsrxmvn_4x4_kernelILj128ELj16E21rocsparse_complex_numIfEliS2_S2_S2_EEvT3_20rocsparse_direction_NS_24const_host_device_scalarIT1_EES3_PKS3_PKT2_SC_S9_PKT4_PKT5_S7_PT6_21rocsparse_index_base_b: ; @_ZN9rocsparseL18bsrxmvn_4x4_kernelILj128ELj16E21rocsparse_complex_numIfEliS2_S2_S2_EEvT3_20rocsparse_direction_NS_24const_host_device_scalarIT1_EES3_PKS3_PKT2_SC_S9_PKT4_PKT5_S7_PT6_21rocsparse_index_base_b
; %bb.0:
	s_clause 0x2
	s_load_b64 s[12:13], s[0:1], 0x58
	s_load_b64 s[2:3], s[0:1], 0x8
	s_load_b64 s[4:5], s[0:1], 0x48
	v_mov_b32_e32 v1, 0
	s_add_nc_u64 s[6:7], s[0:1], 8
	s_add_nc_u64 s[8:9], s[0:1], 0x48
	s_wait_kmcnt 0x0
	s_bitcmp1_b32 s13, 0
	s_cselect_b32 s3, s7, s3
	s_cselect_b32 s2, s6, s2
	;; [unrolled: 1-line block ×4, first 2 shown]
	s_clause 0x1
	flat_load_b64 v[2:3], v1, s[2:3]
	flat_load_b64 v[4:5], v1, s[4:5]
	s_wait_loadcnt_dscnt 0x101
	v_cmp_neq_f32_e32 vcc_lo, 0, v2
	v_cmp_neq_f32_e64 s3, 0, v3
	s_wait_loadcnt_dscnt 0x0
	v_cmp_neq_f32_e64 s4, 1.0, v4
	v_cmp_neq_f32_e64 s2, 0, v5
	s_or_b32 s5, vcc_lo, s3
	s_mov_b32 s3, 0
	s_or_b32 s4, s4, s2
	s_delay_alu instid0(SALU_CYCLE_1) | instskip(NEXT) | instid1(SALU_CYCLE_1)
	s_or_b32 s4, s5, s4
	s_and_saveexec_b32 s5, s4
	s_cbranch_execz .LBB32_6
; %bb.1:
	s_clause 0x1
	s_load_b64 s[4:5], s[0:1], 0x18
	s_load_b64 s[14:15], s[0:1], 0x0
	s_bfe_u32 s6, ttmp6, 0x4000c
	s_and_b32 s7, ttmp6, 15
	s_add_co_i32 s6, s6, 1
	s_getreg_b32 s8, hwreg(HW_REG_IB_STS2, 6, 4)
	s_mul_i32 s6, ttmp9, s6
	v_lshrrev_b32_e32 v1, 4, v0
	s_add_co_i32 s7, s7, s6
	s_cmp_eq_u32 s8, 0
	s_cselect_b32 s6, ttmp9, s7
	s_delay_alu instid0(VALU_DEP_1) | instid1(SALU_CYCLE_1)
	v_lshl_or_b32 v6, s6, 3, v1
	s_wait_kmcnt 0x0
	s_cmp_lg_u64 s[4:5], 0
	s_cbranch_scc0 .LBB32_7
; %bb.2:
	s_load_b32 s3, s[0:1], 0x10
	s_mov_b32 s6, 0
                                        ; implicit-def: $vgpr1
	s_wait_kmcnt 0x0
	v_cmp_gt_i32_e32 vcc_lo, s3, v6
	s_mov_b32 s3, 0
	s_and_saveexec_b32 s7, vcc_lo
	s_delay_alu instid0(SALU_CYCLE_1)
	s_xor_b32 s7, exec_lo, s7
	s_cbranch_execz .LBB32_4
; %bb.3:
	global_load_b32 v1, v6, s[4:5] scale_offset
	s_mov_b32 s3, exec_lo
	s_wait_loadcnt 0x0
	v_subrev_nc_u32_e32 v1, s12, v1
.LBB32_4:
	s_or_b32 exec_lo, exec_lo, s7
	s_delay_alu instid0(SALU_CYCLE_1)
	s_and_b32 vcc_lo, exec_lo, s6
	s_cbranch_vccz .LBB32_8
.LBB32_5:
	v_cmp_gt_i32_e32 vcc_lo, s14, v6
	s_and_not1_b32 s3, s3, exec_lo
	s_and_b32 s4, vcc_lo, exec_lo
	s_delay_alu instid0(SALU_CYCLE_1) | instskip(NEXT) | instid1(SALU_CYCLE_1)
	s_or_b32 s3, s3, s4
	s_and_b32 exec_lo, exec_lo, s3
	s_cbranch_execnz .LBB32_9
.LBB32_6:
	s_sendmsg sendmsg(MSG_DEALLOC_VGPRS)
	s_endpgm
.LBB32_7:
                                        ; implicit-def: $vgpr1
	s_cbranch_execnz .LBB32_5
.LBB32_8:
	s_delay_alu instid0(VALU_DEP_1)
	v_mov_b32_e32 v6, v1
	s_and_b32 exec_lo, exec_lo, s3
	s_cbranch_execz .LBB32_6
.LBB32_9:
	s_load_b256 s[4:11], s[0:1], 0x20
	s_mov_b32 s13, 0
	v_dual_mov_b32 v1, 0 :: v_dual_bitop2_b32 v0, 15, v0 bitop3:0x40
	s_wait_kmcnt 0x0
	s_cmp_eq_u64 s[6:7], 0
	global_load_b64 v[22:23], v6, s[4:5] scale_offset
	s_cselect_b32 vcc_lo, -1, 0
	v_ashrrev_i32_e32 v7, 31, v6
	s_cmp_eq_u32 s15, 1
	s_delay_alu instid0(VALU_DEP_1) | instskip(NEXT) | instid1(VALU_DEP_1)
	v_lshlrev_b64_e32 v[8:9], 3, v[6:7]
	v_add_nc_u64_e32 v[10:11], s[4:5], v[8:9]
	v_add_nc_u64_e32 v[8:9], s[6:7], v[8:9]
	s_wait_xcnt 0x0
	s_load_b64 s[4:5], s[0:1], 0x40
	s_delay_alu instid0(VALU_DEP_2) | instskip(NEXT) | instid1(VALU_DEP_1)
	v_add_nc_u64_e32 v[10:11], 8, v[10:11]
	v_dual_cndmask_b32 v9, v9, v11 :: v_dual_cndmask_b32 v8, v8, v10
	global_load_b64 v[10:11], v[8:9], off
	s_wait_loadcnt 0x1
	s_wait_xcnt 0x0
	v_sub_nc_u64_e64 v[8:9], v[22:23], s[12:13]
	s_delay_alu instid0(VALU_DEP_1) | instskip(NEXT) | instid1(VALU_DEP_1)
	v_add_nc_u64_e32 v[8:9], v[8:9], v[0:1]
	v_lshlrev_b64_e32 v[12:13], 7, v[8:9]
	s_delay_alu instid0(VALU_DEP_1) | instskip(SKIP_2) | instid1(VALU_DEP_1)
	v_add_nc_u64_e32 v[12:13], s[10:11], v[12:13]
	s_wait_loadcnt 0x0
	v_sub_nc_u64_e64 v[10:11], v[10:11], s[12:13]
	v_cmp_lt_i64_e64 s3, v[8:9], v[10:11]
	s_cbranch_scc1 .LBB32_21
; %bb.10:
	v_dual_mov_b32 v21, v1 :: v_dual_mov_b32 v20, v1
	v_dual_mov_b32 v17, v1 :: v_dual_mov_b32 v16, v1
	;; [unrolled: 1-line block ×4, first 2 shown]
	s_and_saveexec_b32 s6, s3
	s_cbranch_execz .LBB32_20
; %bb.11:
	v_dual_mov_b32 v15, v1 :: v_dual_bitop2_b32 v14, 16, v0 bitop3:0x54
	v_sub_nc_u64_e32 v[16:17], s[12:13], v[0:1]
	v_not_b32_e32 v19, v23
	v_not_b32_e32 v18, v22
	v_mov_b64_e32 v[26:27], v[12:13]
	v_sub_nc_u64_e64 v[14:15], v[14:15], s[12:13]
	v_mov_b64_e32 v[24:25], v[8:9]
	s_delay_alu instid0(VALU_DEP_4) | instskip(NEXT) | instid1(VALU_DEP_3)
	v_add_nc_u64_e32 v[16:17], v[16:17], v[18:19]
	v_add_nc_u64_e32 v[14:15], v[14:15], v[22:23]
	s_delay_alu instid0(VALU_DEP_1) | instskip(NEXT) | instid1(VALU_DEP_1)
	v_max_i64 v[14:15], v[14:15], v[10:11]
	v_add_nc_u64_e32 v[28:29], v[16:17], v[14:15]
	s_delay_alu instid0(VALU_DEP_1) | instskip(NEXT) | instid1(VALU_DEP_1)
	v_dual_mov_b32 v15, 0 :: v_dual_bitop2_b32 v14, 48, v28 bitop3:0x40
	v_dual_mov_b32 v19, v15 :: v_dual_mov_b32 v18, v15
	v_dual_mov_b32 v17, v15 :: v_dual_mov_b32 v16, v15
	s_delay_alu instid0(VALU_DEP_3)
	v_cmp_ne_u64_e32 vcc_lo, 48, v[14:15]
	v_dual_mov_b32 v20, v15 :: v_dual_mov_b32 v14, v15
	v_mov_b32_e32 v21, v15
	s_and_saveexec_b32 s7, vcc_lo
	s_cbranch_execz .LBB32_15
; %bb.12:
	v_dual_lshrrev_b32 v7, 4, v28 :: v_dual_mov_b32 v15, 0
	v_mov_b64_e32 v[24:25], v[8:9]
	v_mov_b64_e32 v[26:27], v[12:13]
	v_lshl_add_u64 v[30:31], v[8:9], 2, s[8:9]
	s_delay_alu instid0(VALU_DEP_4) | instskip(SKIP_1) | instid1(VALU_DEP_2)
	v_dual_mov_b32 v18, v15 :: v_dual_add_nc_u32 v7, 1, v7
	v_dual_mov_b32 v16, v15 :: v_dual_mov_b32 v17, v15
	v_dual_mov_b32 v20, v15 :: v_dual_bitop2_b32 v14, 3, v7 bitop3:0x40
	v_dual_mov_b32 v19, v15 :: v_dual_mov_b32 v21, v15
	s_mov_b32 s10, 0
	s_delay_alu instid0(VALU_DEP_2)
	v_sub_nc_u64_e32 v[32:33], 0, v[14:15]
	v_mov_b32_e32 v14, v15
.LBB32_13:                              ; =>This Inner Loop Header: Depth=1
	global_load_b32 v7, v[30:31], off
	s_clause 0x6
	global_load_b128 v[34:37], v[26:27], off offset:48
	global_load_b128 v[38:41], v[26:27], off offset:32
	;; [unrolled: 1-line block ×3, first 2 shown]
	global_load_b128 v[46:49], v[26:27], off
	global_load_b128 v[54:57], v[26:27], off offset:80
	global_load_b128 v[58:61], v[26:27], off offset:64
	;; [unrolled: 1-line block ×3, first 2 shown]
	v_add_nc_u64_e32 v[32:33], 1, v[32:33]
	v_add_nc_u64_e32 v[24:25], 16, v[24:25]
	s_wait_xcnt 0x7
	v_add_nc_u64_e32 v[30:31], 64, v[30:31]
	s_delay_alu instid0(VALU_DEP_3)
	v_cmp_eq_u64_e32 vcc_lo, 0, v[32:33]
	s_or_b32 s10, vcc_lo, s10
	s_wait_loadcnt 0x7
	v_subrev_nc_u32_e32 v7, s12, v7
	s_wait_loadcnt 0x6
	v_xor_b32_e32 v80, 0x80000000, v37
	s_wait_loadcnt 0x5
	v_xor_b32_e32 v78, 0x80000000, v41
	v_dual_mov_b32 v79, v40 :: v_dual_mov_b32 v81, v36
	v_lshlrev_b32_e32 v62, 2, v7
	s_wait_loadcnt 0x1
	v_xor_b32_e32 v82, 0x80000000, v61
	v_xor_b32_e32 v76, 0x80000000, v45
	;; [unrolled: 1-line block ×3, first 2 shown]
	v_dual_mov_b32 v77, v44 :: v_dual_ashrrev_i32 v63, 31, v62
	v_mov_b32_e32 v85, v56
	s_wait_kmcnt 0x0
	s_delay_alu instid0(VALU_DEP_2)
	v_lshl_add_u64 v[74:75], v[62:63], 3, s[4:5]
	global_load_b128 v[62:65], v[26:27], off offset:96
	s_clause 0x1
	global_load_b128 v[66:69], v[74:75], off
	global_load_b128 v[70:73], v[74:75], off offset:16
	s_wait_xcnt 0x0
	v_xor_b32_e32 v74, 0x80000000, v49
	v_dual_mov_b32 v75, v48 :: v_dual_mov_b32 v83, v60
	v_add_nc_u64_e32 v[26:27], 0x800, v[26:27]
	s_wait_loadcnt 0x2
	v_xor_b32_e32 v86, 0x80000000, v65
	s_wait_loadcnt 0x1
	v_pk_fma_f32 v[20:21], v[46:47], v[66:67], v[20:21] op_sel_hi:[1,0,1]
	v_pk_fma_f32 v[14:15], v[38:39], v[66:67], v[14:15] op_sel_hi:[1,0,1]
	;; [unrolled: 1-line block ×4, first 2 shown]
	v_mov_b32_e32 v87, v64
	v_pk_fma_f32 v[20:21], v[46:47], v[66:67], v[20:21] op_sel:[1,1,0] op_sel_hi:[0,1,1] neg_lo:[1,0,0]
	v_pk_fma_f32 v[14:15], v[38:39], v[66:67], v[14:15] op_sel:[1,1,0] op_sel_hi:[0,1,1] neg_lo:[1,0,0]
	;; [unrolled: 1-line block ×4, first 2 shown]
	v_mov_b32_e32 v38, v69
	v_pk_fma_f32 v[20:21], v[48:49], v[68:69], v[20:21] op_sel_hi:[1,0,1]
	v_pk_fma_f32 v[14:15], v[40:41], v[68:69], v[14:15] op_sel_hi:[1,0,1]
	;; [unrolled: 1-line block ×4, first 2 shown]
	s_delay_alu instid0(VALU_DEP_4) | instskip(NEXT) | instid1(VALU_DEP_4)
	v_pk_fma_f32 v[20:21], v[74:75], v[38:39], v[20:21] op_sel_hi:[1,0,1]
	v_pk_fma_f32 v[14:15], v[78:79], v[38:39], v[14:15] op_sel_hi:[1,0,1]
	s_delay_alu instid0(VALU_DEP_4) | instskip(NEXT) | instid1(VALU_DEP_4)
	v_pk_fma_f32 v[18:19], v[82:83], v[38:39], v[18:19] op_sel_hi:[1,0,1]
	v_pk_fma_f32 v[16:17], v[86:87], v[38:39], v[16:17] op_sel_hi:[1,0,1]
	v_xor_b32_e32 v38, 0x80000000, v53
	s_wait_loadcnt 0x0
	v_pk_fma_f32 v[20:21], v[42:43], v[70:71], v[20:21] op_sel_hi:[1,0,1]
	v_pk_fma_f32 v[14:15], v[34:35], v[70:71], v[14:15] op_sel_hi:[1,0,1]
	;; [unrolled: 1-line block ×4, first 2 shown]
	v_mov_b32_e32 v39, v52
	v_pk_fma_f32 v[20:21], v[42:43], v[70:71], v[20:21] op_sel:[1,1,0] op_sel_hi:[0,1,1] neg_lo:[1,0,0]
	v_pk_fma_f32 v[14:15], v[34:35], v[70:71], v[14:15] op_sel:[1,1,0] op_sel_hi:[0,1,1] neg_lo:[1,0,0]
	;; [unrolled: 1-line block ×4, first 2 shown]
	v_mov_b32_e32 v34, v73
	v_pk_fma_f32 v[20:21], v[44:45], v[72:73], v[20:21] op_sel_hi:[1,0,1]
	v_pk_fma_f32 v[14:15], v[36:37], v[72:73], v[14:15] op_sel_hi:[1,0,1]
	;; [unrolled: 1-line block ×4, first 2 shown]
	s_delay_alu instid0(VALU_DEP_4) | instskip(NEXT) | instid1(VALU_DEP_4)
	v_pk_fma_f32 v[20:21], v[76:77], v[34:35], v[20:21] op_sel_hi:[1,0,1]
	v_pk_fma_f32 v[14:15], v[80:81], v[34:35], v[14:15] op_sel_hi:[1,0,1]
	s_delay_alu instid0(VALU_DEP_4) | instskip(NEXT) | instid1(VALU_DEP_4)
	v_pk_fma_f32 v[18:19], v[84:85], v[34:35], v[18:19] op_sel_hi:[1,0,1]
	v_pk_fma_f32 v[16:17], v[38:39], v[34:35], v[16:17] op_sel_hi:[1,0,1]
	s_and_not1_b32 exec_lo, exec_lo, s10
	s_cbranch_execnz .LBB32_13
; %bb.14:
	s_or_b32 exec_lo, exec_lo, s10
.LBB32_15:
	s_delay_alu instid0(SALU_CYCLE_1) | instskip(NEXT) | instid1(SALU_CYCLE_1)
	s_or_b32 exec_lo, exec_lo, s7
	s_mov_b32 s7, exec_lo
	v_cmpx_lt_u64_e32 47, v[28:29]
	s_cbranch_execz .LBB32_19
; %bb.16:
	v_lshl_add_u64 v[28:29], v[24:25], 2, s[8:9]
	s_mov_b32 s10, 0
	s_delay_alu instid0(VALU_DEP_1)
	v_add_nc_u64_e32 v[28:29], 0x80, v[28:29]
.LBB32_17:                              ; =>This Inner Loop Header: Depth=1
	global_load_b32 v7, v[28:29], off offset:-128
	s_clause 0xf
	global_load_b128 v[30:33], v[26:27], off
	global_load_b128 v[34:37], v[26:27], off offset:16
	global_load_b128 v[38:41], v[26:27], off offset:48
	global_load_b128 v[42:45], v[26:27], off offset:32
	global_load_b128 v[46:49], v[26:27], off offset:2096
	global_load_b128 v[50:53], v[26:27], off offset:2080
	global_load_b128 v[54:57], v[26:27], off offset:2064
	global_load_b128 v[58:61], v[26:27], off offset:2048
	global_load_b128 v[62:65], v[26:27], off offset:112
	global_load_b128 v[66:69], v[26:27], off offset:96
	global_load_b128 v[70:73], v[26:27], off offset:80
	global_load_b128 v[74:77], v[26:27], off offset:64
	global_load_b128 v[78:81], v[26:27], off offset:2160
	global_load_b128 v[82:85], v[26:27], off offset:2144
	global_load_b128 v[86:89], v[26:27], off offset:2128
	global_load_b128 v[90:93], v[26:27], off offset:2112
	s_clause 0x2
	global_load_b32 v140, v[28:29], off offset:-64
	global_load_b32 v141, v[28:29], off
	global_load_b32 v142, v[28:29], off offset:64
	s_clause 0x6
	global_load_b128 v[94:97], v[26:27], off offset:4144
	global_load_b128 v[98:101], v[26:27], off offset:4128
	;; [unrolled: 1-line block ×7, first 2 shown]
	v_add_nc_u64_e32 v[24:25], 64, v[24:25]
	s_wait_xcnt 0x7
	v_add_nc_u64_e32 v[28:29], 0x100, v[28:29]
	s_delay_alu instid0(VALU_DEP_2)
	v_cmp_ge_i64_e32 vcc_lo, v[24:25], v[10:11]
	s_or_b32 s10, vcc_lo, s10
	s_wait_loadcnt 0x1a
	v_subrev_nc_u32_e32 v7, s12, v7
	s_wait_loadcnt 0x19
	v_mov_b32_e32 v131, v32
	v_xor_b32_e32 v130, 0x80000000, v33
	s_wait_loadcnt 0x16
	v_xor_b32_e32 v134, 0x80000000, v45
	v_dual_mov_b32 v135, v44 :: v_dual_lshlrev_b32 v122, 2, v7
	s_delay_alu instid0(VALU_DEP_1)
	v_ashrrev_i32_e32 v123, 31, v122
	s_wait_loadcnt 0xe
	v_xor_b32_e32 v138, 0x80000000, v77
	v_mov_b32_e32 v139, v76
	s_wait_kmcnt 0x0
	v_lshl_add_u64 v[132:133], v[122:123], 3, s[4:5]
	s_clause 0x1
	global_load_b128 v[122:125], v[132:133], off
	global_load_b128 v[126:129], v[132:133], off offset:16
	s_wait_loadcnt 0xb
	v_subrev_nc_u32_e32 v7, s12, v140
	s_wait_loadcnt 0x1
	v_pk_fma_f32 v[14:15], v[42:43], v[122:123], v[14:15] op_sel_hi:[1,0,1]
	v_pk_fma_f32 v[20:21], v[30:31], v[122:123], v[20:21] op_sel_hi:[1,0,1]
	s_delay_alu instid0(VALU_DEP_2) | instskip(NEXT) | instid1(VALU_DEP_2)
	v_pk_fma_f32 v[14:15], v[42:43], v[122:123], v[14:15] op_sel:[1,1,0] op_sel_hi:[0,1,1] neg_lo:[1,0,0]
	v_pk_fma_f32 v[20:21], v[30:31], v[122:123], v[20:21] op_sel:[1,1,0] op_sel_hi:[0,1,1] neg_lo:[1,0,0]
	s_delay_alu instid0(VALU_DEP_2) | instskip(SKIP_2) | instid1(VALU_DEP_3)
	v_pk_fma_f32 v[136:137], v[44:45], v[124:125], v[14:15] op_sel_hi:[1,0,1]
	v_pk_fma_f32 v[14:15], v[74:75], v[122:123], v[18:19] op_sel_hi:[1,0,1]
	s_wait_xcnt 0x0
	v_pk_fma_f32 v[132:133], v[32:33], v[124:125], v[20:21] op_sel_hi:[1,0,1]
	s_clause 0x2
	global_load_b128 v[30:33], v[26:27], off offset:4160
	global_load_b128 v[18:21], v[26:27], off offset:6192
	;; [unrolled: 1-line block ×3, first 2 shown]
	v_pk_fma_f32 v[14:15], v[74:75], v[122:123], v[14:15] op_sel:[1,1,0] op_sel_hi:[0,1,1] neg_lo:[1,0,0]
	s_delay_alu instid0(VALU_DEP_1) | instskip(SKIP_3) | instid1(VALU_DEP_3)
	v_pk_fma_f32 v[74:75], v[76:77], v[124:125], v[14:15] op_sel_hi:[1,0,1]
	v_pk_fma_f32 v[14:15], v[66:67], v[122:123], v[16:17] op_sel_hi:[1,0,1]
	v_xor_b32_e32 v76, 0x80000000, v69
	v_mov_b32_e32 v77, v68
	v_pk_fma_f32 v[14:15], v[66:67], v[122:123], v[14:15] op_sel:[1,1,0] op_sel_hi:[0,1,1] neg_lo:[1,0,0]
	s_delay_alu instid0(VALU_DEP_1)
	v_pk_fma_f32 v[122:123], v[68:69], v[124:125], v[14:15] op_sel_hi:[1,0,1]
	v_mov_b32_e32 v124, v125
	s_clause 0x1
	global_load_b128 v[14:17], v[26:27], off offset:6176
	global_load_b128 v[66:69], v[26:27], off offset:6144
	v_pk_fma_f32 v[76:77], v[76:77], v[124:125], v[122:123] op_sel_hi:[1,0,1]
	v_mov_b32_e32 v123, v36
	v_pk_fma_f32 v[130:131], v[130:131], v[124:125], v[132:133] op_sel_hi:[1,0,1]
	v_pk_fma_f32 v[132:133], v[134:135], v[124:125], v[136:137] op_sel_hi:[1,0,1]
	;; [unrolled: 1-line block ×3, first 2 shown]
	v_xor_b32_e32 v122, 0x80000000, v37
	v_xor_b32_e32 v134, 0x80000000, v73
	s_wait_loadcnt 0x5
	v_pk_fma_f32 v[124:125], v[34:35], v[126:127], v[130:131] op_sel_hi:[1,0,1]
	v_pk_fma_f32 v[132:133], v[38:39], v[126:127], v[132:133] op_sel_hi:[1,0,1]
	v_mov_b32_e32 v137, v52
	v_xor_b32_e32 v130, 0x80000000, v41
	v_dual_mov_b32 v131, v40 :: v_dual_mov_b32 v135, v72
	s_delay_alu instid0(VALU_DEP_4) | instskip(SKIP_2) | instid1(VALU_DEP_3)
	v_pk_fma_f32 v[38:39], v[38:39], v[126:127], v[132:133] op_sel:[1,1,0] op_sel_hi:[0,1,1] neg_lo:[1,0,0]
	v_pk_fma_f32 v[34:35], v[34:35], v[126:127], v[124:125] op_sel:[1,1,0] op_sel_hi:[0,1,1] neg_lo:[1,0,0]
	v_xor_b32_e32 v136, 0x80000000, v53
	v_pk_fma_f32 v[132:133], v[40:41], v[128:129], v[38:39] op_sel_hi:[1,0,1]
	v_pk_fma_f32 v[38:39], v[70:71], v[126:127], v[74:75] op_sel_hi:[1,0,1]
	;; [unrolled: 1-line block ×4, first 2 shown]
	v_subrev_nc_u32_e32 v77, s12, v142
	global_load_b128 v[34:37], v[26:27], off offset:6240
	v_pk_fma_f32 v[38:39], v[70:71], v[126:127], v[38:39] op_sel:[1,1,0] op_sel_hi:[0,1,1] neg_lo:[1,0,0]
	v_pk_fma_f32 v[62:63], v[62:63], v[126:127], v[74:75] op_sel:[1,1,0] op_sel_hi:[0,1,1] neg_lo:[1,0,0]
	v_mov_b32_e32 v127, v60
	v_xor_b32_e32 v126, 0x80000000, v61
	s_delay_alu instid0(VALU_DEP_4)
	v_pk_fma_f32 v[70:71], v[72:73], v[128:129], v[38:39] op_sel_hi:[1,0,1]
	v_mov_b32_e32 v73, v64
	v_pk_fma_f32 v[62:63], v[64:65], v[128:129], v[62:63] op_sel_hi:[1,0,1]
	v_mov_b32_e32 v64, v129
	v_xor_b32_e32 v72, 0x80000000, v65
	global_load_b128 v[38:41], v[26:27], off offset:6208
	v_mov_b32_e32 v129, v92
	v_xor_b32_e32 v128, 0x80000000, v93
	v_pk_fma_f32 v[74:75], v[122:123], v[64:65], v[124:125] op_sel_hi:[1,0,1]
	v_subrev_nc_u32_e32 v65, s12, v141
	v_lshlrev_b32_e32 v76, 2, v7
	v_xor_b32_e32 v122, 0x80000000, v85
	v_mov_b32_e32 v123, v84
	s_delay_alu instid0(VALU_DEP_4) | instskip(SKIP_4) | instid1(VALU_DEP_3)
	v_pk_fma_f32 v[124:125], v[130:131], v[64:65], v[132:133] op_sel_hi:[1,0,1]
	v_lshlrev_b32_e32 v130, 2, v65
	v_dual_lshlrev_b32 v132, 2, v77 :: v_dual_ashrrev_i32 v77, 31, v76
	v_pk_fma_f32 v[134:135], v[134:135], v[64:65], v[70:71] op_sel_hi:[1,0,1]
	v_pk_fma_f32 v[138:139], v[72:73], v[64:65], v[62:63] op_sel_hi:[1,0,1]
	v_dual_ashrrev_i32 v131, 31, v130 :: v_dual_ashrrev_i32 v133, 31, v132
	s_delay_alu instid0(VALU_DEP_4)
	v_lshl_add_u64 v[76:77], v[76:77], 3, s[4:5]
	s_clause 0x1
	global_load_b128 v[62:65], v[76:77], off
	global_load_b128 v[70:73], v[76:77], off offset:16
	s_wait_xcnt 0x0
	v_lshl_add_u64 v[76:77], v[130:131], 3, s[4:5]
	v_lshl_add_u64 v[130:131], v[132:133], 3, s[4:5]
	s_wait_loadcnt 0x1
	v_pk_fma_f32 v[74:75], v[58:59], v[62:63], v[74:75] op_sel_hi:[1,0,1]
	v_mov_b32_e32 v140, v65
	s_delay_alu instid0(VALU_DEP_2) | instskip(SKIP_1) | instid1(VALU_DEP_2)
	v_pk_fma_f32 v[58:59], v[58:59], v[62:63], v[74:75] op_sel:[1,1,0] op_sel_hi:[0,1,1] neg_lo:[1,0,0]
	v_pk_fma_f32 v[74:75], v[50:51], v[62:63], v[124:125] op_sel_hi:[1,0,1]
	v_pk_fma_f32 v[132:133], v[60:61], v[64:65], v[58:59] op_sel_hi:[1,0,1]
	global_load_b128 v[58:61], v[76:77], off
	v_pk_fma_f32 v[50:51], v[50:51], v[62:63], v[74:75] op_sel:[1,1,0] op_sel_hi:[0,1,1] neg_lo:[1,0,0]
	v_pk_fma_f32 v[74:75], v[90:91], v[62:63], v[134:135] op_sel_hi:[1,0,1]
	s_delay_alu instid0(VALU_DEP_2) | instskip(SKIP_3) | instid1(VALU_DEP_2)
	v_pk_fma_f32 v[124:125], v[52:53], v[64:65], v[50:51] op_sel_hi:[1,0,1]
	global_load_b128 v[50:53], v[76:77], off offset:16
	v_pk_fma_f32 v[74:75], v[90:91], v[62:63], v[74:75] op_sel:[1,1,0] op_sel_hi:[0,1,1] neg_lo:[1,0,0]
	v_pk_fma_f32 v[90:91], v[82:83], v[62:63], v[138:139] op_sel_hi:[1,0,1]
	v_pk_fma_f32 v[134:135], v[92:93], v[64:65], v[74:75] op_sel_hi:[1,0,1]
	global_load_b128 v[74:77], v[130:131], off
	v_pk_fma_f32 v[62:63], v[82:83], v[62:63], v[90:91] op_sel:[1,1,0] op_sel_hi:[0,1,1] neg_lo:[1,0,0]
	global_load_b128 v[90:93], v[130:131], off offset:16
	s_wait_xcnt 0x0
	v_mov_b32_e32 v131, v56
	v_pk_fma_f32 v[126:127], v[126:127], v[140:141], v[132:133] op_sel_hi:[1,0,1]
	v_pk_fma_f32 v[124:125], v[136:137], v[140:141], v[124:125] op_sel_hi:[1,0,1]
	;; [unrolled: 1-line block ×3, first 2 shown]
	s_clause 0x1
	global_load_b128 v[82:85], v[26:27], off offset:6224
	global_load_b128 v[62:65], v[26:27], off offset:6256
	v_pk_fma_f32 v[128:129], v[128:129], v[140:141], v[134:135] op_sel_hi:[1,0,1]
	s_wait_loadcnt 0x6
	v_pk_fma_f32 v[126:127], v[54:55], v[70:71], v[126:127] op_sel_hi:[1,0,1]
	v_pk_fma_f32 v[122:123], v[122:123], v[140:141], v[138:139] op_sel_hi:[1,0,1]
	;; [unrolled: 1-line block ×3, first 2 shown]
	v_xor_b32_e32 v130, 0x80000000, v57
	v_pk_fma_f32 v[128:129], v[86:87], v[70:71], v[128:129] op_sel_hi:[1,0,1]
	v_pk_fma_f32 v[54:55], v[54:55], v[70:71], v[126:127] op_sel:[1,1,0] op_sel_hi:[0,1,1] neg_lo:[1,0,0]
	v_pk_fma_f32 v[122:123], v[78:79], v[70:71], v[122:123] op_sel_hi:[1,0,1]
	v_pk_fma_f32 v[46:47], v[46:47], v[70:71], v[124:125] op_sel:[1,1,0] op_sel_hi:[0,1,1] neg_lo:[1,0,0]
	v_xor_b32_e32 v132, 0x80000000, v49
	v_pk_fma_f32 v[86:87], v[86:87], v[70:71], v[128:129] op_sel:[1,1,0] op_sel_hi:[0,1,1] neg_lo:[1,0,0]
	v_dual_mov_b32 v133, v48 :: v_dual_mov_b32 v135, v88
	v_pk_fma_f32 v[70:71], v[78:79], v[70:71], v[122:123] op_sel:[1,1,0] op_sel_hi:[0,1,1] neg_lo:[1,0,0]
	v_xor_b32_e32 v134, 0x80000000, v89
	v_xor_b32_e32 v136, 0x80000000, v81
	v_mov_b32_e32 v137, v80
	v_pk_fma_f32 v[54:55], v[56:57], v[72:73], v[54:55] op_sel_hi:[1,0,1]
	v_pk_fma_f32 v[46:47], v[48:49], v[72:73], v[46:47] op_sel_hi:[1,0,1]
	;; [unrolled: 1-line block ×4, first 2 shown]
	v_dual_mov_b32 v81, v96 :: v_dual_mov_b32 v72, v73
	v_mov_b32_e32 v57, v108
	v_xor_b32_e32 v56, 0x80000000, v109
	v_xor_b32_e32 v126, 0x80000000, v101
	v_dual_mov_b32 v127, v100 :: v_dual_mov_b32 v49, v32
	v_pk_fma_f32 v[54:55], v[130:131], v[72:73], v[54:55] op_sel_hi:[1,0,1]
	v_pk_fma_f32 v[46:47], v[132:133], v[72:73], v[46:47] op_sel_hi:[1,0,1]
	;; [unrolled: 1-line block ×4, first 2 shown]
	v_xor_b32_e32 v48, 0x80000000, v33
	v_xor_b32_e32 v124, 0x80000000, v117
	v_dual_mov_b32 v125, v116 :: v_dual_mov_b32 v89, v104
	v_mov_b32_e32 v133, v120
	v_xor_b32_e32 v88, 0x80000000, v105
	v_xor_b32_e32 v80, 0x80000000, v97
	;; [unrolled: 1-line block ×4, first 2 shown]
	v_dual_mov_b32 v129, v68 :: v_dual_mov_b32 v79, v44
	v_xor_b32_e32 v122, 0x80000000, v17
	v_dual_mov_b32 v123, v16 :: v_dual_mov_b32 v131, v20
	v_xor_b32_e32 v78, 0x80000000, v45
	v_xor_b32_e32 v130, 0x80000000, v21
	s_wait_xcnt 0x0
	v_add_nc_u64_e32 v[26:27], 0x2000, v[26:27]
	s_wait_loadcnt 0x5
	v_pk_fma_f32 v[54:55], v[106:107], v[58:59], v[54:55] op_sel_hi:[1,0,1]
	v_pk_fma_f32 v[46:47], v[98:99], v[58:59], v[46:47] op_sel_hi:[1,0,1]
	;; [unrolled: 1-line block ×4, first 2 shown]
	v_mov_b32_e32 v87, v40
	v_pk_fma_f32 v[54:55], v[106:107], v[58:59], v[54:55] op_sel:[1,1,0] op_sel_hi:[0,1,1] neg_lo:[1,0,0]
	v_pk_fma_f32 v[46:47], v[98:99], v[58:59], v[46:47] op_sel:[1,1,0] op_sel_hi:[0,1,1] neg_lo:[1,0,0]
	;; [unrolled: 1-line block ×4, first 2 shown]
	v_mov_b32_e32 v70, v61
	v_pk_fma_f32 v[54:55], v[108:109], v[60:61], v[54:55] op_sel_hi:[1,0,1]
	v_pk_fma_f32 v[46:47], v[100:101], v[60:61], v[46:47] op_sel_hi:[1,0,1]
	;; [unrolled: 1-line block ×4, first 2 shown]
	v_xor_b32_e32 v86, 0x80000000, v41
	v_pk_fma_f32 v[54:55], v[56:57], v[70:71], v[54:55] op_sel_hi:[1,0,1]
	v_pk_fma_f32 v[46:47], v[126:127], v[70:71], v[46:47] op_sel_hi:[1,0,1]
	;; [unrolled: 1-line block ×4, first 2 shown]
	v_xor_b32_e32 v48, 0x80000000, v113
	s_wait_loadcnt 0x4
	v_pk_fma_f32 v[54:55], v[102:103], v[50:51], v[54:55] op_sel_hi:[1,0,1]
	v_pk_fma_f32 v[46:47], v[94:95], v[50:51], v[46:47] op_sel_hi:[1,0,1]
	;; [unrolled: 1-line block ×4, first 2 shown]
	v_mov_b32_e32 v49, v112
	v_pk_fma_f32 v[54:55], v[102:103], v[50:51], v[54:55] op_sel:[1,1,0] op_sel_hi:[0,1,1] neg_lo:[1,0,0]
	v_pk_fma_f32 v[46:47], v[94:95], v[50:51], v[46:47] op_sel:[1,1,0] op_sel_hi:[0,1,1] neg_lo:[1,0,0]
	;; [unrolled: 1-line block ×4, first 2 shown]
	v_mov_b32_e32 v50, v53
	v_pk_fma_f32 v[54:55], v[104:105], v[52:53], v[54:55] op_sel_hi:[1,0,1]
	v_pk_fma_f32 v[46:47], v[96:97], v[52:53], v[46:47] op_sel_hi:[1,0,1]
	;; [unrolled: 1-line block ×4, first 2 shown]
	s_wait_loadcnt 0x1
	v_mov_b32_e32 v53, v84
	v_xor_b32_e32 v52, 0x80000000, v85
	s_delay_alu instid0(VALU_DEP_3)
	v_pk_fma_f32 v[32:33], v[48:49], v[50:51], v[32:33] op_sel_hi:[1,0,1]
	v_mov_b32_e32 v49, v36
	v_pk_fma_f32 v[54:55], v[88:89], v[50:51], v[54:55] op_sel_hi:[1,0,1]
	v_pk_fma_f32 v[46:47], v[80:81], v[50:51], v[46:47] op_sel_hi:[1,0,1]
	;; [unrolled: 1-line block ×4, first 2 shown]
	v_xor_b32_e32 v48, 0x80000000, v37
	v_pk_fma_f32 v[50:51], v[66:67], v[74:75], v[54:55] op_sel_hi:[1,0,1]
	v_pk_fma_f32 v[46:47], v[14:15], v[74:75], v[46:47] op_sel_hi:[1,0,1]
	;; [unrolled: 1-line block ×3, first 2 shown]
	v_pk_fma_f32 v[32:33], v[34:35], v[74:75], v[32:33] op_sel:[1,1,0] op_sel_hi:[0,1,1] neg_lo:[1,0,0]
	v_mov_b32_e32 v34, v77
	v_pk_fma_f32 v[50:51], v[66:67], v[74:75], v[50:51] op_sel:[1,1,0] op_sel_hi:[0,1,1] neg_lo:[1,0,0]
	v_pk_fma_f32 v[14:15], v[14:15], v[74:75], v[46:47] op_sel:[1,1,0] op_sel_hi:[0,1,1] neg_lo:[1,0,0]
	;; [unrolled: 1-line block ×3, first 2 shown]
	s_delay_alu instid0(VALU_DEP_3) | instskip(NEXT) | instid1(VALU_DEP_3)
	v_pk_fma_f32 v[38:39], v[68:69], v[76:77], v[50:51] op_sel_hi:[1,0,1]
	v_pk_fma_f32 v[14:15], v[16:17], v[76:77], v[14:15] op_sel_hi:[1,0,1]
	s_delay_alu instid0(VALU_DEP_3) | instskip(SKIP_1) | instid1(VALU_DEP_4)
	v_pk_fma_f32 v[16:17], v[40:41], v[76:77], v[30:31] op_sel_hi:[1,0,1]
	v_pk_fma_f32 v[30:31], v[36:37], v[76:77], v[32:33] op_sel_hi:[1,0,1]
	;; [unrolled: 1-line block ×3, first 2 shown]
	s_delay_alu instid0(VALU_DEP_4) | instskip(NEXT) | instid1(VALU_DEP_4)
	v_pk_fma_f32 v[14:15], v[122:123], v[34:35], v[14:15] op_sel_hi:[1,0,1]
	v_pk_fma_f32 v[16:17], v[86:87], v[34:35], v[16:17] op_sel_hi:[1,0,1]
	s_delay_alu instid0(VALU_DEP_4)
	v_pk_fma_f32 v[30:31], v[48:49], v[34:35], v[30:31] op_sel_hi:[1,0,1]
	s_wait_loadcnt 0x0
	v_xor_b32_e32 v34, 0x80000000, v65
	v_pk_fma_f32 v[32:33], v[42:43], v[90:91], v[32:33] op_sel_hi:[1,0,1]
	v_pk_fma_f32 v[14:15], v[18:19], v[90:91], v[14:15] op_sel_hi:[1,0,1]
	;; [unrolled: 1-line block ×4, first 2 shown]
	v_mov_b32_e32 v35, v64
	v_pk_fma_f32 v[32:33], v[42:43], v[90:91], v[32:33] op_sel:[1,1,0] op_sel_hi:[0,1,1] neg_lo:[1,0,0]
	v_pk_fma_f32 v[14:15], v[18:19], v[90:91], v[14:15] op_sel:[1,1,0] op_sel_hi:[0,1,1] neg_lo:[1,0,0]
	v_pk_fma_f32 v[16:17], v[82:83], v[90:91], v[16:17] op_sel:[1,1,0] op_sel_hi:[0,1,1] neg_lo:[1,0,0]
	v_pk_fma_f32 v[18:19], v[62:63], v[90:91], v[30:31] op_sel:[1,1,0] op_sel_hi:[0,1,1] neg_lo:[1,0,0]
	v_mov_b32_e32 v30, v93
	v_pk_fma_f32 v[32:33], v[44:45], v[92:93], v[32:33] op_sel_hi:[1,0,1]
	v_pk_fma_f32 v[14:15], v[20:21], v[92:93], v[14:15] op_sel_hi:[1,0,1]
	;; [unrolled: 1-line block ×4, first 2 shown]
	s_delay_alu instid0(VALU_DEP_4) | instskip(NEXT) | instid1(VALU_DEP_4)
	v_pk_fma_f32 v[20:21], v[78:79], v[30:31], v[32:33] op_sel_hi:[1,0,1]
	v_pk_fma_f32 v[14:15], v[130:131], v[30:31], v[14:15] op_sel_hi:[1,0,1]
	s_delay_alu instid0(VALU_DEP_4) | instskip(NEXT) | instid1(VALU_DEP_4)
	v_pk_fma_f32 v[18:19], v[52:53], v[30:31], v[16:17] op_sel_hi:[1,0,1]
	v_pk_fma_f32 v[16:17], v[34:35], v[30:31], v[36:37] op_sel_hi:[1,0,1]
	s_and_not1_b32 exec_lo, exec_lo, s10
	s_cbranch_execnz .LBB32_17
; %bb.18:
	s_or_b32 exec_lo, exec_lo, s10
.LBB32_19:
	s_delay_alu instid0(SALU_CYCLE_1)
	s_or_b32 exec_lo, exec_lo, s7
.LBB32_20:
	s_delay_alu instid0(SALU_CYCLE_1)
	s_or_b32 exec_lo, exec_lo, s6
	s_cbranch_execz .LBB32_22
	s_branch .LBB32_33
.LBB32_21:
                                        ; implicit-def: $vgpr21
                                        ; implicit-def: $vgpr17
                                        ; implicit-def: $vgpr19
                                        ; implicit-def: $vgpr15
.LBB32_22:
	v_dual_mov_b32 v21, 0 :: v_dual_mov_b32 v20, 0
	v_dual_mov_b32 v17, 0 :: v_dual_mov_b32 v16, 0
	;; [unrolled: 1-line block ×4, first 2 shown]
	s_and_saveexec_b32 s6, s3
	s_cbranch_execz .LBB32_32
; %bb.23:
	v_dual_mov_b32 v15, v1 :: v_dual_bitop2_b32 v14, 16, v0 bitop3:0x54
	v_sub_nc_u64_e32 v[16:17], s[12:13], v[0:1]
	v_not_b32_e32 v19, v23
	v_not_b32_e32 v18, v22
	s_delay_alu instid0(VALU_DEP_4) | instskip(NEXT) | instid1(VALU_DEP_2)
	v_sub_nc_u64_e64 v[14:15], v[14:15], s[12:13]
	v_add_nc_u64_e32 v[16:17], v[16:17], v[18:19]
	s_delay_alu instid0(VALU_DEP_2) | instskip(NEXT) | instid1(VALU_DEP_1)
	v_add_nc_u64_e32 v[14:15], v[14:15], v[22:23]
	v_max_i64 v[14:15], v[14:15], v[10:11]
	s_delay_alu instid0(VALU_DEP_1) | instskip(NEXT) | instid1(VALU_DEP_1)
	v_add_nc_u64_e32 v[22:23], v[16:17], v[14:15]
	v_dual_mov_b32 v15, 0 :: v_dual_bitop2_b32 v14, 48, v22 bitop3:0x40
	s_delay_alu instid0(VALU_DEP_1) | instskip(SKIP_2) | instid1(VALU_DEP_4)
	v_dual_mov_b32 v19, v15 :: v_dual_mov_b32 v18, v15
	v_dual_mov_b32 v17, v15 :: v_dual_mov_b32 v16, v15
	v_mov_b32_e32 v20, v15
	v_cmp_ne_u64_e32 vcc_lo, 48, v[14:15]
	v_dual_mov_b32 v14, v15 :: v_dual_mov_b32 v21, v15
	s_and_saveexec_b32 s3, vcc_lo
	s_cbranch_execz .LBB32_27
; %bb.24:
	v_dual_lshrrev_b32 v1, 4, v22 :: v_dual_mov_b32 v15, 0
	v_lshl_add_u64 v[24:25], v[8:9], 2, s[8:9]
	s_mov_b32 s7, 0
	s_delay_alu instid0(VALU_DEP_2) | instskip(SKIP_1) | instid1(VALU_DEP_2)
	v_dual_mov_b32 v18, v15 :: v_dual_add_nc_u32 v1, 1, v1
	v_dual_mov_b32 v16, v15 :: v_dual_mov_b32 v17, v15
	v_dual_mov_b32 v20, v15 :: v_dual_bitop2_b32 v14, 3, v1 bitop3:0x40
	v_dual_mov_b32 v19, v15 :: v_dual_mov_b32 v21, v15
	s_delay_alu instid0(VALU_DEP_2)
	v_sub_nc_u64_e32 v[26:27], 0, v[14:15]
	v_mov_b32_e32 v14, v15
.LBB32_25:                              ; =>This Inner Loop Header: Depth=1
	global_load_b32 v1, v[24:25], off
	s_clause 0x4
	global_load_b128 v[28:31], v[12:13], off offset:32
	global_load_b128 v[32:35], v[12:13], off offset:16
	global_load_b128 v[36:39], v[12:13], off
	global_load_b128 v[40:43], v[12:13], off offset:64
	global_load_b128 v[44:47], v[12:13], off offset:96
	v_add_nc_u64_e32 v[26:27], 1, v[26:27]
	v_add_nc_u64_e32 v[8:9], 16, v[8:9]
	s_wait_xcnt 0x5
	v_add_nc_u64_e32 v[24:25], 64, v[24:25]
	s_delay_alu instid0(VALU_DEP_3)
	v_cmp_eq_u64_e32 vcc_lo, 0, v[26:27]
	s_or_b32 s7, vcc_lo, s7
	s_wait_loadcnt 0x5
	v_subrev_nc_u32_e32 v1, s12, v1
	s_wait_loadcnt 0x4
	v_xor_b32_e32 v70, 0x80000000, v31
	s_wait_loadcnt 0x3
	v_xor_b32_e32 v76, 0x80000000, v35
	v_mov_b32_e32 v71, v30
	s_wait_loadcnt 0x1
	v_xor_b32_e32 v72, 0x80000000, v43
	v_dual_mov_b32 v73, v42 :: v_dual_lshlrev_b32 v48, 2, v1
	s_wait_loadcnt 0x0
	v_mov_b32_e32 v75, v46
	v_xor_b32_e32 v74, 0x80000000, v47
	s_delay_alu instid0(VALU_DEP_3) | instskip(SKIP_1) | instid1(VALU_DEP_1)
	v_ashrrev_i32_e32 v49, 31, v48
	s_wait_kmcnt 0x0
	v_lshl_add_u64 v[68:69], v[48:49], 3, s[4:5]
	global_load_b128 v[48:51], v[12:13], off offset:48
	s_clause 0x1
	global_load_b128 v[52:55], v[68:69], off
	global_load_b128 v[56:59], v[68:69], off offset:16
	s_clause 0x1
	global_load_b128 v[60:63], v[12:13], off offset:80
	global_load_b128 v[64:67], v[12:13], off offset:112
	s_wait_xcnt 0x2
	v_xor_b32_e32 v68, 0x80000000, v39
	v_dual_mov_b32 v69, v38 :: v_dual_mov_b32 v77, v34
	s_wait_xcnt 0x0
	v_add_nc_u64_e32 v[12:13], 0x800, v[12:13]
	s_wait_loadcnt 0x4
	v_mov_b32_e32 v79, v50
	s_wait_loadcnt 0x3
	v_pk_fma_f32 v[20:21], v[36:37], v[52:53], v[20:21] op_sel_hi:[1,0,1]
	v_pk_fma_f32 v[14:15], v[38:39], v[52:53], v[14:15] op_sel_hi:[1,0,1]
	;; [unrolled: 1-line block ×4, first 2 shown]
	v_xor_b32_e32 v78, 0x80000000, v51
	v_pk_fma_f32 v[20:21], v[36:37], v[52:53], v[20:21] op_sel:[1,1,0] op_sel_hi:[0,1,1] neg_lo:[1,0,0]
	v_pk_fma_f32 v[14:15], v[68:69], v[52:53], v[14:15] op_sel:[0,1,0]
	v_pk_fma_f32 v[18:19], v[32:33], v[52:53], v[18:19] op_sel:[1,1,0] op_sel_hi:[0,1,1] neg_lo:[1,0,0]
	v_pk_fma_f32 v[16:17], v[76:77], v[52:53], v[16:17] op_sel:[0,1,0]
	s_wait_loadcnt 0x1
	v_dual_mov_b32 v32, v55 :: v_dual_mov_b32 v35, v62
	v_pk_fma_f32 v[20:21], v[28:29], v[54:55], v[20:21] op_sel_hi:[1,0,1]
	v_pk_fma_f32 v[14:15], v[30:31], v[54:55], v[14:15] op_sel_hi:[1,0,1]
	;; [unrolled: 1-line block ×4, first 2 shown]
	v_xor_b32_e32 v34, 0x80000000, v63
	v_pk_fma_f32 v[20:21], v[28:29], v[32:33], v[20:21] op_sel:[1,0,0] op_sel_hi:[0,0,1] neg_lo:[1,0,0]
	v_pk_fma_f32 v[14:15], v[70:71], v[32:33], v[14:15] op_sel_hi:[1,0,1]
	v_pk_fma_f32 v[18:19], v[48:49], v[32:33], v[18:19] op_sel:[1,0,0] op_sel_hi:[0,0,1] neg_lo:[1,0,0]
	v_pk_fma_f32 v[16:17], v[78:79], v[32:33], v[16:17] op_sel_hi:[1,0,1]
	s_wait_loadcnt 0x0
	v_xor_b32_e32 v28, 0x80000000, v67
	v_pk_fma_f32 v[20:21], v[40:41], v[56:57], v[20:21] op_sel_hi:[1,0,1]
	v_pk_fma_f32 v[14:15], v[42:43], v[56:57], v[14:15] op_sel_hi:[1,0,1]
	;; [unrolled: 1-line block ×4, first 2 shown]
	v_dual_mov_b32 v29, v66 :: v_dual_mov_b32 v30, v59
	v_pk_fma_f32 v[20:21], v[40:41], v[56:57], v[20:21] op_sel:[1,1,0] op_sel_hi:[0,1,1] neg_lo:[1,0,0]
	v_pk_fma_f32 v[14:15], v[72:73], v[56:57], v[14:15] op_sel:[0,1,0]
	v_pk_fma_f32 v[18:19], v[60:61], v[56:57], v[18:19] op_sel:[1,1,0] op_sel_hi:[0,1,1] neg_lo:[1,0,0]
	v_pk_fma_f32 v[16:17], v[34:35], v[56:57], v[16:17] op_sel:[0,1,0]
	s_delay_alu instid0(VALU_DEP_4) | instskip(NEXT) | instid1(VALU_DEP_4)
	v_pk_fma_f32 v[20:21], v[44:45], v[58:59], v[20:21] op_sel_hi:[1,0,1]
	v_pk_fma_f32 v[14:15], v[46:47], v[58:59], v[14:15] op_sel_hi:[1,0,1]
	s_delay_alu instid0(VALU_DEP_4) | instskip(NEXT) | instid1(VALU_DEP_4)
	v_pk_fma_f32 v[18:19], v[64:65], v[58:59], v[18:19] op_sel_hi:[1,0,1]
	v_pk_fma_f32 v[16:17], v[66:67], v[58:59], v[16:17] op_sel_hi:[1,0,1]
	s_delay_alu instid0(VALU_DEP_4) | instskip(NEXT) | instid1(VALU_DEP_4)
	v_pk_fma_f32 v[20:21], v[44:45], v[30:31], v[20:21] op_sel:[1,0,0] op_sel_hi:[0,0,1] neg_lo:[1,0,0]
	v_pk_fma_f32 v[14:15], v[74:75], v[30:31], v[14:15] op_sel_hi:[1,0,1]
	s_delay_alu instid0(VALU_DEP_4) | instskip(NEXT) | instid1(VALU_DEP_4)
	v_pk_fma_f32 v[18:19], v[64:65], v[30:31], v[18:19] op_sel:[1,0,0] op_sel_hi:[0,0,1] neg_lo:[1,0,0]
	v_pk_fma_f32 v[16:17], v[28:29], v[30:31], v[16:17] op_sel_hi:[1,0,1]
	s_and_not1_b32 exec_lo, exec_lo, s7
	s_cbranch_execnz .LBB32_25
; %bb.26:
	s_or_b32 exec_lo, exec_lo, s7
.LBB32_27:
	s_delay_alu instid0(SALU_CYCLE_1) | instskip(NEXT) | instid1(SALU_CYCLE_1)
	s_or_b32 exec_lo, exec_lo, s3
	s_mov_b32 s3, exec_lo
	v_cmpx_lt_u64_e32 47, v[22:23]
	s_cbranch_execz .LBB32_31
; %bb.28:
	v_lshl_add_u64 v[22:23], v[8:9], 2, s[8:9]
	s_mov_b32 s7, 0
	s_delay_alu instid0(VALU_DEP_1)
	v_add_nc_u64_e32 v[22:23], 0x80, v[22:23]
.LBB32_29:                              ; =>This Inner Loop Header: Depth=1
	global_load_b32 v1, v[22:23], off offset:-128
	s_clause 0xb
	global_load_b128 v[24:27], v[12:13], off
	global_load_b128 v[28:31], v[12:13], off offset:16
	global_load_b128 v[32:35], v[12:13], off offset:48
	;; [unrolled: 1-line block ×11, first 2 shown]
	s_clause 0x2
	global_load_b32 v7, v[22:23], off offset:-64
	global_load_b32 v116, v[22:23], off
	global_load_b32 v118, v[22:23], off offset:64
	s_clause 0x6
	global_load_b128 v[72:75], v[12:13], off offset:2160
	global_load_b128 v[76:79], v[12:13], off offset:2144
	;; [unrolled: 1-line block ×7, first 2 shown]
	v_add_nc_u64_e32 v[8:9], 64, v[8:9]
	s_wait_xcnt 0x7
	v_add_nc_u64_e32 v[22:23], 0x100, v[22:23]
	s_delay_alu instid0(VALU_DEP_2)
	v_cmp_ge_i64_e32 vcc_lo, v[8:9], v[10:11]
	s_or_b32 s7, vcc_lo, s7
	s_wait_loadcnt 0x16
	v_subrev_nc_u32_e32 v1, s12, v1
	s_wait_loadcnt 0x15
	v_mov_b32_e32 v109, v26
	v_xor_b32_e32 v108, 0x80000000, v27
	s_delay_alu instid0(VALU_DEP_3) | instskip(SKIP_1) | instid1(VALU_DEP_1)
	v_lshlrev_b32_e32 v100, 2, v1
	s_wait_loadcnt 0xc
	v_dual_ashrrev_i32 v101, 31, v100 :: v_dual_mov_b32 v117, v62
	s_wait_loadcnt 0x9
	v_subrev_nc_u32_e32 v1, s12, v7
	s_wait_kmcnt 0x0
	s_delay_alu instid0(VALU_DEP_2)
	v_lshl_add_u64 v[110:111], v[100:101], 3, s[4:5]
	s_clause 0x1
	global_load_b128 v[100:103], v[110:111], off
	global_load_b128 v[104:107], v[110:111], off offset:16
	s_wait_loadcnt 0x1
	v_pk_fma_f32 v[20:21], v[24:25], v[100:101], v[20:21] op_sel_hi:[1,0,1]
	s_wait_xcnt 0x0
	v_pk_fma_f32 v[110:111], v[26:27], v[100:101], v[14:15] op_sel_hi:[1,0,1]
	v_pk_fma_f32 v[14:15], v[28:29], v[100:101], v[18:19] op_sel_hi:[1,0,1]
	;; [unrolled: 1-line block ×3, first 2 shown]
	v_pk_fma_f32 v[112:113], v[24:25], v[100:101], v[20:21] op_sel:[1,1,0] op_sel_hi:[0,1,1] neg_lo:[1,0,0]
	v_xor_b32_e32 v20, 0x80000000, v31
	v_mov_b32_e32 v21, v30
	v_pk_fma_f32 v[28:29], v[28:29], v[100:101], v[14:15] op_sel:[1,1,0] op_sel_hi:[0,1,1] neg_lo:[1,0,0]
	v_pk_fma_f32 v[30:31], v[108:109], v[100:101], v[110:111] op_sel:[0,1,0]
	v_pk_fma_f32 v[108:109], v[36:37], v[102:103], v[112:113] op_sel_hi:[1,0,1]
	v_xor_b32_e32 v112, 0x80000000, v39
	v_pk_fma_f32 v[100:101], v[20:21], v[100:101], v[18:19] op_sel:[0,1,0]
	v_pk_fma_f32 v[28:29], v[32:33], v[102:103], v[28:29] op_sel_hi:[1,0,1]
	v_pk_fma_f32 v[110:111], v[38:39], v[102:103], v[30:31] op_sel_hi:[1,0,1]
	v_mov_b32_e32 v113, v38
	v_xor_b32_e32 v38, 0x80000000, v35
	v_pk_fma_f32 v[100:101], v[34:35], v[102:103], v[100:101] op_sel_hi:[1,0,1]
	v_dual_mov_b32 v102, v103 :: v_dual_mov_b32 v39, v34
	s_clause 0x2
	global_load_b128 v[24:27], v[12:13], off offset:4096
	global_load_b128 v[14:17], v[12:13], off offset:4208
	;; [unrolled: 1-line block ×3, first 2 shown]
	v_pk_fma_f32 v[36:37], v[36:37], v[102:103], v[108:109] op_sel:[1,0,0] op_sel_hi:[0,0,1] neg_lo:[1,0,0]
	v_pk_fma_f32 v[110:111], v[112:113], v[102:103], v[110:111] op_sel_hi:[1,0,1]
	v_pk_fma_f32 v[108:109], v[32:33], v[102:103], v[28:29] op_sel:[1,0,0] op_sel_hi:[0,0,1] neg_lo:[1,0,0]
	v_pk_fma_f32 v[100:101], v[38:39], v[102:103], v[100:101] op_sel_hi:[1,0,1]
	v_xor_b32_e32 v102, 0x80000000, v55
	v_mov_b32_e32 v103, v54
	s_wait_loadcnt 0x3
	v_pk_fma_f32 v[36:37], v[52:53], v[104:105], v[36:37] op_sel_hi:[1,0,1]
	v_pk_fma_f32 v[54:55], v[54:55], v[104:105], v[110:111] op_sel_hi:[1,0,1]
	;; [unrolled: 1-line block ×4, first 2 shown]
	v_mov_b32_e32 v113, v70
	v_pk_fma_f32 v[110:111], v[52:53], v[104:105], v[36:37] op_sel:[1,1,0] op_sel_hi:[0,1,1] neg_lo:[1,0,0]
	v_xor_b32_e32 v52, 0x80000000, v51
	v_mov_b32_e32 v53, v50
	v_pk_fma_f32 v[102:103], v[102:103], v[104:105], v[54:55] op_sel:[0,1,0]
	v_pk_fma_f32 v[108:109], v[48:49], v[104:105], v[108:109] op_sel:[1,1,0] op_sel_hi:[0,1,1] neg_lo:[1,0,0]
	s_clause 0x1
	global_load_b128 v[28:31], v[12:13], off offset:4176
	global_load_b128 v[32:35], v[12:13], off offset:4160
	v_pk_fma_f32 v[100:101], v[52:53], v[104:105], v[100:101] op_sel:[0,1,0]
	v_pk_fma_f32 v[104:105], v[44:45], v[106:107], v[110:111] op_sel_hi:[1,0,1]
	v_pk_fma_f32 v[102:103], v[46:47], v[106:107], v[102:103] op_sel_hi:[1,0,1]
	v_dual_mov_b32 v111, v46 :: v_dual_lshlrev_b32 v46, 2, v1
	v_pk_fma_f32 v[108:109], v[40:41], v[106:107], v[108:109] op_sel_hi:[1,0,1]
	v_pk_fma_f32 v[100:101], v[42:43], v[106:107], v[100:101] op_sel_hi:[1,0,1]
	v_mov_b32_e32 v106, v107
	v_xor_b32_e32 v110, 0x80000000, v47
	v_ashrrev_i32_e32 v47, 31, v46
	s_clause 0x1
	global_load_b128 v[36:39], v[12:13], off offset:6192
	global_load_b128 v[48:51], v[12:13], off offset:6176
	v_pk_fma_f32 v[104:105], v[44:45], v[106:107], v[104:105] op_sel:[1,0,0] op_sel_hi:[0,0,1] neg_lo:[1,0,0]
	v_xor_b32_e32 v44, 0x80000000, v43
	v_mov_b32_e32 v45, v42
	v_lshl_add_u64 v[114:115], v[46:47], 3, s[4:5]
	global_load_b128 v[52:55], v[12:13], off offset:6144
	v_pk_fma_f32 v[108:109], v[40:41], v[106:107], v[108:109] op_sel:[1,0,0] op_sel_hi:[0,0,1] neg_lo:[1,0,0]
	global_load_b128 v[40:43], v[12:13], off offset:6240
	v_pk_fma_f32 v[110:111], v[110:111], v[106:107], v[102:103] op_sel_hi:[1,0,1]
	v_pk_fma_f32 v[106:107], v[44:45], v[106:107], v[100:101] op_sel_hi:[1,0,1]
	s_clause 0x1
	global_load_b128 v[44:47], v[114:115], off
	global_load_b128 v[100:103], v[114:115], off offset:16
	v_subrev_nc_u32_e32 v1, s12, v116
	v_xor_b32_e32 v112, 0x80000000, v71
	v_xor_b32_e32 v116, 0x80000000, v63
	s_wait_loadcnt 0x1
	v_pk_fma_f32 v[70:71], v[70:71], v[44:45], v[110:111] op_sel_hi:[1,0,1]
	s_wait_xcnt 0x0
	v_dual_lshlrev_b32 v110, 2, v1 :: v_dual_mov_b32 v114, v47
	v_pk_fma_f32 v[104:105], v[68:69], v[44:45], v[104:105] op_sel_hi:[1,0,1]
	v_pk_fma_f32 v[108:109], v[64:65], v[44:45], v[108:109] op_sel_hi:[1,0,1]
	;; [unrolled: 1-line block ×3, first 2 shown]
	s_delay_alu instid0(VALU_DEP_4)
	v_ashrrev_i32_e32 v111, 31, v110
	v_pk_fma_f32 v[112:113], v[112:113], v[44:45], v[70:71] op_sel:[0,1,0]
	v_pk_fma_f32 v[104:105], v[68:69], v[44:45], v[104:105] op_sel:[1,1,0] op_sel_hi:[0,1,1] neg_lo:[1,0,0]
	v_xor_b32_e32 v68, 0x80000000, v67
	v_mov_b32_e32 v69, v66
	v_lshl_add_u64 v[110:111], v[110:111], 3, s[4:5]
	v_pk_fma_f32 v[108:109], v[64:65], v[44:45], v[108:109] op_sel:[1,1,0] op_sel_hi:[0,1,1] neg_lo:[1,0,0]
	v_pk_fma_f32 v[104:105], v[60:61], v[46:47], v[104:105] op_sel_hi:[1,0,1]
	v_subrev_nc_u32_e32 v1, s12, v118
	v_pk_fma_f32 v[44:45], v[68:69], v[44:45], v[106:107] op_sel:[0,1,0]
	global_load_b128 v[68:71], v[110:111], off
	v_pk_fma_f32 v[108:109], v[56:57], v[46:47], v[108:109] op_sel_hi:[1,0,1]
	v_pk_fma_f32 v[106:107], v[62:63], v[46:47], v[112:113] op_sel_hi:[1,0,1]
	v_pk_fma_f32 v[60:61], v[60:61], v[114:115], v[104:105] op_sel:[1,0,0] op_sel_hi:[0,0,1] neg_lo:[1,0,0]
	v_pk_fma_f32 v[112:113], v[58:59], v[46:47], v[44:45] op_sel_hi:[1,0,1]
	v_xor_b32_e32 v62, 0x80000000, v59
	v_mov_b32_e32 v63, v58
	v_pk_fma_f32 v[104:105], v[56:57], v[114:115], v[108:109] op_sel:[1,0,0] op_sel_hi:[0,0,1] neg_lo:[1,0,0]
	global_load_b128 v[56:59], v[110:111], off offset:16
	v_mov_b32_e32 v109, v86
	v_pk_fma_f32 v[106:107], v[116:117], v[114:115], v[106:107] op_sel_hi:[1,0,1]
	v_mov_b32_e32 v117, v82
	v_pk_fma_f32 v[112:113], v[62:63], v[114:115], v[112:113] op_sel_hi:[1,0,1]
	v_lshlrev_b32_e32 v62, 2, v1
	s_clause 0x1
	global_load_b128 v[64:67], v[12:13], off offset:6208
	global_load_b128 v[44:47], v[12:13], off offset:6160
	s_wait_loadcnt 0x4
	v_pk_fma_f32 v[60:61], v[84:85], v[100:101], v[60:61] op_sel_hi:[1,0,1]
	v_xor_b32_e32 v108, 0x80000000, v87
	v_ashrrev_i32_e32 v63, 31, v62
	v_xor_b32_e32 v116, 0x80000000, v83
	v_pk_fma_f32 v[106:107], v[86:87], v[100:101], v[106:107] op_sel_hi:[1,0,1]
	v_pk_fma_f32 v[114:115], v[84:85], v[100:101], v[60:61] op_sel:[1,1,0] op_sel_hi:[0,1,1] neg_lo:[1,0,0]
	v_pk_fma_f32 v[84:85], v[80:81], v[100:101], v[104:105] op_sel_hi:[1,0,1]
	s_wait_xcnt 0x2
	v_lshl_add_u64 v[110:111], v[62:63], 3, s[4:5]
	v_pk_fma_f32 v[104:105], v[82:83], v[100:101], v[112:113] op_sel_hi:[1,0,1]
	v_pk_fma_f32 v[108:109], v[108:109], v[100:101], v[106:107] op_sel:[0,1,0]
	v_pk_fma_f32 v[112:113], v[80:81], v[100:101], v[84:85] op_sel:[1,1,0] op_sel_hi:[0,1,1] neg_lo:[1,0,0]
	global_load_b128 v[60:63], v[110:111], off
	global_load_b128 v[80:83], v[12:13], off offset:6224
	global_load_b128 v[84:87], v[110:111], off offset:16
	v_pk_fma_f32 v[100:101], v[116:117], v[100:101], v[104:105] op_sel:[0,1,0]
	global_load_b128 v[104:107], v[12:13], off offset:6256
	s_wait_xcnt 0x1
	v_pk_fma_f32 v[110:111], v[76:77], v[102:103], v[114:115] op_sel_hi:[1,0,1]
	v_pk_fma_f32 v[108:109], v[78:79], v[102:103], v[108:109] op_sel_hi:[1,0,1]
	v_pk_fma_f32 v[112:113], v[72:73], v[102:103], v[112:113] op_sel_hi:[1,0,1]
	v_pk_fma_f32 v[100:101], v[74:75], v[102:103], v[100:101] op_sel_hi:[1,0,1]
	v_mov_b32_e32 v102, v103
	v_xor_b32_e32 v114, 0x80000000, v79
	v_dual_mov_b32 v115, v78 :: v_dual_mov_b32 v79, v74
	v_xor_b32_e32 v78, 0x80000000, v75
	s_delay_alu instid0(VALU_DEP_4) | instskip(SKIP_1) | instid1(VALU_DEP_4)
	v_pk_fma_f32 v[76:77], v[76:77], v[102:103], v[110:111] op_sel:[1,0,0] op_sel_hi:[0,0,1] neg_lo:[1,0,0]
	v_pk_fma_f32 v[72:73], v[72:73], v[102:103], v[112:113] op_sel:[1,0,0] op_sel_hi:[0,0,1] neg_lo:[1,0,0]
	v_pk_fma_f32 v[108:109], v[114:115], v[102:103], v[108:109] op_sel_hi:[1,0,1]
	v_xor_b32_e32 v74, 0x80000000, v27
	v_pk_fma_f32 v[78:79], v[78:79], v[102:103], v[100:101] op_sel_hi:[1,0,1]
	v_dual_mov_b32 v75, v26 :: v_dual_mov_b32 v111, v98
	v_xor_b32_e32 v110, 0x80000000, v99
	v_xor_b32_e32 v112, 0x80000000, v95
	v_dual_mov_b32 v113, v94 :: v_dual_mov_b32 v115, v90
	v_xor_b32_e32 v114, 0x80000000, v91
	v_xor_b32_e32 v100, 0x80000000, v35
	v_dual_mov_b32 v101, v34 :: v_dual_mov_b32 v103, v30
	v_xor_b32_e32 v102, 0x80000000, v31
	s_wait_xcnt 0x0
	v_add_nc_u64_e32 v[12:13], 0x2000, v[12:13]
	s_wait_loadcnt 0x7
	v_pk_fma_f32 v[76:77], v[24:25], v[68:69], v[76:77] op_sel_hi:[1,0,1]
	v_pk_fma_f32 v[26:27], v[26:27], v[68:69], v[108:109] op_sel_hi:[1,0,1]
	;; [unrolled: 1-line block ×4, first 2 shown]
	v_mov_b32_e32 v109, v54
	v_pk_fma_f32 v[24:25], v[24:25], v[68:69], v[76:77] op_sel:[1,1,0] op_sel_hi:[0,1,1] neg_lo:[1,0,0]
	v_pk_fma_f32 v[26:27], v[74:75], v[68:69], v[26:27] op_sel:[0,1,0]
	v_pk_fma_f32 v[72:73], v[96:97], v[68:69], v[72:73] op_sel:[1,1,0] op_sel_hi:[0,1,1] neg_lo:[1,0,0]
	v_pk_fma_f32 v[68:69], v[110:111], v[68:69], v[78:79] op_sel:[0,1,0]
	v_mov_b32_e32 v75, v42
	v_pk_fma_f32 v[24:25], v[92:93], v[70:71], v[24:25] op_sel_hi:[1,0,1]
	v_pk_fma_f32 v[26:27], v[94:95], v[70:71], v[26:27] op_sel_hi:[1,0,1]
	;; [unrolled: 1-line block ×4, first 2 shown]
	v_mov_b32_e32 v70, v71
	v_xor_b32_e32 v76, 0x80000000, v21
	v_mov_b32_e32 v77, v20
	v_xor_b32_e32 v78, 0x80000000, v17
	v_mov_b32_e32 v79, v16
	v_pk_fma_f32 v[24:25], v[92:93], v[70:71], v[24:25] op_sel:[1,0,0] op_sel_hi:[0,0,1] neg_lo:[1,0,0]
	v_pk_fma_f32 v[26:27], v[112:113], v[70:71], v[26:27] op_sel_hi:[1,0,1]
	v_pk_fma_f32 v[72:73], v[88:89], v[70:71], v[72:73] op_sel:[1,0,0] op_sel_hi:[0,0,1] neg_lo:[1,0,0]
	v_pk_fma_f32 v[68:69], v[114:115], v[70:71], v[68:69] op_sel_hi:[1,0,1]
	s_wait_loadcnt 0x4
	v_mov_b32_e32 v71, v46
	v_pk_fma_f32 v[24:25], v[32:33], v[56:57], v[24:25] op_sel_hi:[1,0,1]
	v_pk_fma_f32 v[26:27], v[34:35], v[56:57], v[26:27] op_sel_hi:[1,0,1]
	;; [unrolled: 1-line block ×4, first 2 shown]
	v_xor_b32_e32 v108, 0x80000000, v55
	v_pk_fma_f32 v[24:25], v[32:33], v[56:57], v[24:25] op_sel:[1,1,0] op_sel_hi:[0,1,1] neg_lo:[1,0,0]
	v_pk_fma_f32 v[26:27], v[100:101], v[56:57], v[26:27] op_sel:[0,1,0]
	v_pk_fma_f32 v[28:29], v[28:29], v[56:57], v[34:35] op_sel:[1,1,0] op_sel_hi:[0,1,1] neg_lo:[1,0,0]
	v_pk_fma_f32 v[30:31], v[102:103], v[56:57], v[30:31] op_sel:[0,1,0]
	v_mov_b32_e32 v32, v59
	v_pk_fma_f32 v[24:25], v[18:19], v[58:59], v[24:25] op_sel_hi:[1,0,1]
	v_pk_fma_f32 v[20:21], v[20:21], v[58:59], v[26:27] op_sel_hi:[1,0,1]
	;; [unrolled: 1-line block ×4, first 2 shown]
	v_mov_b32_e32 v29, v38
	v_pk_fma_f32 v[18:19], v[18:19], v[32:33], v[24:25] op_sel:[1,0,0] op_sel_hi:[0,0,1] neg_lo:[1,0,0]
	v_pk_fma_f32 v[20:21], v[76:77], v[32:33], v[20:21] op_sel_hi:[1,0,1]
	v_pk_fma_f32 v[14:15], v[14:15], v[32:33], v[26:27] op_sel:[1,0,0] op_sel_hi:[0,0,1] neg_lo:[1,0,0]
	v_pk_fma_f32 v[16:17], v[78:79], v[32:33], v[16:17] op_sel_hi:[1,0,1]
	v_xor_b32_e32 v70, 0x80000000, v47
	s_wait_loadcnt 0x3
	v_pk_fma_f32 v[18:19], v[52:53], v[60:61], v[18:19] op_sel_hi:[1,0,1]
	v_pk_fma_f32 v[20:21], v[54:55], v[60:61], v[20:21] op_sel_hi:[1,0,1]
	;; [unrolled: 1-line block ×4, first 2 shown]
	v_xor_b32_e32 v96, 0x80000000, v51
	v_pk_fma_f32 v[18:19], v[52:53], v[60:61], v[18:19] op_sel:[1,1,0] op_sel_hi:[0,1,1] neg_lo:[1,0,0]
	v_pk_fma_f32 v[20:21], v[108:109], v[60:61], v[20:21] op_sel:[0,1,0]
	v_pk_fma_f32 v[14:15], v[44:45], v[60:61], v[14:15] op_sel:[1,1,0] op_sel_hi:[0,1,1] neg_lo:[1,0,0]
	v_pk_fma_f32 v[16:17], v[70:71], v[60:61], v[16:17] op_sel:[0,1,0]
	v_dual_mov_b32 v97, v50 :: v_dual_mov_b32 v99, v66
	v_xor_b32_e32 v28, 0x80000000, v39
	s_wait_loadcnt 0x2
	v_dual_mov_b32 v26, v63 :: v_dual_mov_b32 v25, v82
	v_pk_fma_f32 v[18:19], v[48:49], v[62:63], v[18:19] op_sel_hi:[1,0,1]
	v_pk_fma_f32 v[20:21], v[50:51], v[62:63], v[20:21] op_sel_hi:[1,0,1]
	;; [unrolled: 1-line block ×4, first 2 shown]
	v_xor_b32_e32 v98, 0x80000000, v67
	v_pk_fma_f32 v[18:19], v[48:49], v[26:27], v[18:19] op_sel:[1,0,0] op_sel_hi:[0,0,1] neg_lo:[1,0,0]
	v_pk_fma_f32 v[20:21], v[96:97], v[26:27], v[20:21] op_sel_hi:[1,0,1]
	v_pk_fma_f32 v[14:15], v[36:37], v[26:27], v[14:15] op_sel:[1,0,0] op_sel_hi:[0,0,1] neg_lo:[1,0,0]
	v_pk_fma_f32 v[16:17], v[28:29], v[26:27], v[16:17] op_sel_hi:[1,0,1]
	v_xor_b32_e32 v24, 0x80000000, v83
	s_wait_loadcnt 0x1
	v_pk_fma_f32 v[18:19], v[64:65], v[84:85], v[18:19] op_sel_hi:[1,0,1]
	v_pk_fma_f32 v[20:21], v[66:67], v[84:85], v[20:21] op_sel_hi:[1,0,1]
	;; [unrolled: 1-line block ×4, first 2 shown]
	v_xor_b32_e32 v74, 0x80000000, v43
	v_pk_fma_f32 v[18:19], v[64:65], v[84:85], v[18:19] op_sel:[1,1,0] op_sel_hi:[0,1,1] neg_lo:[1,0,0]
	v_pk_fma_f32 v[20:21], v[98:99], v[84:85], v[20:21] op_sel:[0,1,0]
	v_pk_fma_f32 v[14:15], v[80:81], v[84:85], v[14:15] op_sel:[1,1,0] op_sel_hi:[0,1,1] neg_lo:[1,0,0]
	v_pk_fma_f32 v[16:17], v[24:25], v[84:85], v[16:17] op_sel:[0,1,0]
	s_wait_loadcnt 0x0
	v_xor_b32_e32 v26, 0x80000000, v107
	v_dual_mov_b32 v27, v106 :: v_dual_mov_b32 v24, v87
	v_pk_fma_f32 v[18:19], v[40:41], v[86:87], v[18:19] op_sel_hi:[1,0,1]
	v_pk_fma_f32 v[28:29], v[42:43], v[86:87], v[20:21] op_sel_hi:[1,0,1]
	;; [unrolled: 1-line block ×4, first 2 shown]
	s_delay_alu instid0(VALU_DEP_4) | instskip(NEXT) | instid1(VALU_DEP_4)
	v_pk_fma_f32 v[20:21], v[40:41], v[24:25], v[18:19] op_sel:[1,0,0] op_sel_hi:[0,0,1] neg_lo:[1,0,0]
	v_pk_fma_f32 v[14:15], v[74:75], v[24:25], v[28:29] op_sel_hi:[1,0,1]
	s_delay_alu instid0(VALU_DEP_4) | instskip(NEXT) | instid1(VALU_DEP_4)
	v_pk_fma_f32 v[18:19], v[104:105], v[24:25], v[30:31] op_sel:[1,0,0] op_sel_hi:[0,0,1] neg_lo:[1,0,0]
	v_pk_fma_f32 v[16:17], v[26:27], v[24:25], v[16:17] op_sel_hi:[1,0,1]
	s_and_not1_b32 exec_lo, exec_lo, s7
	s_cbranch_execnz .LBB32_29
; %bb.30:
	s_or_b32 exec_lo, exec_lo, s7
.LBB32_31:
	s_delay_alu instid0(SALU_CYCLE_1)
	s_or_b32 exec_lo, exec_lo, s3
.LBB32_32:
	s_delay_alu instid0(SALU_CYCLE_1)
	s_or_b32 exec_lo, exec_lo, s6
.LBB32_33:
	v_mbcnt_lo_u32_b32 v1, -1, 0
	s_delay_alu instid0(VALU_DEP_1) | instskip(SKIP_1) | instid1(VALU_DEP_1)
	v_xor_b32_e32 v23, 4, v1
	v_xor_b32_e32 v7, 8, v1
	v_cmp_gt_i32_e32 vcc_lo, 32, v7
	v_cndmask_b32_e32 v7, v1, v7, vcc_lo
	s_delay_alu instid0(VALU_DEP_1)
	v_lshlrev_b32_e32 v7, 2, v7
	ds_bpermute_b32 v9, v7, v21
	s_wait_dscnt 0x0
	v_add_f32_e32 v9, v21, v9
	ds_bpermute_b32 v10, v7, v14
	ds_bpermute_b32 v8, v7, v20
	;; [unrolled: 1-line block ×7, first 2 shown]
	s_wait_dscnt 0x6
	v_add_f32_e32 v10, v14, v10
	v_cmp_gt_i32_e32 vcc_lo, 32, v23
	s_wait_dscnt 0x4
	v_dual_add_f32 v8, v20, v8 :: v_dual_add_f32 v11, v15, v11
	s_wait_dscnt 0x1
	v_dual_add_f32 v13, v19, v13 :: v_dual_add_f32 v14, v16, v22
	v_cndmask_b32_e32 v23, v1, v23, vcc_lo
	s_wait_dscnt 0x0
	v_dual_add_f32 v7, v17, v7 :: v_dual_add_f32 v12, v18, v12
	s_delay_alu instid0(VALU_DEP_2)
	v_lshlrev_b32_e32 v23, 2, v23
	ds_bpermute_b32 v15, v23, v8
	ds_bpermute_b32 v16, v23, v9
	;; [unrolled: 1-line block ×8, first 2 shown]
	s_wait_dscnt 0x7
	v_dual_add_f32 v8, v8, v15 :: v_dual_bitop2_b32 v23, 2, v1 bitop3:0x14
	s_delay_alu instid0(VALU_DEP_1)
	v_cmp_gt_i32_e32 vcc_lo, 32, v23
	s_wait_dscnt 0x4
	v_dual_add_f32 v10, v10, v17 :: v_dual_add_f32 v11, v11, v18
	s_wait_dscnt 0x2
	v_dual_add_f32 v12, v12, v19 :: v_dual_add_f32 v13, v13, v20
	s_wait_dscnt 0x1
	v_dual_add_f32 v14, v14, v21 :: v_dual_cndmask_b32 v23, v1, v23
	s_wait_dscnt 0x0
	v_dual_add_f32 v9, v9, v16 :: v_dual_add_f32 v15, v7, v22
	s_delay_alu instid0(VALU_DEP_2)
	v_lshlrev_b32_e32 v23, 2, v23
	ds_bpermute_b32 v7, v23, v8
	ds_bpermute_b32 v16, v23, v9
	;; [unrolled: 1-line block ×8, first 2 shown]
	v_xor_b32_e32 v23, 1, v1
	s_delay_alu instid0(VALU_DEP_1) | instskip(SKIP_3) | instid1(VALU_DEP_2)
	v_cmp_gt_i32_e32 vcc_lo, 32, v23
	v_cndmask_b32_e32 v1, v1, v23, vcc_lo
	v_cmp_eq_u32_e32 vcc_lo, 15, v0
	s_wait_dscnt 0x7
	v_dual_lshlrev_b32 v23, 2, v1 :: v_dual_add_f32 v1, v8, v7
	s_wait_dscnt 0x4
	v_dual_add_f32 v7, v9, v16 :: v_dual_add_f32 v9, v11, v18
	s_wait_dscnt 0x3
	v_dual_add_f32 v8, v10, v17 :: v_dual_add_f32 v10, v12, v19
	;; [unrolled: 2-line block ×3, first 2 shown]
	s_wait_dscnt 0x0
	v_add_f32_e32 v13, v15, v22
	ds_bpermute_b32 v14, v23, v1
	ds_bpermute_b32 v15, v23, v7
	;; [unrolled: 1-line block ×8, first 2 shown]
	s_and_b32 exec_lo, exec_lo, vcc_lo
	s_cbranch_execz .LBB32_6
; %bb.34:
	s_load_b64 s[0:1], s[0:1], 0x50
	v_cmp_eq_f32_e32 vcc_lo, 0, v4
	s_wait_dscnt 0x6
	v_dual_add_f32 v0, v1, v14 :: v_dual_add_f32 v22, v7, v15
	s_wait_dscnt 0x4
	v_dual_add_f32 v8, v8, v16 :: v_dual_add_f32 v20, v9, v17
	;; [unrolled: 2-line block ×4, first 2 shown]
	v_xor_b32_e32 v18, 0x80000000, v3
	v_lshlrev_b32_e32 v6, 2, v6
	s_xor_b32 s2, s2, -1
	s_delay_alu instid0(SALU_CYCLE_1) | instskip(NEXT) | instid1(SALU_CYCLE_1)
	s_and_b32 s2, vcc_lo, s2
	s_and_saveexec_b32 s3, s2
	s_delay_alu instid0(SALU_CYCLE_1)
	s_xor_b32 s2, exec_lo, s3
	s_cbranch_execz .LBB32_36
; %bb.35:
	v_dual_mov_b32 v19, v2 :: v_dual_ashrrev_i32 v7, 31, v6
	s_delay_alu instid0(VALU_DEP_1)
	v_pk_mul_f32 v[4:5], v[22:23], v[18:19] op_sel_hi:[0,1]
	v_pk_mul_f32 v[20:21], v[20:21], v[18:19] op_sel_hi:[0,1]
	;; [unrolled: 1-line block ×4, first 2 shown]
	s_wait_kmcnt 0x0
	v_lshl_add_u64 v[18:19], v[6:7], 3, s[0:1]
	v_pk_fma_f32 v[4:5], v[2:3], v[0:1], v[4:5] op_sel_hi:[1,0,1]
	v_pk_fma_f32 v[6:7], v[2:3], v[8:9], v[20:21] op_sel_hi:[1,0,1]
	;; [unrolled: 1-line block ×4, first 2 shown]
                                        ; implicit-def: $vgpr22
                                        ; implicit-def: $vgpr8
                                        ; implicit-def: $vgpr20
                                        ; implicit-def: $vgpr10
                                        ; implicit-def: $vgpr16
                                        ; implicit-def: $vgpr12
                                        ; implicit-def: $vgpr14
	s_clause 0x1
	global_store_b128 v[18:19], v[4:7], off
	global_store_b128 v[18:19], v[0:3], off offset:16
                                        ; implicit-def: $vgpr0
                                        ; implicit-def: $vgpr2_vgpr3
                                        ; implicit-def: $vgpr4_vgpr5
                                        ; implicit-def: $vgpr18
                                        ; implicit-def: $vgpr6
.LBB32_36:
	s_wait_xcnt 0x0
	s_and_not1_saveexec_b32 s2, s2
	s_cbranch_execz .LBB32_6
; %bb.37:
	v_dual_ashrrev_i32 v7, 31, v6 :: v_dual_mov_b32 v19, v2
	s_wait_kmcnt 0x0
	s_delay_alu instid0(VALU_DEP_1) | instskip(NEXT) | instid1(VALU_DEP_2)
	v_lshl_add_u64 v[32:33], v[6:7], 3, s[0:1]
	v_pk_mul_f32 v[6:7], v[22:23], v[18:19] op_sel_hi:[0,1]
	v_pk_mul_f32 v[20:21], v[20:21], v[18:19] op_sel_hi:[0,1]
	;; [unrolled: 1-line block ×4, first 2 shown]
	s_clause 0x1
	global_load_b128 v[24:27], v[32:33], off
	global_load_b128 v[28:31], v[32:33], off offset:16
	v_pk_fma_f32 v[0:1], v[2:3], v[0:1], v[6:7] op_sel_hi:[1,0,1]
	v_pk_fma_f32 v[6:7], v[2:3], v[8:9], v[20:21] op_sel_hi:[1,0,1]
	;; [unrolled: 1-line block ×4, first 2 shown]
	v_xor_b32_e32 v22, 0x80000000, v5
	s_wait_loadcnt 0x1
	v_dual_mov_b32 v23, v4 :: v_dual_mov_b32 v10, v27
	v_pk_fma_f32 v[0:1], v[4:5], v[24:25], v[0:1] op_sel_hi:[1,0,1]
	v_pk_fma_f32 v[6:7], v[4:5], v[26:27], v[6:7] op_sel_hi:[1,0,1]
	s_wait_loadcnt 0x0
	v_pk_fma_f32 v[8:9], v[4:5], v[28:29], v[8:9] op_sel_hi:[1,0,1]
	v_pk_fma_f32 v[12:13], v[4:5], v[30:31], v[2:3] op_sel_hi:[1,0,1]
	v_mov_b32_e32 v14, v31
	v_pk_fma_f32 v[0:1], v[22:23], v[24:25], v[0:1] op_sel:[0,1,0]
	v_pk_fma_f32 v[2:3], v[22:23], v[10:11], v[6:7] op_sel_hi:[1,0,1]
	v_pk_fma_f32 v[4:5], v[22:23], v[28:29], v[8:9] op_sel:[0,1,0]
	s_delay_alu instid0(VALU_DEP_4)
	v_pk_fma_f32 v[6:7], v[22:23], v[14:15], v[12:13] op_sel_hi:[1,0,1]
	s_clause 0x1
	global_store_b128 v[32:33], v[0:3], off
	global_store_b128 v[32:33], v[4:7], off offset:16
	s_sendmsg sendmsg(MSG_DEALLOC_VGPRS)
	s_endpgm
	.section	.rodata,"a",@progbits
	.p2align	6, 0x0
	.amdhsa_kernel _ZN9rocsparseL18bsrxmvn_4x4_kernelILj128ELj16E21rocsparse_complex_numIfEliS2_S2_S2_EEvT3_20rocsparse_direction_NS_24const_host_device_scalarIT1_EES3_PKS3_PKT2_SC_S9_PKT4_PKT5_S7_PT6_21rocsparse_index_base_b
		.amdhsa_group_segment_fixed_size 0
		.amdhsa_private_segment_fixed_size 0
		.amdhsa_kernarg_size 96
		.amdhsa_user_sgpr_count 2
		.amdhsa_user_sgpr_dispatch_ptr 0
		.amdhsa_user_sgpr_queue_ptr 0
		.amdhsa_user_sgpr_kernarg_segment_ptr 1
		.amdhsa_user_sgpr_dispatch_id 0
		.amdhsa_user_sgpr_kernarg_preload_length 0
		.amdhsa_user_sgpr_kernarg_preload_offset 0
		.amdhsa_user_sgpr_private_segment_size 0
		.amdhsa_wavefront_size32 1
		.amdhsa_uses_dynamic_stack 0
		.amdhsa_enable_private_segment 0
		.amdhsa_system_sgpr_workgroup_id_x 1
		.amdhsa_system_sgpr_workgroup_id_y 0
		.amdhsa_system_sgpr_workgroup_id_z 0
		.amdhsa_system_sgpr_workgroup_info 0
		.amdhsa_system_vgpr_workitem_id 0
		.amdhsa_next_free_vgpr 143
		.amdhsa_next_free_sgpr 16
		.amdhsa_named_barrier_count 0
		.amdhsa_reserve_vcc 1
		.amdhsa_float_round_mode_32 0
		.amdhsa_float_round_mode_16_64 0
		.amdhsa_float_denorm_mode_32 3
		.amdhsa_float_denorm_mode_16_64 3
		.amdhsa_fp16_overflow 0
		.amdhsa_memory_ordered 1
		.amdhsa_forward_progress 1
		.amdhsa_inst_pref_size 64
		.amdhsa_round_robin_scheduling 0
		.amdhsa_exception_fp_ieee_invalid_op 0
		.amdhsa_exception_fp_denorm_src 0
		.amdhsa_exception_fp_ieee_div_zero 0
		.amdhsa_exception_fp_ieee_overflow 0
		.amdhsa_exception_fp_ieee_underflow 0
		.amdhsa_exception_fp_ieee_inexact 0
		.amdhsa_exception_int_div_zero 0
	.end_amdhsa_kernel
	.section	.text._ZN9rocsparseL18bsrxmvn_4x4_kernelILj128ELj16E21rocsparse_complex_numIfEliS2_S2_S2_EEvT3_20rocsparse_direction_NS_24const_host_device_scalarIT1_EES3_PKS3_PKT2_SC_S9_PKT4_PKT5_S7_PT6_21rocsparse_index_base_b,"axG",@progbits,_ZN9rocsparseL18bsrxmvn_4x4_kernelILj128ELj16E21rocsparse_complex_numIfEliS2_S2_S2_EEvT3_20rocsparse_direction_NS_24const_host_device_scalarIT1_EES3_PKS3_PKT2_SC_S9_PKT4_PKT5_S7_PT6_21rocsparse_index_base_b,comdat
.Lfunc_end32:
	.size	_ZN9rocsparseL18bsrxmvn_4x4_kernelILj128ELj16E21rocsparse_complex_numIfEliS2_S2_S2_EEvT3_20rocsparse_direction_NS_24const_host_device_scalarIT1_EES3_PKS3_PKT2_SC_S9_PKT4_PKT5_S7_PT6_21rocsparse_index_base_b, .Lfunc_end32-_ZN9rocsparseL18bsrxmvn_4x4_kernelILj128ELj16E21rocsparse_complex_numIfEliS2_S2_S2_EEvT3_20rocsparse_direction_NS_24const_host_device_scalarIT1_EES3_PKS3_PKT2_SC_S9_PKT4_PKT5_S7_PT6_21rocsparse_index_base_b
                                        ; -- End function
	.set _ZN9rocsparseL18bsrxmvn_4x4_kernelILj128ELj16E21rocsparse_complex_numIfEliS2_S2_S2_EEvT3_20rocsparse_direction_NS_24const_host_device_scalarIT1_EES3_PKS3_PKT2_SC_S9_PKT4_PKT5_S7_PT6_21rocsparse_index_base_b.num_vgpr, 143
	.set _ZN9rocsparseL18bsrxmvn_4x4_kernelILj128ELj16E21rocsparse_complex_numIfEliS2_S2_S2_EEvT3_20rocsparse_direction_NS_24const_host_device_scalarIT1_EES3_PKS3_PKT2_SC_S9_PKT4_PKT5_S7_PT6_21rocsparse_index_base_b.num_agpr, 0
	.set _ZN9rocsparseL18bsrxmvn_4x4_kernelILj128ELj16E21rocsparse_complex_numIfEliS2_S2_S2_EEvT3_20rocsparse_direction_NS_24const_host_device_scalarIT1_EES3_PKS3_PKT2_SC_S9_PKT4_PKT5_S7_PT6_21rocsparse_index_base_b.numbered_sgpr, 16
	.set _ZN9rocsparseL18bsrxmvn_4x4_kernelILj128ELj16E21rocsparse_complex_numIfEliS2_S2_S2_EEvT3_20rocsparse_direction_NS_24const_host_device_scalarIT1_EES3_PKS3_PKT2_SC_S9_PKT4_PKT5_S7_PT6_21rocsparse_index_base_b.num_named_barrier, 0
	.set _ZN9rocsparseL18bsrxmvn_4x4_kernelILj128ELj16E21rocsparse_complex_numIfEliS2_S2_S2_EEvT3_20rocsparse_direction_NS_24const_host_device_scalarIT1_EES3_PKS3_PKT2_SC_S9_PKT4_PKT5_S7_PT6_21rocsparse_index_base_b.private_seg_size, 0
	.set _ZN9rocsparseL18bsrxmvn_4x4_kernelILj128ELj16E21rocsparse_complex_numIfEliS2_S2_S2_EEvT3_20rocsparse_direction_NS_24const_host_device_scalarIT1_EES3_PKS3_PKT2_SC_S9_PKT4_PKT5_S7_PT6_21rocsparse_index_base_b.uses_vcc, 1
	.set _ZN9rocsparseL18bsrxmvn_4x4_kernelILj128ELj16E21rocsparse_complex_numIfEliS2_S2_S2_EEvT3_20rocsparse_direction_NS_24const_host_device_scalarIT1_EES3_PKS3_PKT2_SC_S9_PKT4_PKT5_S7_PT6_21rocsparse_index_base_b.uses_flat_scratch, 1
	.set _ZN9rocsparseL18bsrxmvn_4x4_kernelILj128ELj16E21rocsparse_complex_numIfEliS2_S2_S2_EEvT3_20rocsparse_direction_NS_24const_host_device_scalarIT1_EES3_PKS3_PKT2_SC_S9_PKT4_PKT5_S7_PT6_21rocsparse_index_base_b.has_dyn_sized_stack, 0
	.set _ZN9rocsparseL18bsrxmvn_4x4_kernelILj128ELj16E21rocsparse_complex_numIfEliS2_S2_S2_EEvT3_20rocsparse_direction_NS_24const_host_device_scalarIT1_EES3_PKS3_PKT2_SC_S9_PKT4_PKT5_S7_PT6_21rocsparse_index_base_b.has_recursion, 0
	.set _ZN9rocsparseL18bsrxmvn_4x4_kernelILj128ELj16E21rocsparse_complex_numIfEliS2_S2_S2_EEvT3_20rocsparse_direction_NS_24const_host_device_scalarIT1_EES3_PKS3_PKT2_SC_S9_PKT4_PKT5_S7_PT6_21rocsparse_index_base_b.has_indirect_call, 0
	.section	.AMDGPU.csdata,"",@progbits
; Kernel info:
; codeLenInByte = 8068
; TotalNumSgprs: 18
; NumVgprs: 143
; ScratchSize: 0
; MemoryBound: 0
; FloatMode: 240
; IeeeMode: 1
; LDSByteSize: 0 bytes/workgroup (compile time only)
; SGPRBlocks: 0
; VGPRBlocks: 8
; NumSGPRsForWavesPerEU: 18
; NumVGPRsForWavesPerEU: 143
; NamedBarCnt: 0
; Occupancy: 7
; WaveLimiterHint : 1
; COMPUTE_PGM_RSRC2:SCRATCH_EN: 0
; COMPUTE_PGM_RSRC2:USER_SGPR: 2
; COMPUTE_PGM_RSRC2:TRAP_HANDLER: 0
; COMPUTE_PGM_RSRC2:TGID_X_EN: 1
; COMPUTE_PGM_RSRC2:TGID_Y_EN: 0
; COMPUTE_PGM_RSRC2:TGID_Z_EN: 0
; COMPUTE_PGM_RSRC2:TIDIG_COMP_CNT: 0
	.section	.text._ZN9rocsparseL18bsrxmvn_4x4_kernelILj128ELj32E21rocsparse_complex_numIfEliS2_S2_S2_EEvT3_20rocsparse_direction_NS_24const_host_device_scalarIT1_EES3_PKS3_PKT2_SC_S9_PKT4_PKT5_S7_PT6_21rocsparse_index_base_b,"axG",@progbits,_ZN9rocsparseL18bsrxmvn_4x4_kernelILj128ELj32E21rocsparse_complex_numIfEliS2_S2_S2_EEvT3_20rocsparse_direction_NS_24const_host_device_scalarIT1_EES3_PKS3_PKT2_SC_S9_PKT4_PKT5_S7_PT6_21rocsparse_index_base_b,comdat
	.globl	_ZN9rocsparseL18bsrxmvn_4x4_kernelILj128ELj32E21rocsparse_complex_numIfEliS2_S2_S2_EEvT3_20rocsparse_direction_NS_24const_host_device_scalarIT1_EES3_PKS3_PKT2_SC_S9_PKT4_PKT5_S7_PT6_21rocsparse_index_base_b ; -- Begin function _ZN9rocsparseL18bsrxmvn_4x4_kernelILj128ELj32E21rocsparse_complex_numIfEliS2_S2_S2_EEvT3_20rocsparse_direction_NS_24const_host_device_scalarIT1_EES3_PKS3_PKT2_SC_S9_PKT4_PKT5_S7_PT6_21rocsparse_index_base_b
	.p2align	8
	.type	_ZN9rocsparseL18bsrxmvn_4x4_kernelILj128ELj32E21rocsparse_complex_numIfEliS2_S2_S2_EEvT3_20rocsparse_direction_NS_24const_host_device_scalarIT1_EES3_PKS3_PKT2_SC_S9_PKT4_PKT5_S7_PT6_21rocsparse_index_base_b,@function
_ZN9rocsparseL18bsrxmvn_4x4_kernelILj128ELj32E21rocsparse_complex_numIfEliS2_S2_S2_EEvT3_20rocsparse_direction_NS_24const_host_device_scalarIT1_EES3_PKS3_PKT2_SC_S9_PKT4_PKT5_S7_PT6_21rocsparse_index_base_b: ; @_ZN9rocsparseL18bsrxmvn_4x4_kernelILj128ELj32E21rocsparse_complex_numIfEliS2_S2_S2_EEvT3_20rocsparse_direction_NS_24const_host_device_scalarIT1_EES3_PKS3_PKT2_SC_S9_PKT4_PKT5_S7_PT6_21rocsparse_index_base_b
; %bb.0:
	s_clause 0x2
	s_load_b64 s[12:13], s[0:1], 0x58
	s_load_b64 s[2:3], s[0:1], 0x8
	;; [unrolled: 1-line block ×3, first 2 shown]
	v_mov_b32_e32 v1, 0
	s_add_nc_u64 s[6:7], s[0:1], 8
	s_add_nc_u64 s[8:9], s[0:1], 0x48
	s_wait_kmcnt 0x0
	s_bitcmp1_b32 s13, 0
	s_cselect_b32 s3, s7, s3
	s_cselect_b32 s2, s6, s2
	;; [unrolled: 1-line block ×4, first 2 shown]
	s_clause 0x1
	flat_load_b64 v[2:3], v1, s[2:3]
	flat_load_b64 v[4:5], v1, s[4:5]
	s_wait_loadcnt_dscnt 0x101
	v_cmp_neq_f32_e32 vcc_lo, 0, v2
	v_cmp_neq_f32_e64 s3, 0, v3
	s_wait_loadcnt_dscnt 0x0
	v_cmp_neq_f32_e64 s4, 1.0, v4
	v_cmp_neq_f32_e64 s2, 0, v5
	s_or_b32 s5, vcc_lo, s3
	s_mov_b32 s3, 0
	s_or_b32 s4, s4, s2
	s_delay_alu instid0(SALU_CYCLE_1) | instskip(NEXT) | instid1(SALU_CYCLE_1)
	s_or_b32 s4, s5, s4
	s_and_saveexec_b32 s5, s4
	s_cbranch_execz .LBB33_6
; %bb.1:
	s_clause 0x1
	s_load_b64 s[4:5], s[0:1], 0x18
	s_load_b64 s[14:15], s[0:1], 0x0
	s_bfe_u32 s6, ttmp6, 0x4000c
	s_and_b32 s7, ttmp6, 15
	s_add_co_i32 s6, s6, 1
	s_getreg_b32 s8, hwreg(HW_REG_IB_STS2, 6, 4)
	s_mul_i32 s6, ttmp9, s6
	v_lshrrev_b32_e32 v1, 5, v0
	s_add_co_i32 s7, s7, s6
	s_cmp_eq_u32 s8, 0
	s_cselect_b32 s6, ttmp9, s7
	s_delay_alu instid0(VALU_DEP_1) | instid1(SALU_CYCLE_1)
	v_lshl_or_b32 v6, s6, 2, v1
	s_wait_kmcnt 0x0
	s_cmp_lg_u64 s[4:5], 0
	s_cbranch_scc0 .LBB33_7
; %bb.2:
	s_load_b32 s3, s[0:1], 0x10
	s_mov_b32 s6, 0
                                        ; implicit-def: $vgpr1
	s_wait_kmcnt 0x0
	v_cmp_gt_i32_e32 vcc_lo, s3, v6
	s_mov_b32 s3, 0
	s_and_saveexec_b32 s7, vcc_lo
	s_delay_alu instid0(SALU_CYCLE_1)
	s_xor_b32 s7, exec_lo, s7
	s_cbranch_execz .LBB33_4
; %bb.3:
	global_load_b32 v1, v6, s[4:5] scale_offset
	s_mov_b32 s3, exec_lo
	s_wait_loadcnt 0x0
	v_subrev_nc_u32_e32 v1, s12, v1
.LBB33_4:
	s_or_b32 exec_lo, exec_lo, s7
	s_delay_alu instid0(SALU_CYCLE_1)
	s_and_b32 vcc_lo, exec_lo, s6
	s_cbranch_vccz .LBB33_8
.LBB33_5:
	v_cmp_gt_i32_e32 vcc_lo, s14, v6
	s_and_not1_b32 s3, s3, exec_lo
	s_and_b32 s4, vcc_lo, exec_lo
	s_delay_alu instid0(SALU_CYCLE_1) | instskip(NEXT) | instid1(SALU_CYCLE_1)
	s_or_b32 s3, s3, s4
	s_and_b32 exec_lo, exec_lo, s3
	s_cbranch_execnz .LBB33_9
.LBB33_6:
	s_sendmsg sendmsg(MSG_DEALLOC_VGPRS)
	s_endpgm
.LBB33_7:
                                        ; implicit-def: $vgpr1
	s_cbranch_execnz .LBB33_5
.LBB33_8:
	s_delay_alu instid0(VALU_DEP_1)
	v_mov_b32_e32 v6, v1
	s_and_b32 exec_lo, exec_lo, s3
	s_cbranch_execz .LBB33_6
.LBB33_9:
	s_load_b256 s[4:11], s[0:1], 0x20
	s_mov_b32 s13, 0
	v_dual_mov_b32 v1, 0 :: v_dual_bitop2_b32 v0, 31, v0 bitop3:0x40
	s_wait_kmcnt 0x0
	s_cmp_eq_u64 s[6:7], 0
	global_load_b64 v[22:23], v6, s[4:5] scale_offset
	s_cselect_b32 vcc_lo, -1, 0
	v_ashrrev_i32_e32 v7, 31, v6
	s_cmp_eq_u32 s15, 1
	s_delay_alu instid0(VALU_DEP_1) | instskip(NEXT) | instid1(VALU_DEP_1)
	v_lshlrev_b64_e32 v[8:9], 3, v[6:7]
	v_add_nc_u64_e32 v[10:11], s[4:5], v[8:9]
	v_add_nc_u64_e32 v[8:9], s[6:7], v[8:9]
	s_wait_xcnt 0x0
	s_load_b64 s[4:5], s[0:1], 0x40
	s_delay_alu instid0(VALU_DEP_2) | instskip(NEXT) | instid1(VALU_DEP_1)
	v_add_nc_u64_e32 v[10:11], 8, v[10:11]
	v_dual_cndmask_b32 v9, v9, v11 :: v_dual_cndmask_b32 v8, v8, v10
	global_load_b64 v[10:11], v[8:9], off
	s_wait_loadcnt 0x1
	s_wait_xcnt 0x0
	v_sub_nc_u64_e64 v[8:9], v[22:23], s[12:13]
	s_delay_alu instid0(VALU_DEP_1) | instskip(NEXT) | instid1(VALU_DEP_1)
	v_add_nc_u64_e32 v[8:9], v[8:9], v[0:1]
	v_lshlrev_b64_e32 v[12:13], 7, v[8:9]
	s_delay_alu instid0(VALU_DEP_1) | instskip(SKIP_2) | instid1(VALU_DEP_1)
	v_add_nc_u64_e32 v[12:13], s[10:11], v[12:13]
	s_wait_loadcnt 0x0
	v_sub_nc_u64_e64 v[10:11], v[10:11], s[12:13]
	v_cmp_lt_i64_e64 s3, v[8:9], v[10:11]
	s_cbranch_scc1 .LBB33_21
; %bb.10:
	v_dual_mov_b32 v21, v1 :: v_dual_mov_b32 v20, v1
	v_dual_mov_b32 v17, v1 :: v_dual_mov_b32 v16, v1
	;; [unrolled: 1-line block ×4, first 2 shown]
	s_and_saveexec_b32 s6, s3
	s_cbranch_execz .LBB33_20
; %bb.11:
	v_dual_mov_b32 v15, v1 :: v_dual_bitop2_b32 v14, 32, v0 bitop3:0x54
	v_sub_nc_u64_e32 v[16:17], s[12:13], v[0:1]
	v_not_b32_e32 v19, v23
	v_not_b32_e32 v18, v22
	v_mov_b64_e32 v[26:27], v[12:13]
	v_sub_nc_u64_e64 v[14:15], v[14:15], s[12:13]
	v_mov_b64_e32 v[24:25], v[8:9]
	s_delay_alu instid0(VALU_DEP_4) | instskip(NEXT) | instid1(VALU_DEP_3)
	v_add_nc_u64_e32 v[16:17], v[16:17], v[18:19]
	v_add_nc_u64_e32 v[14:15], v[14:15], v[22:23]
	s_delay_alu instid0(VALU_DEP_1) | instskip(NEXT) | instid1(VALU_DEP_1)
	v_max_i64 v[14:15], v[14:15], v[10:11]
	v_add_nc_u64_e32 v[28:29], v[16:17], v[14:15]
	v_mov_b32_e32 v15, 0
	s_delay_alu instid0(VALU_DEP_1) | instskip(NEXT) | instid1(VALU_DEP_3)
	v_dual_mov_b32 v19, v15 :: v_dual_mov_b32 v18, v15
	v_and_b32_e32 v14, 0x60, v28
	v_dual_mov_b32 v17, v15 :: v_dual_mov_b32 v16, v15
	v_dual_mov_b32 v20, v15 :: v_dual_mov_b32 v21, v15
	s_delay_alu instid0(VALU_DEP_3)
	v_cmp_ne_u64_e32 vcc_lo, 0x60, v[14:15]
	v_mov_b32_e32 v14, v15
	s_and_saveexec_b32 s7, vcc_lo
	s_cbranch_execz .LBB33_15
; %bb.12:
	v_dual_lshrrev_b32 v7, 5, v28 :: v_dual_mov_b32 v15, 0
	v_mov_b64_e32 v[24:25], v[8:9]
	v_mov_b64_e32 v[26:27], v[12:13]
	v_lshl_add_u64 v[30:31], v[8:9], 2, s[8:9]
	s_delay_alu instid0(VALU_DEP_4) | instskip(SKIP_1) | instid1(VALU_DEP_2)
	v_dual_mov_b32 v18, v15 :: v_dual_add_nc_u32 v7, 1, v7
	v_dual_mov_b32 v16, v15 :: v_dual_mov_b32 v17, v15
	v_dual_mov_b32 v20, v15 :: v_dual_bitop2_b32 v14, 3, v7 bitop3:0x40
	v_dual_mov_b32 v19, v15 :: v_dual_mov_b32 v21, v15
	s_mov_b32 s10, 0
	s_delay_alu instid0(VALU_DEP_2)
	v_sub_nc_u64_e32 v[32:33], 0, v[14:15]
	v_mov_b32_e32 v14, v15
.LBB33_13:                              ; =>This Inner Loop Header: Depth=1
	global_load_b32 v7, v[30:31], off
	s_clause 0x6
	global_load_b128 v[34:37], v[26:27], off offset:48
	global_load_b128 v[38:41], v[26:27], off offset:32
	;; [unrolled: 1-line block ×3, first 2 shown]
	global_load_b128 v[46:49], v[26:27], off
	global_load_b128 v[54:57], v[26:27], off offset:80
	global_load_b128 v[58:61], v[26:27], off offset:64
	;; [unrolled: 1-line block ×3, first 2 shown]
	v_add_nc_u64_e32 v[32:33], 1, v[32:33]
	v_add_nc_u64_e32 v[24:25], 32, v[24:25]
	s_wait_xcnt 0x7
	v_add_nc_u64_e32 v[30:31], 0x80, v[30:31]
	s_delay_alu instid0(VALU_DEP_3)
	v_cmp_eq_u64_e32 vcc_lo, 0, v[32:33]
	s_or_b32 s10, vcc_lo, s10
	s_wait_loadcnt 0x7
	v_subrev_nc_u32_e32 v7, s12, v7
	s_wait_loadcnt 0x6
	v_xor_b32_e32 v80, 0x80000000, v37
	s_wait_loadcnt 0x5
	v_xor_b32_e32 v78, 0x80000000, v41
	v_dual_mov_b32 v79, v40 :: v_dual_mov_b32 v81, v36
	v_lshlrev_b32_e32 v62, 2, v7
	s_wait_loadcnt 0x1
	v_xor_b32_e32 v82, 0x80000000, v61
	v_xor_b32_e32 v76, 0x80000000, v45
	v_xor_b32_e32 v84, 0x80000000, v57
	v_dual_mov_b32 v77, v44 :: v_dual_ashrrev_i32 v63, 31, v62
	v_mov_b32_e32 v85, v56
	s_wait_kmcnt 0x0
	s_delay_alu instid0(VALU_DEP_2)
	v_lshl_add_u64 v[74:75], v[62:63], 3, s[4:5]
	global_load_b128 v[62:65], v[26:27], off offset:96
	s_clause 0x1
	global_load_b128 v[66:69], v[74:75], off
	global_load_b128 v[70:73], v[74:75], off offset:16
	s_wait_xcnt 0x0
	v_xor_b32_e32 v74, 0x80000000, v49
	v_dual_mov_b32 v75, v48 :: v_dual_mov_b32 v83, v60
	v_add_nc_u64_e32 v[26:27], 0x1000, v[26:27]
	s_wait_loadcnt 0x2
	v_xor_b32_e32 v86, 0x80000000, v65
	s_wait_loadcnt 0x1
	v_pk_fma_f32 v[20:21], v[46:47], v[66:67], v[20:21] op_sel_hi:[1,0,1]
	v_pk_fma_f32 v[14:15], v[38:39], v[66:67], v[14:15] op_sel_hi:[1,0,1]
	;; [unrolled: 1-line block ×4, first 2 shown]
	v_mov_b32_e32 v87, v64
	v_pk_fma_f32 v[20:21], v[46:47], v[66:67], v[20:21] op_sel:[1,1,0] op_sel_hi:[0,1,1] neg_lo:[1,0,0]
	v_pk_fma_f32 v[14:15], v[38:39], v[66:67], v[14:15] op_sel:[1,1,0] op_sel_hi:[0,1,1] neg_lo:[1,0,0]
	v_pk_fma_f32 v[18:19], v[58:59], v[66:67], v[18:19] op_sel:[1,1,0] op_sel_hi:[0,1,1] neg_lo:[1,0,0]
	v_pk_fma_f32 v[16:17], v[62:63], v[66:67], v[16:17] op_sel:[1,1,0] op_sel_hi:[0,1,1] neg_lo:[1,0,0]
	v_mov_b32_e32 v38, v69
	v_pk_fma_f32 v[20:21], v[48:49], v[68:69], v[20:21] op_sel_hi:[1,0,1]
	v_pk_fma_f32 v[14:15], v[40:41], v[68:69], v[14:15] op_sel_hi:[1,0,1]
	v_pk_fma_f32 v[18:19], v[60:61], v[68:69], v[18:19] op_sel_hi:[1,0,1]
	v_pk_fma_f32 v[16:17], v[64:65], v[68:69], v[16:17] op_sel_hi:[1,0,1]
	s_delay_alu instid0(VALU_DEP_4) | instskip(NEXT) | instid1(VALU_DEP_4)
	v_pk_fma_f32 v[20:21], v[74:75], v[38:39], v[20:21] op_sel_hi:[1,0,1]
	v_pk_fma_f32 v[14:15], v[78:79], v[38:39], v[14:15] op_sel_hi:[1,0,1]
	s_delay_alu instid0(VALU_DEP_4) | instskip(NEXT) | instid1(VALU_DEP_4)
	v_pk_fma_f32 v[18:19], v[82:83], v[38:39], v[18:19] op_sel_hi:[1,0,1]
	v_pk_fma_f32 v[16:17], v[86:87], v[38:39], v[16:17] op_sel_hi:[1,0,1]
	v_xor_b32_e32 v38, 0x80000000, v53
	s_wait_loadcnt 0x0
	v_pk_fma_f32 v[20:21], v[42:43], v[70:71], v[20:21] op_sel_hi:[1,0,1]
	v_pk_fma_f32 v[14:15], v[34:35], v[70:71], v[14:15] op_sel_hi:[1,0,1]
	;; [unrolled: 1-line block ×4, first 2 shown]
	v_mov_b32_e32 v39, v52
	v_pk_fma_f32 v[20:21], v[42:43], v[70:71], v[20:21] op_sel:[1,1,0] op_sel_hi:[0,1,1] neg_lo:[1,0,0]
	v_pk_fma_f32 v[14:15], v[34:35], v[70:71], v[14:15] op_sel:[1,1,0] op_sel_hi:[0,1,1] neg_lo:[1,0,0]
	;; [unrolled: 1-line block ×4, first 2 shown]
	v_mov_b32_e32 v34, v73
	v_pk_fma_f32 v[20:21], v[44:45], v[72:73], v[20:21] op_sel_hi:[1,0,1]
	v_pk_fma_f32 v[14:15], v[36:37], v[72:73], v[14:15] op_sel_hi:[1,0,1]
	;; [unrolled: 1-line block ×4, first 2 shown]
	s_delay_alu instid0(VALU_DEP_4) | instskip(NEXT) | instid1(VALU_DEP_4)
	v_pk_fma_f32 v[20:21], v[76:77], v[34:35], v[20:21] op_sel_hi:[1,0,1]
	v_pk_fma_f32 v[14:15], v[80:81], v[34:35], v[14:15] op_sel_hi:[1,0,1]
	s_delay_alu instid0(VALU_DEP_4) | instskip(NEXT) | instid1(VALU_DEP_4)
	v_pk_fma_f32 v[18:19], v[84:85], v[34:35], v[18:19] op_sel_hi:[1,0,1]
	v_pk_fma_f32 v[16:17], v[38:39], v[34:35], v[16:17] op_sel_hi:[1,0,1]
	s_and_not1_b32 exec_lo, exec_lo, s10
	s_cbranch_execnz .LBB33_13
; %bb.14:
	s_or_b32 exec_lo, exec_lo, s10
.LBB33_15:
	s_delay_alu instid0(SALU_CYCLE_1) | instskip(NEXT) | instid1(SALU_CYCLE_1)
	s_or_b32 exec_lo, exec_lo, s7
	s_mov_b32 s7, exec_lo
	v_cmpx_lt_u64_e32 0x5f, v[28:29]
	s_cbranch_execz .LBB33_19
; %bb.16:
	v_lshl_add_u64 v[28:29], v[24:25], 2, s[8:9]
	s_mov_b32 s10, 0
	s_delay_alu instid0(VALU_DEP_1)
	v_add_nc_u64_e32 v[28:29], 0x100, v[28:29]
.LBB33_17:                              ; =>This Inner Loop Header: Depth=1
	global_load_b32 v7, v[28:29], off offset:-256
	s_clause 0xf
	global_load_b128 v[30:33], v[26:27], off
	global_load_b128 v[34:37], v[26:27], off offset:16
	global_load_b128 v[38:41], v[26:27], off offset:48
	;; [unrolled: 1-line block ×15, first 2 shown]
	s_clause 0x2
	global_load_b32 v140, v[28:29], off offset:-128
	global_load_b32 v141, v[28:29], off
	global_load_b32 v142, v[28:29], off offset:128
	s_clause 0x6
	global_load_b128 v[94:97], v[26:27], off offset:8240
	global_load_b128 v[98:101], v[26:27], off offset:8224
	;; [unrolled: 1-line block ×7, first 2 shown]
	v_add_nc_u64_e32 v[24:25], 0x80, v[24:25]
	s_wait_xcnt 0x7
	v_add_nc_u64_e32 v[28:29], 0x200, v[28:29]
	s_delay_alu instid0(VALU_DEP_2)
	v_cmp_ge_i64_e32 vcc_lo, v[24:25], v[10:11]
	s_or_b32 s10, vcc_lo, s10
	s_wait_loadcnt 0x1a
	v_subrev_nc_u32_e32 v7, s12, v7
	s_wait_loadcnt 0x19
	v_mov_b32_e32 v131, v32
	v_xor_b32_e32 v130, 0x80000000, v33
	s_wait_loadcnt 0x16
	v_xor_b32_e32 v134, 0x80000000, v45
	v_dual_mov_b32 v135, v44 :: v_dual_lshlrev_b32 v122, 2, v7
	s_delay_alu instid0(VALU_DEP_1)
	v_ashrrev_i32_e32 v123, 31, v122
	s_wait_loadcnt 0xe
	v_xor_b32_e32 v138, 0x80000000, v77
	v_mov_b32_e32 v139, v76
	s_wait_kmcnt 0x0
	v_lshl_add_u64 v[132:133], v[122:123], 3, s[4:5]
	s_clause 0x1
	global_load_b128 v[122:125], v[132:133], off
	global_load_b128 v[126:129], v[132:133], off offset:16
	s_wait_loadcnt 0xb
	v_subrev_nc_u32_e32 v7, s12, v140
	s_wait_loadcnt 0x1
	v_pk_fma_f32 v[14:15], v[42:43], v[122:123], v[14:15] op_sel_hi:[1,0,1]
	v_pk_fma_f32 v[20:21], v[30:31], v[122:123], v[20:21] op_sel_hi:[1,0,1]
	s_delay_alu instid0(VALU_DEP_2) | instskip(NEXT) | instid1(VALU_DEP_2)
	v_pk_fma_f32 v[14:15], v[42:43], v[122:123], v[14:15] op_sel:[1,1,0] op_sel_hi:[0,1,1] neg_lo:[1,0,0]
	v_pk_fma_f32 v[20:21], v[30:31], v[122:123], v[20:21] op_sel:[1,1,0] op_sel_hi:[0,1,1] neg_lo:[1,0,0]
	s_delay_alu instid0(VALU_DEP_2) | instskip(SKIP_2) | instid1(VALU_DEP_3)
	v_pk_fma_f32 v[136:137], v[44:45], v[124:125], v[14:15] op_sel_hi:[1,0,1]
	v_pk_fma_f32 v[14:15], v[74:75], v[122:123], v[18:19] op_sel_hi:[1,0,1]
	s_wait_xcnt 0x0
	v_pk_fma_f32 v[132:133], v[32:33], v[124:125], v[20:21] op_sel_hi:[1,0,1]
	s_clause 0x2
	global_load_b128 v[30:33], v[26:27], off offset:8256
	global_load_b128 v[18:21], v[26:27], off offset:12336
	;; [unrolled: 1-line block ×3, first 2 shown]
	v_pk_fma_f32 v[14:15], v[74:75], v[122:123], v[14:15] op_sel:[1,1,0] op_sel_hi:[0,1,1] neg_lo:[1,0,0]
	s_delay_alu instid0(VALU_DEP_1) | instskip(SKIP_3) | instid1(VALU_DEP_3)
	v_pk_fma_f32 v[74:75], v[76:77], v[124:125], v[14:15] op_sel_hi:[1,0,1]
	v_pk_fma_f32 v[14:15], v[66:67], v[122:123], v[16:17] op_sel_hi:[1,0,1]
	v_xor_b32_e32 v76, 0x80000000, v69
	v_mov_b32_e32 v77, v68
	v_pk_fma_f32 v[14:15], v[66:67], v[122:123], v[14:15] op_sel:[1,1,0] op_sel_hi:[0,1,1] neg_lo:[1,0,0]
	s_delay_alu instid0(VALU_DEP_1)
	v_pk_fma_f32 v[122:123], v[68:69], v[124:125], v[14:15] op_sel_hi:[1,0,1]
	v_mov_b32_e32 v124, v125
	s_clause 0x1
	global_load_b128 v[14:17], v[26:27], off offset:12320
	global_load_b128 v[66:69], v[26:27], off offset:12288
	v_pk_fma_f32 v[76:77], v[76:77], v[124:125], v[122:123] op_sel_hi:[1,0,1]
	v_mov_b32_e32 v123, v36
	v_pk_fma_f32 v[130:131], v[130:131], v[124:125], v[132:133] op_sel_hi:[1,0,1]
	v_pk_fma_f32 v[132:133], v[134:135], v[124:125], v[136:137] op_sel_hi:[1,0,1]
	;; [unrolled: 1-line block ×3, first 2 shown]
	v_xor_b32_e32 v122, 0x80000000, v37
	v_xor_b32_e32 v134, 0x80000000, v73
	s_wait_loadcnt 0x5
	v_pk_fma_f32 v[124:125], v[34:35], v[126:127], v[130:131] op_sel_hi:[1,0,1]
	v_pk_fma_f32 v[132:133], v[38:39], v[126:127], v[132:133] op_sel_hi:[1,0,1]
	v_mov_b32_e32 v137, v52
	v_xor_b32_e32 v130, 0x80000000, v41
	v_dual_mov_b32 v131, v40 :: v_dual_mov_b32 v135, v72
	s_delay_alu instid0(VALU_DEP_4) | instskip(SKIP_2) | instid1(VALU_DEP_3)
	v_pk_fma_f32 v[38:39], v[38:39], v[126:127], v[132:133] op_sel:[1,1,0] op_sel_hi:[0,1,1] neg_lo:[1,0,0]
	v_pk_fma_f32 v[34:35], v[34:35], v[126:127], v[124:125] op_sel:[1,1,0] op_sel_hi:[0,1,1] neg_lo:[1,0,0]
	v_xor_b32_e32 v136, 0x80000000, v53
	v_pk_fma_f32 v[132:133], v[40:41], v[128:129], v[38:39] op_sel_hi:[1,0,1]
	v_pk_fma_f32 v[38:39], v[70:71], v[126:127], v[74:75] op_sel_hi:[1,0,1]
	;; [unrolled: 1-line block ×4, first 2 shown]
	v_subrev_nc_u32_e32 v77, s12, v142
	global_load_b128 v[34:37], v[26:27], off offset:12384
	v_pk_fma_f32 v[38:39], v[70:71], v[126:127], v[38:39] op_sel:[1,1,0] op_sel_hi:[0,1,1] neg_lo:[1,0,0]
	v_pk_fma_f32 v[62:63], v[62:63], v[126:127], v[74:75] op_sel:[1,1,0] op_sel_hi:[0,1,1] neg_lo:[1,0,0]
	v_mov_b32_e32 v127, v60
	v_xor_b32_e32 v126, 0x80000000, v61
	s_delay_alu instid0(VALU_DEP_4)
	v_pk_fma_f32 v[70:71], v[72:73], v[128:129], v[38:39] op_sel_hi:[1,0,1]
	v_mov_b32_e32 v73, v64
	v_pk_fma_f32 v[62:63], v[64:65], v[128:129], v[62:63] op_sel_hi:[1,0,1]
	v_mov_b32_e32 v64, v129
	v_xor_b32_e32 v72, 0x80000000, v65
	global_load_b128 v[38:41], v[26:27], off offset:12352
	v_mov_b32_e32 v129, v92
	v_xor_b32_e32 v128, 0x80000000, v93
	v_pk_fma_f32 v[74:75], v[122:123], v[64:65], v[124:125] op_sel_hi:[1,0,1]
	v_subrev_nc_u32_e32 v65, s12, v141
	v_lshlrev_b32_e32 v76, 2, v7
	v_xor_b32_e32 v122, 0x80000000, v85
	v_mov_b32_e32 v123, v84
	s_delay_alu instid0(VALU_DEP_4) | instskip(SKIP_4) | instid1(VALU_DEP_3)
	v_pk_fma_f32 v[124:125], v[130:131], v[64:65], v[132:133] op_sel_hi:[1,0,1]
	v_lshlrev_b32_e32 v130, 2, v65
	v_dual_lshlrev_b32 v132, 2, v77 :: v_dual_ashrrev_i32 v77, 31, v76
	v_pk_fma_f32 v[134:135], v[134:135], v[64:65], v[70:71] op_sel_hi:[1,0,1]
	v_pk_fma_f32 v[138:139], v[72:73], v[64:65], v[62:63] op_sel_hi:[1,0,1]
	v_dual_ashrrev_i32 v131, 31, v130 :: v_dual_ashrrev_i32 v133, 31, v132
	s_delay_alu instid0(VALU_DEP_4)
	v_lshl_add_u64 v[76:77], v[76:77], 3, s[4:5]
	s_clause 0x1
	global_load_b128 v[62:65], v[76:77], off
	global_load_b128 v[70:73], v[76:77], off offset:16
	s_wait_xcnt 0x0
	v_lshl_add_u64 v[76:77], v[130:131], 3, s[4:5]
	v_lshl_add_u64 v[130:131], v[132:133], 3, s[4:5]
	s_wait_loadcnt 0x1
	v_pk_fma_f32 v[74:75], v[58:59], v[62:63], v[74:75] op_sel_hi:[1,0,1]
	v_mov_b32_e32 v140, v65
	s_delay_alu instid0(VALU_DEP_2) | instskip(SKIP_1) | instid1(VALU_DEP_2)
	v_pk_fma_f32 v[58:59], v[58:59], v[62:63], v[74:75] op_sel:[1,1,0] op_sel_hi:[0,1,1] neg_lo:[1,0,0]
	v_pk_fma_f32 v[74:75], v[50:51], v[62:63], v[124:125] op_sel_hi:[1,0,1]
	v_pk_fma_f32 v[132:133], v[60:61], v[64:65], v[58:59] op_sel_hi:[1,0,1]
	global_load_b128 v[58:61], v[76:77], off
	v_pk_fma_f32 v[50:51], v[50:51], v[62:63], v[74:75] op_sel:[1,1,0] op_sel_hi:[0,1,1] neg_lo:[1,0,0]
	v_pk_fma_f32 v[74:75], v[90:91], v[62:63], v[134:135] op_sel_hi:[1,0,1]
	s_delay_alu instid0(VALU_DEP_2) | instskip(SKIP_3) | instid1(VALU_DEP_2)
	v_pk_fma_f32 v[124:125], v[52:53], v[64:65], v[50:51] op_sel_hi:[1,0,1]
	global_load_b128 v[50:53], v[76:77], off offset:16
	v_pk_fma_f32 v[74:75], v[90:91], v[62:63], v[74:75] op_sel:[1,1,0] op_sel_hi:[0,1,1] neg_lo:[1,0,0]
	v_pk_fma_f32 v[90:91], v[82:83], v[62:63], v[138:139] op_sel_hi:[1,0,1]
	v_pk_fma_f32 v[134:135], v[92:93], v[64:65], v[74:75] op_sel_hi:[1,0,1]
	global_load_b128 v[74:77], v[130:131], off
	v_pk_fma_f32 v[62:63], v[82:83], v[62:63], v[90:91] op_sel:[1,1,0] op_sel_hi:[0,1,1] neg_lo:[1,0,0]
	global_load_b128 v[90:93], v[130:131], off offset:16
	s_wait_xcnt 0x0
	v_mov_b32_e32 v131, v56
	v_pk_fma_f32 v[126:127], v[126:127], v[140:141], v[132:133] op_sel_hi:[1,0,1]
	v_pk_fma_f32 v[124:125], v[136:137], v[140:141], v[124:125] op_sel_hi:[1,0,1]
	v_pk_fma_f32 v[138:139], v[84:85], v[64:65], v[62:63] op_sel_hi:[1,0,1]
	s_clause 0x1
	global_load_b128 v[82:85], v[26:27], off offset:12368
	global_load_b128 v[62:65], v[26:27], off offset:12400
	v_pk_fma_f32 v[128:129], v[128:129], v[140:141], v[134:135] op_sel_hi:[1,0,1]
	s_wait_loadcnt 0x6
	v_pk_fma_f32 v[126:127], v[54:55], v[70:71], v[126:127] op_sel_hi:[1,0,1]
	v_pk_fma_f32 v[122:123], v[122:123], v[140:141], v[138:139] op_sel_hi:[1,0,1]
	;; [unrolled: 1-line block ×3, first 2 shown]
	v_xor_b32_e32 v130, 0x80000000, v57
	v_pk_fma_f32 v[128:129], v[86:87], v[70:71], v[128:129] op_sel_hi:[1,0,1]
	v_pk_fma_f32 v[54:55], v[54:55], v[70:71], v[126:127] op_sel:[1,1,0] op_sel_hi:[0,1,1] neg_lo:[1,0,0]
	v_pk_fma_f32 v[122:123], v[78:79], v[70:71], v[122:123] op_sel_hi:[1,0,1]
	v_pk_fma_f32 v[46:47], v[46:47], v[70:71], v[124:125] op_sel:[1,1,0] op_sel_hi:[0,1,1] neg_lo:[1,0,0]
	v_xor_b32_e32 v132, 0x80000000, v49
	v_pk_fma_f32 v[86:87], v[86:87], v[70:71], v[128:129] op_sel:[1,1,0] op_sel_hi:[0,1,1] neg_lo:[1,0,0]
	v_dual_mov_b32 v133, v48 :: v_dual_mov_b32 v135, v88
	v_pk_fma_f32 v[70:71], v[78:79], v[70:71], v[122:123] op_sel:[1,1,0] op_sel_hi:[0,1,1] neg_lo:[1,0,0]
	v_xor_b32_e32 v134, 0x80000000, v89
	v_xor_b32_e32 v136, 0x80000000, v81
	v_mov_b32_e32 v137, v80
	v_pk_fma_f32 v[54:55], v[56:57], v[72:73], v[54:55] op_sel_hi:[1,0,1]
	v_pk_fma_f32 v[46:47], v[48:49], v[72:73], v[46:47] op_sel_hi:[1,0,1]
	;; [unrolled: 1-line block ×4, first 2 shown]
	v_dual_mov_b32 v81, v96 :: v_dual_mov_b32 v72, v73
	v_mov_b32_e32 v57, v108
	v_xor_b32_e32 v56, 0x80000000, v109
	v_xor_b32_e32 v126, 0x80000000, v101
	v_dual_mov_b32 v127, v100 :: v_dual_mov_b32 v49, v32
	v_pk_fma_f32 v[54:55], v[130:131], v[72:73], v[54:55] op_sel_hi:[1,0,1]
	v_pk_fma_f32 v[46:47], v[132:133], v[72:73], v[46:47] op_sel_hi:[1,0,1]
	;; [unrolled: 1-line block ×4, first 2 shown]
	v_xor_b32_e32 v48, 0x80000000, v33
	v_xor_b32_e32 v124, 0x80000000, v117
	v_dual_mov_b32 v125, v116 :: v_dual_mov_b32 v89, v104
	v_mov_b32_e32 v133, v120
	v_xor_b32_e32 v88, 0x80000000, v105
	v_xor_b32_e32 v80, 0x80000000, v97
	;; [unrolled: 1-line block ×4, first 2 shown]
	v_dual_mov_b32 v129, v68 :: v_dual_mov_b32 v79, v44
	v_xor_b32_e32 v122, 0x80000000, v17
	v_dual_mov_b32 v123, v16 :: v_dual_mov_b32 v131, v20
	v_xor_b32_e32 v78, 0x80000000, v45
	v_xor_b32_e32 v130, 0x80000000, v21
	s_wait_xcnt 0x0
	v_add_nc_u64_e32 v[26:27], 0x4000, v[26:27]
	s_wait_loadcnt 0x5
	v_pk_fma_f32 v[54:55], v[106:107], v[58:59], v[54:55] op_sel_hi:[1,0,1]
	v_pk_fma_f32 v[46:47], v[98:99], v[58:59], v[46:47] op_sel_hi:[1,0,1]
	;; [unrolled: 1-line block ×4, first 2 shown]
	v_mov_b32_e32 v87, v40
	v_pk_fma_f32 v[54:55], v[106:107], v[58:59], v[54:55] op_sel:[1,1,0] op_sel_hi:[0,1,1] neg_lo:[1,0,0]
	v_pk_fma_f32 v[46:47], v[98:99], v[58:59], v[46:47] op_sel:[1,1,0] op_sel_hi:[0,1,1] neg_lo:[1,0,0]
	;; [unrolled: 1-line block ×4, first 2 shown]
	v_mov_b32_e32 v70, v61
	v_pk_fma_f32 v[54:55], v[108:109], v[60:61], v[54:55] op_sel_hi:[1,0,1]
	v_pk_fma_f32 v[46:47], v[100:101], v[60:61], v[46:47] op_sel_hi:[1,0,1]
	;; [unrolled: 1-line block ×4, first 2 shown]
	v_xor_b32_e32 v86, 0x80000000, v41
	v_pk_fma_f32 v[54:55], v[56:57], v[70:71], v[54:55] op_sel_hi:[1,0,1]
	v_pk_fma_f32 v[46:47], v[126:127], v[70:71], v[46:47] op_sel_hi:[1,0,1]
	;; [unrolled: 1-line block ×4, first 2 shown]
	v_xor_b32_e32 v48, 0x80000000, v113
	s_wait_loadcnt 0x4
	v_pk_fma_f32 v[54:55], v[102:103], v[50:51], v[54:55] op_sel_hi:[1,0,1]
	v_pk_fma_f32 v[46:47], v[94:95], v[50:51], v[46:47] op_sel_hi:[1,0,1]
	;; [unrolled: 1-line block ×4, first 2 shown]
	v_mov_b32_e32 v49, v112
	v_pk_fma_f32 v[54:55], v[102:103], v[50:51], v[54:55] op_sel:[1,1,0] op_sel_hi:[0,1,1] neg_lo:[1,0,0]
	v_pk_fma_f32 v[46:47], v[94:95], v[50:51], v[46:47] op_sel:[1,1,0] op_sel_hi:[0,1,1] neg_lo:[1,0,0]
	;; [unrolled: 1-line block ×4, first 2 shown]
	v_mov_b32_e32 v50, v53
	v_pk_fma_f32 v[54:55], v[104:105], v[52:53], v[54:55] op_sel_hi:[1,0,1]
	v_pk_fma_f32 v[46:47], v[96:97], v[52:53], v[46:47] op_sel_hi:[1,0,1]
	;; [unrolled: 1-line block ×4, first 2 shown]
	s_wait_loadcnt 0x1
	v_mov_b32_e32 v53, v84
	v_xor_b32_e32 v52, 0x80000000, v85
	s_delay_alu instid0(VALU_DEP_3)
	v_pk_fma_f32 v[32:33], v[48:49], v[50:51], v[32:33] op_sel_hi:[1,0,1]
	v_mov_b32_e32 v49, v36
	v_pk_fma_f32 v[54:55], v[88:89], v[50:51], v[54:55] op_sel_hi:[1,0,1]
	v_pk_fma_f32 v[46:47], v[80:81], v[50:51], v[46:47] op_sel_hi:[1,0,1]
	;; [unrolled: 1-line block ×4, first 2 shown]
	v_xor_b32_e32 v48, 0x80000000, v37
	v_pk_fma_f32 v[50:51], v[66:67], v[74:75], v[54:55] op_sel_hi:[1,0,1]
	v_pk_fma_f32 v[46:47], v[14:15], v[74:75], v[46:47] op_sel_hi:[1,0,1]
	;; [unrolled: 1-line block ×3, first 2 shown]
	v_pk_fma_f32 v[32:33], v[34:35], v[74:75], v[32:33] op_sel:[1,1,0] op_sel_hi:[0,1,1] neg_lo:[1,0,0]
	v_mov_b32_e32 v34, v77
	v_pk_fma_f32 v[50:51], v[66:67], v[74:75], v[50:51] op_sel:[1,1,0] op_sel_hi:[0,1,1] neg_lo:[1,0,0]
	v_pk_fma_f32 v[14:15], v[14:15], v[74:75], v[46:47] op_sel:[1,1,0] op_sel_hi:[0,1,1] neg_lo:[1,0,0]
	;; [unrolled: 1-line block ×3, first 2 shown]
	s_delay_alu instid0(VALU_DEP_3) | instskip(NEXT) | instid1(VALU_DEP_3)
	v_pk_fma_f32 v[38:39], v[68:69], v[76:77], v[50:51] op_sel_hi:[1,0,1]
	v_pk_fma_f32 v[14:15], v[16:17], v[76:77], v[14:15] op_sel_hi:[1,0,1]
	s_delay_alu instid0(VALU_DEP_3) | instskip(SKIP_1) | instid1(VALU_DEP_4)
	v_pk_fma_f32 v[16:17], v[40:41], v[76:77], v[30:31] op_sel_hi:[1,0,1]
	v_pk_fma_f32 v[30:31], v[36:37], v[76:77], v[32:33] op_sel_hi:[1,0,1]
	;; [unrolled: 1-line block ×3, first 2 shown]
	s_delay_alu instid0(VALU_DEP_4) | instskip(NEXT) | instid1(VALU_DEP_4)
	v_pk_fma_f32 v[14:15], v[122:123], v[34:35], v[14:15] op_sel_hi:[1,0,1]
	v_pk_fma_f32 v[16:17], v[86:87], v[34:35], v[16:17] op_sel_hi:[1,0,1]
	s_delay_alu instid0(VALU_DEP_4)
	v_pk_fma_f32 v[30:31], v[48:49], v[34:35], v[30:31] op_sel_hi:[1,0,1]
	s_wait_loadcnt 0x0
	v_xor_b32_e32 v34, 0x80000000, v65
	v_pk_fma_f32 v[32:33], v[42:43], v[90:91], v[32:33] op_sel_hi:[1,0,1]
	v_pk_fma_f32 v[14:15], v[18:19], v[90:91], v[14:15] op_sel_hi:[1,0,1]
	;; [unrolled: 1-line block ×4, first 2 shown]
	v_mov_b32_e32 v35, v64
	v_pk_fma_f32 v[32:33], v[42:43], v[90:91], v[32:33] op_sel:[1,1,0] op_sel_hi:[0,1,1] neg_lo:[1,0,0]
	v_pk_fma_f32 v[14:15], v[18:19], v[90:91], v[14:15] op_sel:[1,1,0] op_sel_hi:[0,1,1] neg_lo:[1,0,0]
	;; [unrolled: 1-line block ×4, first 2 shown]
	v_mov_b32_e32 v30, v93
	v_pk_fma_f32 v[32:33], v[44:45], v[92:93], v[32:33] op_sel_hi:[1,0,1]
	v_pk_fma_f32 v[14:15], v[20:21], v[92:93], v[14:15] op_sel_hi:[1,0,1]
	;; [unrolled: 1-line block ×4, first 2 shown]
	s_delay_alu instid0(VALU_DEP_4) | instskip(NEXT) | instid1(VALU_DEP_4)
	v_pk_fma_f32 v[20:21], v[78:79], v[30:31], v[32:33] op_sel_hi:[1,0,1]
	v_pk_fma_f32 v[14:15], v[130:131], v[30:31], v[14:15] op_sel_hi:[1,0,1]
	s_delay_alu instid0(VALU_DEP_4) | instskip(NEXT) | instid1(VALU_DEP_4)
	v_pk_fma_f32 v[18:19], v[52:53], v[30:31], v[16:17] op_sel_hi:[1,0,1]
	v_pk_fma_f32 v[16:17], v[34:35], v[30:31], v[36:37] op_sel_hi:[1,0,1]
	s_and_not1_b32 exec_lo, exec_lo, s10
	s_cbranch_execnz .LBB33_17
; %bb.18:
	s_or_b32 exec_lo, exec_lo, s10
.LBB33_19:
	s_delay_alu instid0(SALU_CYCLE_1)
	s_or_b32 exec_lo, exec_lo, s7
.LBB33_20:
	s_delay_alu instid0(SALU_CYCLE_1)
	s_or_b32 exec_lo, exec_lo, s6
	s_cbranch_execz .LBB33_22
	s_branch .LBB33_33
.LBB33_21:
                                        ; implicit-def: $vgpr21
                                        ; implicit-def: $vgpr17
                                        ; implicit-def: $vgpr19
                                        ; implicit-def: $vgpr15
.LBB33_22:
	v_dual_mov_b32 v21, 0 :: v_dual_mov_b32 v20, 0
	v_dual_mov_b32 v17, 0 :: v_dual_mov_b32 v16, 0
	;; [unrolled: 1-line block ×4, first 2 shown]
	s_and_saveexec_b32 s6, s3
	s_cbranch_execz .LBB33_32
; %bb.23:
	v_dual_mov_b32 v15, v1 :: v_dual_bitop2_b32 v14, 32, v0 bitop3:0x54
	v_sub_nc_u64_e32 v[16:17], s[12:13], v[0:1]
	v_not_b32_e32 v19, v23
	v_not_b32_e32 v18, v22
	s_delay_alu instid0(VALU_DEP_4) | instskip(NEXT) | instid1(VALU_DEP_2)
	v_sub_nc_u64_e64 v[14:15], v[14:15], s[12:13]
	v_add_nc_u64_e32 v[16:17], v[16:17], v[18:19]
	s_delay_alu instid0(VALU_DEP_2) | instskip(NEXT) | instid1(VALU_DEP_1)
	v_add_nc_u64_e32 v[14:15], v[14:15], v[22:23]
	v_max_i64 v[14:15], v[14:15], v[10:11]
	s_delay_alu instid0(VALU_DEP_1) | instskip(SKIP_1) | instid1(VALU_DEP_1)
	v_add_nc_u64_e32 v[22:23], v[16:17], v[14:15]
	v_mov_b32_e32 v15, 0
	v_dual_mov_b32 v19, v15 :: v_dual_mov_b32 v18, v15
	s_delay_alu instid0(VALU_DEP_3) | instskip(SKIP_2) | instid1(VALU_DEP_3)
	v_and_b32_e32 v14, 0x60, v22
	v_dual_mov_b32 v17, v15 :: v_dual_mov_b32 v16, v15
	v_dual_mov_b32 v20, v15 :: v_dual_mov_b32 v21, v15
	v_cmp_ne_u64_e32 vcc_lo, 0x60, v[14:15]
	v_mov_b32_e32 v14, v15
	s_and_saveexec_b32 s3, vcc_lo
	s_cbranch_execz .LBB33_27
; %bb.24:
	v_dual_lshrrev_b32 v1, 5, v22 :: v_dual_mov_b32 v15, 0
	v_lshl_add_u64 v[24:25], v[8:9], 2, s[8:9]
	s_mov_b32 s7, 0
	s_delay_alu instid0(VALU_DEP_2) | instskip(SKIP_1) | instid1(VALU_DEP_2)
	v_dual_mov_b32 v18, v15 :: v_dual_add_nc_u32 v1, 1, v1
	v_dual_mov_b32 v16, v15 :: v_dual_mov_b32 v17, v15
	v_dual_mov_b32 v20, v15 :: v_dual_bitop2_b32 v14, 3, v1 bitop3:0x40
	v_dual_mov_b32 v19, v15 :: v_dual_mov_b32 v21, v15
	s_delay_alu instid0(VALU_DEP_2)
	v_sub_nc_u64_e32 v[26:27], 0, v[14:15]
	v_mov_b32_e32 v14, v15
.LBB33_25:                              ; =>This Inner Loop Header: Depth=1
	global_load_b32 v1, v[24:25], off
	s_clause 0x4
	global_load_b128 v[28:31], v[12:13], off offset:32
	global_load_b128 v[32:35], v[12:13], off offset:16
	global_load_b128 v[36:39], v[12:13], off
	global_load_b128 v[40:43], v[12:13], off offset:64
	global_load_b128 v[44:47], v[12:13], off offset:96
	v_add_nc_u64_e32 v[26:27], 1, v[26:27]
	v_add_nc_u64_e32 v[8:9], 32, v[8:9]
	s_wait_xcnt 0x5
	v_add_nc_u64_e32 v[24:25], 0x80, v[24:25]
	s_delay_alu instid0(VALU_DEP_3)
	v_cmp_eq_u64_e32 vcc_lo, 0, v[26:27]
	s_or_b32 s7, vcc_lo, s7
	s_wait_loadcnt 0x5
	v_subrev_nc_u32_e32 v1, s12, v1
	s_wait_loadcnt 0x4
	v_xor_b32_e32 v70, 0x80000000, v31
	s_wait_loadcnt 0x3
	v_xor_b32_e32 v76, 0x80000000, v35
	v_mov_b32_e32 v71, v30
	s_wait_loadcnt 0x1
	v_xor_b32_e32 v72, 0x80000000, v43
	v_dual_mov_b32 v73, v42 :: v_dual_lshlrev_b32 v48, 2, v1
	s_wait_loadcnt 0x0
	v_mov_b32_e32 v75, v46
	v_xor_b32_e32 v74, 0x80000000, v47
	s_delay_alu instid0(VALU_DEP_3) | instskip(SKIP_1) | instid1(VALU_DEP_1)
	v_ashrrev_i32_e32 v49, 31, v48
	s_wait_kmcnt 0x0
	v_lshl_add_u64 v[68:69], v[48:49], 3, s[4:5]
	global_load_b128 v[48:51], v[12:13], off offset:48
	s_clause 0x1
	global_load_b128 v[52:55], v[68:69], off
	global_load_b128 v[56:59], v[68:69], off offset:16
	s_clause 0x1
	global_load_b128 v[60:63], v[12:13], off offset:80
	global_load_b128 v[64:67], v[12:13], off offset:112
	s_wait_xcnt 0x2
	v_xor_b32_e32 v68, 0x80000000, v39
	v_dual_mov_b32 v69, v38 :: v_dual_mov_b32 v77, v34
	s_wait_xcnt 0x0
	v_add_nc_u64_e32 v[12:13], 0x1000, v[12:13]
	s_wait_loadcnt 0x4
	v_mov_b32_e32 v79, v50
	s_wait_loadcnt 0x3
	v_pk_fma_f32 v[20:21], v[36:37], v[52:53], v[20:21] op_sel_hi:[1,0,1]
	v_pk_fma_f32 v[14:15], v[38:39], v[52:53], v[14:15] op_sel_hi:[1,0,1]
	;; [unrolled: 1-line block ×4, first 2 shown]
	v_xor_b32_e32 v78, 0x80000000, v51
	v_pk_fma_f32 v[20:21], v[36:37], v[52:53], v[20:21] op_sel:[1,1,0] op_sel_hi:[0,1,1] neg_lo:[1,0,0]
	v_pk_fma_f32 v[14:15], v[68:69], v[52:53], v[14:15] op_sel:[0,1,0]
	v_pk_fma_f32 v[18:19], v[32:33], v[52:53], v[18:19] op_sel:[1,1,0] op_sel_hi:[0,1,1] neg_lo:[1,0,0]
	v_pk_fma_f32 v[16:17], v[76:77], v[52:53], v[16:17] op_sel:[0,1,0]
	s_wait_loadcnt 0x1
	v_dual_mov_b32 v32, v55 :: v_dual_mov_b32 v35, v62
	v_pk_fma_f32 v[20:21], v[28:29], v[54:55], v[20:21] op_sel_hi:[1,0,1]
	v_pk_fma_f32 v[14:15], v[30:31], v[54:55], v[14:15] op_sel_hi:[1,0,1]
	;; [unrolled: 1-line block ×4, first 2 shown]
	v_xor_b32_e32 v34, 0x80000000, v63
	v_pk_fma_f32 v[20:21], v[28:29], v[32:33], v[20:21] op_sel:[1,0,0] op_sel_hi:[0,0,1] neg_lo:[1,0,0]
	v_pk_fma_f32 v[14:15], v[70:71], v[32:33], v[14:15] op_sel_hi:[1,0,1]
	v_pk_fma_f32 v[18:19], v[48:49], v[32:33], v[18:19] op_sel:[1,0,0] op_sel_hi:[0,0,1] neg_lo:[1,0,0]
	v_pk_fma_f32 v[16:17], v[78:79], v[32:33], v[16:17] op_sel_hi:[1,0,1]
	s_wait_loadcnt 0x0
	v_xor_b32_e32 v28, 0x80000000, v67
	v_pk_fma_f32 v[20:21], v[40:41], v[56:57], v[20:21] op_sel_hi:[1,0,1]
	v_pk_fma_f32 v[14:15], v[42:43], v[56:57], v[14:15] op_sel_hi:[1,0,1]
	v_pk_fma_f32 v[18:19], v[60:61], v[56:57], v[18:19] op_sel_hi:[1,0,1]
	v_pk_fma_f32 v[16:17], v[62:63], v[56:57], v[16:17] op_sel_hi:[1,0,1]
	v_dual_mov_b32 v29, v66 :: v_dual_mov_b32 v30, v59
	v_pk_fma_f32 v[20:21], v[40:41], v[56:57], v[20:21] op_sel:[1,1,0] op_sel_hi:[0,1,1] neg_lo:[1,0,0]
	v_pk_fma_f32 v[14:15], v[72:73], v[56:57], v[14:15] op_sel:[0,1,0]
	v_pk_fma_f32 v[18:19], v[60:61], v[56:57], v[18:19] op_sel:[1,1,0] op_sel_hi:[0,1,1] neg_lo:[1,0,0]
	v_pk_fma_f32 v[16:17], v[34:35], v[56:57], v[16:17] op_sel:[0,1,0]
	s_delay_alu instid0(VALU_DEP_4) | instskip(NEXT) | instid1(VALU_DEP_4)
	v_pk_fma_f32 v[20:21], v[44:45], v[58:59], v[20:21] op_sel_hi:[1,0,1]
	v_pk_fma_f32 v[14:15], v[46:47], v[58:59], v[14:15] op_sel_hi:[1,0,1]
	s_delay_alu instid0(VALU_DEP_4) | instskip(NEXT) | instid1(VALU_DEP_4)
	v_pk_fma_f32 v[18:19], v[64:65], v[58:59], v[18:19] op_sel_hi:[1,0,1]
	v_pk_fma_f32 v[16:17], v[66:67], v[58:59], v[16:17] op_sel_hi:[1,0,1]
	s_delay_alu instid0(VALU_DEP_4) | instskip(NEXT) | instid1(VALU_DEP_4)
	v_pk_fma_f32 v[20:21], v[44:45], v[30:31], v[20:21] op_sel:[1,0,0] op_sel_hi:[0,0,1] neg_lo:[1,0,0]
	v_pk_fma_f32 v[14:15], v[74:75], v[30:31], v[14:15] op_sel_hi:[1,0,1]
	s_delay_alu instid0(VALU_DEP_4) | instskip(NEXT) | instid1(VALU_DEP_4)
	v_pk_fma_f32 v[18:19], v[64:65], v[30:31], v[18:19] op_sel:[1,0,0] op_sel_hi:[0,0,1] neg_lo:[1,0,0]
	v_pk_fma_f32 v[16:17], v[28:29], v[30:31], v[16:17] op_sel_hi:[1,0,1]
	s_and_not1_b32 exec_lo, exec_lo, s7
	s_cbranch_execnz .LBB33_25
; %bb.26:
	s_or_b32 exec_lo, exec_lo, s7
.LBB33_27:
	s_delay_alu instid0(SALU_CYCLE_1) | instskip(NEXT) | instid1(SALU_CYCLE_1)
	s_or_b32 exec_lo, exec_lo, s3
	s_mov_b32 s3, exec_lo
	v_cmpx_lt_u64_e32 0x5f, v[22:23]
	s_cbranch_execz .LBB33_31
; %bb.28:
	v_lshl_add_u64 v[22:23], v[8:9], 2, s[8:9]
	s_mov_b32 s7, 0
	s_delay_alu instid0(VALU_DEP_1)
	v_add_nc_u64_e32 v[22:23], 0x100, v[22:23]
.LBB33_29:                              ; =>This Inner Loop Header: Depth=1
	global_load_b32 v1, v[22:23], off offset:-256
	s_clause 0xb
	global_load_b128 v[24:27], v[12:13], off
	global_load_b128 v[28:31], v[12:13], off offset:16
	global_load_b128 v[32:35], v[12:13], off offset:48
	;; [unrolled: 1-line block ×11, first 2 shown]
	s_clause 0x2
	global_load_b32 v7, v[22:23], off offset:-128
	global_load_b32 v116, v[22:23], off
	global_load_b32 v118, v[22:23], off offset:128
	s_clause 0x6
	global_load_b128 v[72:75], v[12:13], off offset:4208
	global_load_b128 v[76:79], v[12:13], off offset:4192
	global_load_b128 v[80:83], v[12:13], off offset:4176
	global_load_b128 v[84:87], v[12:13], off offset:4160
	global_load_b128 v[88:91], v[12:13], off offset:8240
	global_load_b128 v[92:95], v[12:13], off offset:8224
	global_load_b128 v[96:99], v[12:13], off offset:8208
	v_add_nc_u64_e32 v[8:9], 0x80, v[8:9]
	s_wait_xcnt 0x7
	v_add_nc_u64_e32 v[22:23], 0x200, v[22:23]
	s_delay_alu instid0(VALU_DEP_2)
	v_cmp_ge_i64_e32 vcc_lo, v[8:9], v[10:11]
	s_or_b32 s7, vcc_lo, s7
	s_wait_loadcnt 0x16
	v_subrev_nc_u32_e32 v1, s12, v1
	s_wait_loadcnt 0x15
	v_mov_b32_e32 v109, v26
	v_xor_b32_e32 v108, 0x80000000, v27
	s_delay_alu instid0(VALU_DEP_3) | instskip(SKIP_1) | instid1(VALU_DEP_1)
	v_lshlrev_b32_e32 v100, 2, v1
	s_wait_loadcnt 0xc
	v_dual_ashrrev_i32 v101, 31, v100 :: v_dual_mov_b32 v117, v62
	s_wait_loadcnt 0x9
	v_subrev_nc_u32_e32 v1, s12, v7
	s_wait_kmcnt 0x0
	s_delay_alu instid0(VALU_DEP_2)
	v_lshl_add_u64 v[110:111], v[100:101], 3, s[4:5]
	s_clause 0x1
	global_load_b128 v[100:103], v[110:111], off
	global_load_b128 v[104:107], v[110:111], off offset:16
	s_wait_loadcnt 0x1
	v_pk_fma_f32 v[20:21], v[24:25], v[100:101], v[20:21] op_sel_hi:[1,0,1]
	s_wait_xcnt 0x0
	v_pk_fma_f32 v[110:111], v[26:27], v[100:101], v[14:15] op_sel_hi:[1,0,1]
	v_pk_fma_f32 v[14:15], v[28:29], v[100:101], v[18:19] op_sel_hi:[1,0,1]
	;; [unrolled: 1-line block ×3, first 2 shown]
	v_pk_fma_f32 v[112:113], v[24:25], v[100:101], v[20:21] op_sel:[1,1,0] op_sel_hi:[0,1,1] neg_lo:[1,0,0]
	v_xor_b32_e32 v20, 0x80000000, v31
	v_mov_b32_e32 v21, v30
	v_pk_fma_f32 v[28:29], v[28:29], v[100:101], v[14:15] op_sel:[1,1,0] op_sel_hi:[0,1,1] neg_lo:[1,0,0]
	v_pk_fma_f32 v[30:31], v[108:109], v[100:101], v[110:111] op_sel:[0,1,0]
	v_pk_fma_f32 v[108:109], v[36:37], v[102:103], v[112:113] op_sel_hi:[1,0,1]
	v_xor_b32_e32 v112, 0x80000000, v39
	v_pk_fma_f32 v[100:101], v[20:21], v[100:101], v[18:19] op_sel:[0,1,0]
	v_pk_fma_f32 v[28:29], v[32:33], v[102:103], v[28:29] op_sel_hi:[1,0,1]
	v_pk_fma_f32 v[110:111], v[38:39], v[102:103], v[30:31] op_sel_hi:[1,0,1]
	v_mov_b32_e32 v113, v38
	v_xor_b32_e32 v38, 0x80000000, v35
	v_pk_fma_f32 v[100:101], v[34:35], v[102:103], v[100:101] op_sel_hi:[1,0,1]
	v_dual_mov_b32 v102, v103 :: v_dual_mov_b32 v39, v34
	s_clause 0x2
	global_load_b128 v[24:27], v[12:13], off offset:8192
	global_load_b128 v[14:17], v[12:13], off offset:8304
	;; [unrolled: 1-line block ×3, first 2 shown]
	v_pk_fma_f32 v[36:37], v[36:37], v[102:103], v[108:109] op_sel:[1,0,0] op_sel_hi:[0,0,1] neg_lo:[1,0,0]
	v_pk_fma_f32 v[110:111], v[112:113], v[102:103], v[110:111] op_sel_hi:[1,0,1]
	v_pk_fma_f32 v[108:109], v[32:33], v[102:103], v[28:29] op_sel:[1,0,0] op_sel_hi:[0,0,1] neg_lo:[1,0,0]
	v_pk_fma_f32 v[100:101], v[38:39], v[102:103], v[100:101] op_sel_hi:[1,0,1]
	v_xor_b32_e32 v102, 0x80000000, v55
	v_mov_b32_e32 v103, v54
	s_wait_loadcnt 0x3
	v_pk_fma_f32 v[36:37], v[52:53], v[104:105], v[36:37] op_sel_hi:[1,0,1]
	v_pk_fma_f32 v[54:55], v[54:55], v[104:105], v[110:111] op_sel_hi:[1,0,1]
	;; [unrolled: 1-line block ×4, first 2 shown]
	v_mov_b32_e32 v113, v70
	v_pk_fma_f32 v[110:111], v[52:53], v[104:105], v[36:37] op_sel:[1,1,0] op_sel_hi:[0,1,1] neg_lo:[1,0,0]
	v_xor_b32_e32 v52, 0x80000000, v51
	v_mov_b32_e32 v53, v50
	v_pk_fma_f32 v[102:103], v[102:103], v[104:105], v[54:55] op_sel:[0,1,0]
	v_pk_fma_f32 v[108:109], v[48:49], v[104:105], v[108:109] op_sel:[1,1,0] op_sel_hi:[0,1,1] neg_lo:[1,0,0]
	s_clause 0x1
	global_load_b128 v[28:31], v[12:13], off offset:8272
	global_load_b128 v[32:35], v[12:13], off offset:8256
	v_pk_fma_f32 v[100:101], v[52:53], v[104:105], v[100:101] op_sel:[0,1,0]
	v_pk_fma_f32 v[104:105], v[44:45], v[106:107], v[110:111] op_sel_hi:[1,0,1]
	v_pk_fma_f32 v[102:103], v[46:47], v[106:107], v[102:103] op_sel_hi:[1,0,1]
	v_dual_mov_b32 v111, v46 :: v_dual_lshlrev_b32 v46, 2, v1
	v_pk_fma_f32 v[108:109], v[40:41], v[106:107], v[108:109] op_sel_hi:[1,0,1]
	v_pk_fma_f32 v[100:101], v[42:43], v[106:107], v[100:101] op_sel_hi:[1,0,1]
	v_mov_b32_e32 v106, v107
	v_xor_b32_e32 v110, 0x80000000, v47
	v_ashrrev_i32_e32 v47, 31, v46
	s_clause 0x1
	global_load_b128 v[36:39], v[12:13], off offset:12336
	global_load_b128 v[48:51], v[12:13], off offset:12320
	v_pk_fma_f32 v[104:105], v[44:45], v[106:107], v[104:105] op_sel:[1,0,0] op_sel_hi:[0,0,1] neg_lo:[1,0,0]
	v_xor_b32_e32 v44, 0x80000000, v43
	v_mov_b32_e32 v45, v42
	v_lshl_add_u64 v[114:115], v[46:47], 3, s[4:5]
	global_load_b128 v[52:55], v[12:13], off offset:12288
	v_pk_fma_f32 v[108:109], v[40:41], v[106:107], v[108:109] op_sel:[1,0,0] op_sel_hi:[0,0,1] neg_lo:[1,0,0]
	global_load_b128 v[40:43], v[12:13], off offset:12384
	v_pk_fma_f32 v[110:111], v[110:111], v[106:107], v[102:103] op_sel_hi:[1,0,1]
	v_pk_fma_f32 v[106:107], v[44:45], v[106:107], v[100:101] op_sel_hi:[1,0,1]
	s_clause 0x1
	global_load_b128 v[44:47], v[114:115], off
	global_load_b128 v[100:103], v[114:115], off offset:16
	v_subrev_nc_u32_e32 v1, s12, v116
	v_xor_b32_e32 v112, 0x80000000, v71
	v_xor_b32_e32 v116, 0x80000000, v63
	s_wait_loadcnt 0x1
	v_pk_fma_f32 v[70:71], v[70:71], v[44:45], v[110:111] op_sel_hi:[1,0,1]
	s_wait_xcnt 0x0
	v_dual_lshlrev_b32 v110, 2, v1 :: v_dual_mov_b32 v114, v47
	v_pk_fma_f32 v[104:105], v[68:69], v[44:45], v[104:105] op_sel_hi:[1,0,1]
	v_pk_fma_f32 v[108:109], v[64:65], v[44:45], v[108:109] op_sel_hi:[1,0,1]
	;; [unrolled: 1-line block ×3, first 2 shown]
	s_delay_alu instid0(VALU_DEP_4)
	v_ashrrev_i32_e32 v111, 31, v110
	v_pk_fma_f32 v[112:113], v[112:113], v[44:45], v[70:71] op_sel:[0,1,0]
	v_pk_fma_f32 v[104:105], v[68:69], v[44:45], v[104:105] op_sel:[1,1,0] op_sel_hi:[0,1,1] neg_lo:[1,0,0]
	v_xor_b32_e32 v68, 0x80000000, v67
	v_mov_b32_e32 v69, v66
	v_lshl_add_u64 v[110:111], v[110:111], 3, s[4:5]
	v_pk_fma_f32 v[108:109], v[64:65], v[44:45], v[108:109] op_sel:[1,1,0] op_sel_hi:[0,1,1] neg_lo:[1,0,0]
	v_pk_fma_f32 v[104:105], v[60:61], v[46:47], v[104:105] op_sel_hi:[1,0,1]
	v_subrev_nc_u32_e32 v1, s12, v118
	v_pk_fma_f32 v[44:45], v[68:69], v[44:45], v[106:107] op_sel:[0,1,0]
	global_load_b128 v[68:71], v[110:111], off
	v_pk_fma_f32 v[108:109], v[56:57], v[46:47], v[108:109] op_sel_hi:[1,0,1]
	v_pk_fma_f32 v[106:107], v[62:63], v[46:47], v[112:113] op_sel_hi:[1,0,1]
	v_pk_fma_f32 v[60:61], v[60:61], v[114:115], v[104:105] op_sel:[1,0,0] op_sel_hi:[0,0,1] neg_lo:[1,0,0]
	v_pk_fma_f32 v[112:113], v[58:59], v[46:47], v[44:45] op_sel_hi:[1,0,1]
	v_xor_b32_e32 v62, 0x80000000, v59
	v_mov_b32_e32 v63, v58
	v_pk_fma_f32 v[104:105], v[56:57], v[114:115], v[108:109] op_sel:[1,0,0] op_sel_hi:[0,0,1] neg_lo:[1,0,0]
	global_load_b128 v[56:59], v[110:111], off offset:16
	v_mov_b32_e32 v109, v86
	v_pk_fma_f32 v[106:107], v[116:117], v[114:115], v[106:107] op_sel_hi:[1,0,1]
	v_mov_b32_e32 v117, v82
	v_pk_fma_f32 v[112:113], v[62:63], v[114:115], v[112:113] op_sel_hi:[1,0,1]
	v_lshlrev_b32_e32 v62, 2, v1
	s_clause 0x1
	global_load_b128 v[64:67], v[12:13], off offset:12352
	global_load_b128 v[44:47], v[12:13], off offset:12304
	s_wait_loadcnt 0x4
	v_pk_fma_f32 v[60:61], v[84:85], v[100:101], v[60:61] op_sel_hi:[1,0,1]
	v_xor_b32_e32 v108, 0x80000000, v87
	v_ashrrev_i32_e32 v63, 31, v62
	v_xor_b32_e32 v116, 0x80000000, v83
	v_pk_fma_f32 v[106:107], v[86:87], v[100:101], v[106:107] op_sel_hi:[1,0,1]
	v_pk_fma_f32 v[114:115], v[84:85], v[100:101], v[60:61] op_sel:[1,1,0] op_sel_hi:[0,1,1] neg_lo:[1,0,0]
	v_pk_fma_f32 v[84:85], v[80:81], v[100:101], v[104:105] op_sel_hi:[1,0,1]
	s_wait_xcnt 0x2
	v_lshl_add_u64 v[110:111], v[62:63], 3, s[4:5]
	v_pk_fma_f32 v[104:105], v[82:83], v[100:101], v[112:113] op_sel_hi:[1,0,1]
	v_pk_fma_f32 v[108:109], v[108:109], v[100:101], v[106:107] op_sel:[0,1,0]
	v_pk_fma_f32 v[112:113], v[80:81], v[100:101], v[84:85] op_sel:[1,1,0] op_sel_hi:[0,1,1] neg_lo:[1,0,0]
	global_load_b128 v[60:63], v[110:111], off
	global_load_b128 v[80:83], v[12:13], off offset:12368
	global_load_b128 v[84:87], v[110:111], off offset:16
	v_pk_fma_f32 v[100:101], v[116:117], v[100:101], v[104:105] op_sel:[0,1,0]
	global_load_b128 v[104:107], v[12:13], off offset:12400
	s_wait_xcnt 0x1
	v_pk_fma_f32 v[110:111], v[76:77], v[102:103], v[114:115] op_sel_hi:[1,0,1]
	v_pk_fma_f32 v[108:109], v[78:79], v[102:103], v[108:109] op_sel_hi:[1,0,1]
	v_pk_fma_f32 v[112:113], v[72:73], v[102:103], v[112:113] op_sel_hi:[1,0,1]
	v_pk_fma_f32 v[100:101], v[74:75], v[102:103], v[100:101] op_sel_hi:[1,0,1]
	v_mov_b32_e32 v102, v103
	v_xor_b32_e32 v114, 0x80000000, v79
	v_dual_mov_b32 v115, v78 :: v_dual_mov_b32 v79, v74
	v_xor_b32_e32 v78, 0x80000000, v75
	s_delay_alu instid0(VALU_DEP_4) | instskip(SKIP_1) | instid1(VALU_DEP_4)
	v_pk_fma_f32 v[76:77], v[76:77], v[102:103], v[110:111] op_sel:[1,0,0] op_sel_hi:[0,0,1] neg_lo:[1,0,0]
	v_pk_fma_f32 v[72:73], v[72:73], v[102:103], v[112:113] op_sel:[1,0,0] op_sel_hi:[0,0,1] neg_lo:[1,0,0]
	v_pk_fma_f32 v[108:109], v[114:115], v[102:103], v[108:109] op_sel_hi:[1,0,1]
	v_xor_b32_e32 v74, 0x80000000, v27
	v_pk_fma_f32 v[78:79], v[78:79], v[102:103], v[100:101] op_sel_hi:[1,0,1]
	v_dual_mov_b32 v75, v26 :: v_dual_mov_b32 v111, v98
	v_xor_b32_e32 v110, 0x80000000, v99
	v_xor_b32_e32 v112, 0x80000000, v95
	v_dual_mov_b32 v113, v94 :: v_dual_mov_b32 v115, v90
	v_xor_b32_e32 v114, 0x80000000, v91
	v_xor_b32_e32 v100, 0x80000000, v35
	v_dual_mov_b32 v101, v34 :: v_dual_mov_b32 v103, v30
	v_xor_b32_e32 v102, 0x80000000, v31
	s_wait_xcnt 0x0
	v_add_nc_u64_e32 v[12:13], 0x4000, v[12:13]
	s_wait_loadcnt 0x7
	v_pk_fma_f32 v[76:77], v[24:25], v[68:69], v[76:77] op_sel_hi:[1,0,1]
	v_pk_fma_f32 v[26:27], v[26:27], v[68:69], v[108:109] op_sel_hi:[1,0,1]
	v_pk_fma_f32 v[72:73], v[96:97], v[68:69], v[72:73] op_sel_hi:[1,0,1]
	v_pk_fma_f32 v[78:79], v[98:99], v[68:69], v[78:79] op_sel_hi:[1,0,1]
	v_mov_b32_e32 v109, v54
	v_pk_fma_f32 v[24:25], v[24:25], v[68:69], v[76:77] op_sel:[1,1,0] op_sel_hi:[0,1,1] neg_lo:[1,0,0]
	v_pk_fma_f32 v[26:27], v[74:75], v[68:69], v[26:27] op_sel:[0,1,0]
	v_pk_fma_f32 v[72:73], v[96:97], v[68:69], v[72:73] op_sel:[1,1,0] op_sel_hi:[0,1,1] neg_lo:[1,0,0]
	v_pk_fma_f32 v[68:69], v[110:111], v[68:69], v[78:79] op_sel:[0,1,0]
	v_mov_b32_e32 v75, v42
	v_pk_fma_f32 v[24:25], v[92:93], v[70:71], v[24:25] op_sel_hi:[1,0,1]
	v_pk_fma_f32 v[26:27], v[94:95], v[70:71], v[26:27] op_sel_hi:[1,0,1]
	;; [unrolled: 1-line block ×4, first 2 shown]
	v_mov_b32_e32 v70, v71
	v_xor_b32_e32 v76, 0x80000000, v21
	v_mov_b32_e32 v77, v20
	v_xor_b32_e32 v78, 0x80000000, v17
	v_mov_b32_e32 v79, v16
	v_pk_fma_f32 v[24:25], v[92:93], v[70:71], v[24:25] op_sel:[1,0,0] op_sel_hi:[0,0,1] neg_lo:[1,0,0]
	v_pk_fma_f32 v[26:27], v[112:113], v[70:71], v[26:27] op_sel_hi:[1,0,1]
	v_pk_fma_f32 v[72:73], v[88:89], v[70:71], v[72:73] op_sel:[1,0,0] op_sel_hi:[0,0,1] neg_lo:[1,0,0]
	v_pk_fma_f32 v[68:69], v[114:115], v[70:71], v[68:69] op_sel_hi:[1,0,1]
	s_wait_loadcnt 0x4
	v_mov_b32_e32 v71, v46
	v_pk_fma_f32 v[24:25], v[32:33], v[56:57], v[24:25] op_sel_hi:[1,0,1]
	v_pk_fma_f32 v[26:27], v[34:35], v[56:57], v[26:27] op_sel_hi:[1,0,1]
	;; [unrolled: 1-line block ×4, first 2 shown]
	v_xor_b32_e32 v108, 0x80000000, v55
	v_pk_fma_f32 v[24:25], v[32:33], v[56:57], v[24:25] op_sel:[1,1,0] op_sel_hi:[0,1,1] neg_lo:[1,0,0]
	v_pk_fma_f32 v[26:27], v[100:101], v[56:57], v[26:27] op_sel:[0,1,0]
	v_pk_fma_f32 v[28:29], v[28:29], v[56:57], v[34:35] op_sel:[1,1,0] op_sel_hi:[0,1,1] neg_lo:[1,0,0]
	v_pk_fma_f32 v[30:31], v[102:103], v[56:57], v[30:31] op_sel:[0,1,0]
	v_mov_b32_e32 v32, v59
	v_pk_fma_f32 v[24:25], v[18:19], v[58:59], v[24:25] op_sel_hi:[1,0,1]
	v_pk_fma_f32 v[20:21], v[20:21], v[58:59], v[26:27] op_sel_hi:[1,0,1]
	;; [unrolled: 1-line block ×4, first 2 shown]
	v_mov_b32_e32 v29, v38
	v_pk_fma_f32 v[18:19], v[18:19], v[32:33], v[24:25] op_sel:[1,0,0] op_sel_hi:[0,0,1] neg_lo:[1,0,0]
	v_pk_fma_f32 v[20:21], v[76:77], v[32:33], v[20:21] op_sel_hi:[1,0,1]
	v_pk_fma_f32 v[14:15], v[14:15], v[32:33], v[26:27] op_sel:[1,0,0] op_sel_hi:[0,0,1] neg_lo:[1,0,0]
	v_pk_fma_f32 v[16:17], v[78:79], v[32:33], v[16:17] op_sel_hi:[1,0,1]
	v_xor_b32_e32 v70, 0x80000000, v47
	s_wait_loadcnt 0x3
	v_pk_fma_f32 v[18:19], v[52:53], v[60:61], v[18:19] op_sel_hi:[1,0,1]
	v_pk_fma_f32 v[20:21], v[54:55], v[60:61], v[20:21] op_sel_hi:[1,0,1]
	;; [unrolled: 1-line block ×4, first 2 shown]
	v_xor_b32_e32 v96, 0x80000000, v51
	v_pk_fma_f32 v[18:19], v[52:53], v[60:61], v[18:19] op_sel:[1,1,0] op_sel_hi:[0,1,1] neg_lo:[1,0,0]
	v_pk_fma_f32 v[20:21], v[108:109], v[60:61], v[20:21] op_sel:[0,1,0]
	v_pk_fma_f32 v[14:15], v[44:45], v[60:61], v[14:15] op_sel:[1,1,0] op_sel_hi:[0,1,1] neg_lo:[1,0,0]
	v_pk_fma_f32 v[16:17], v[70:71], v[60:61], v[16:17] op_sel:[0,1,0]
	v_dual_mov_b32 v97, v50 :: v_dual_mov_b32 v99, v66
	v_xor_b32_e32 v28, 0x80000000, v39
	s_wait_loadcnt 0x2
	v_dual_mov_b32 v26, v63 :: v_dual_mov_b32 v25, v82
	v_pk_fma_f32 v[18:19], v[48:49], v[62:63], v[18:19] op_sel_hi:[1,0,1]
	v_pk_fma_f32 v[20:21], v[50:51], v[62:63], v[20:21] op_sel_hi:[1,0,1]
	;; [unrolled: 1-line block ×4, first 2 shown]
	v_xor_b32_e32 v98, 0x80000000, v67
	v_pk_fma_f32 v[18:19], v[48:49], v[26:27], v[18:19] op_sel:[1,0,0] op_sel_hi:[0,0,1] neg_lo:[1,0,0]
	v_pk_fma_f32 v[20:21], v[96:97], v[26:27], v[20:21] op_sel_hi:[1,0,1]
	v_pk_fma_f32 v[14:15], v[36:37], v[26:27], v[14:15] op_sel:[1,0,0] op_sel_hi:[0,0,1] neg_lo:[1,0,0]
	v_pk_fma_f32 v[16:17], v[28:29], v[26:27], v[16:17] op_sel_hi:[1,0,1]
	v_xor_b32_e32 v24, 0x80000000, v83
	s_wait_loadcnt 0x1
	v_pk_fma_f32 v[18:19], v[64:65], v[84:85], v[18:19] op_sel_hi:[1,0,1]
	v_pk_fma_f32 v[20:21], v[66:67], v[84:85], v[20:21] op_sel_hi:[1,0,1]
	;; [unrolled: 1-line block ×4, first 2 shown]
	v_xor_b32_e32 v74, 0x80000000, v43
	v_pk_fma_f32 v[18:19], v[64:65], v[84:85], v[18:19] op_sel:[1,1,0] op_sel_hi:[0,1,1] neg_lo:[1,0,0]
	v_pk_fma_f32 v[20:21], v[98:99], v[84:85], v[20:21] op_sel:[0,1,0]
	v_pk_fma_f32 v[14:15], v[80:81], v[84:85], v[14:15] op_sel:[1,1,0] op_sel_hi:[0,1,1] neg_lo:[1,0,0]
	v_pk_fma_f32 v[16:17], v[24:25], v[84:85], v[16:17] op_sel:[0,1,0]
	s_wait_loadcnt 0x0
	v_xor_b32_e32 v26, 0x80000000, v107
	v_dual_mov_b32 v27, v106 :: v_dual_mov_b32 v24, v87
	v_pk_fma_f32 v[18:19], v[40:41], v[86:87], v[18:19] op_sel_hi:[1,0,1]
	v_pk_fma_f32 v[28:29], v[42:43], v[86:87], v[20:21] op_sel_hi:[1,0,1]
	;; [unrolled: 1-line block ×4, first 2 shown]
	s_delay_alu instid0(VALU_DEP_4) | instskip(NEXT) | instid1(VALU_DEP_4)
	v_pk_fma_f32 v[20:21], v[40:41], v[24:25], v[18:19] op_sel:[1,0,0] op_sel_hi:[0,0,1] neg_lo:[1,0,0]
	v_pk_fma_f32 v[14:15], v[74:75], v[24:25], v[28:29] op_sel_hi:[1,0,1]
	s_delay_alu instid0(VALU_DEP_4) | instskip(NEXT) | instid1(VALU_DEP_4)
	v_pk_fma_f32 v[18:19], v[104:105], v[24:25], v[30:31] op_sel:[1,0,0] op_sel_hi:[0,0,1] neg_lo:[1,0,0]
	v_pk_fma_f32 v[16:17], v[26:27], v[24:25], v[16:17] op_sel_hi:[1,0,1]
	s_and_not1_b32 exec_lo, exec_lo, s7
	s_cbranch_execnz .LBB33_29
; %bb.30:
	s_or_b32 exec_lo, exec_lo, s7
.LBB33_31:
	s_delay_alu instid0(SALU_CYCLE_1)
	s_or_b32 exec_lo, exec_lo, s3
.LBB33_32:
	s_delay_alu instid0(SALU_CYCLE_1)
	s_or_b32 exec_lo, exec_lo, s6
.LBB33_33:
	v_mbcnt_lo_u32_b32 v1, -1, 0
	s_delay_alu instid0(VALU_DEP_1) | instskip(SKIP_1) | instid1(VALU_DEP_1)
	v_xor_b32_e32 v23, 8, v1
	v_xor_b32_e32 v7, 16, v1
	v_cmp_gt_i32_e32 vcc_lo, 32, v7
	v_cndmask_b32_e32 v7, v1, v7, vcc_lo
	s_delay_alu instid0(VALU_DEP_1)
	v_lshlrev_b32_e32 v7, 2, v7
	ds_bpermute_b32 v9, v7, v21
	s_wait_dscnt 0x0
	v_add_f32_e32 v9, v21, v9
	ds_bpermute_b32 v10, v7, v14
	ds_bpermute_b32 v8, v7, v20
	;; [unrolled: 1-line block ×7, first 2 shown]
	s_wait_dscnt 0x6
	v_add_f32_e32 v10, v14, v10
	v_cmp_gt_i32_e32 vcc_lo, 32, v23
	s_wait_dscnt 0x4
	v_dual_add_f32 v8, v20, v8 :: v_dual_add_f32 v11, v15, v11
	s_wait_dscnt 0x1
	v_dual_add_f32 v13, v19, v13 :: v_dual_add_f32 v14, v16, v22
	v_cndmask_b32_e32 v23, v1, v23, vcc_lo
	s_wait_dscnt 0x0
	v_dual_add_f32 v7, v17, v7 :: v_dual_add_f32 v12, v18, v12
	s_delay_alu instid0(VALU_DEP_2)
	v_lshlrev_b32_e32 v23, 2, v23
	ds_bpermute_b32 v15, v23, v8
	ds_bpermute_b32 v16, v23, v9
	;; [unrolled: 1-line block ×8, first 2 shown]
	s_wait_dscnt 0x7
	v_dual_add_f32 v8, v8, v15 :: v_dual_bitop2_b32 v23, 4, v1 bitop3:0x14
	s_delay_alu instid0(VALU_DEP_1)
	v_cmp_gt_i32_e32 vcc_lo, 32, v23
	s_wait_dscnt 0x4
	v_dual_add_f32 v10, v10, v17 :: v_dual_add_f32 v11, v11, v18
	s_wait_dscnt 0x2
	v_dual_add_f32 v12, v12, v19 :: v_dual_add_f32 v13, v13, v20
	s_wait_dscnt 0x1
	v_dual_add_f32 v14, v14, v21 :: v_dual_cndmask_b32 v23, v1, v23
	s_wait_dscnt 0x0
	v_dual_add_f32 v9, v9, v16 :: v_dual_add_f32 v7, v7, v22
	s_delay_alu instid0(VALU_DEP_2)
	v_lshlrev_b32_e32 v23, 2, v23
	ds_bpermute_b32 v15, v23, v8
	ds_bpermute_b32 v16, v23, v9
	;; [unrolled: 1-line block ×8, first 2 shown]
	v_xor_b32_e32 v23, 2, v1
	s_delay_alu instid0(VALU_DEP_1) | instskip(SKIP_4) | instid1(VALU_DEP_2)
	v_cmp_gt_i32_e32 vcc_lo, 32, v23
	v_cndmask_b32_e32 v23, v1, v23, vcc_lo
	s_wait_dscnt 0x6
	v_dual_add_f32 v8, v8, v15 :: v_dual_add_f32 v9, v9, v16
	s_wait_dscnt 0x5
	v_dual_add_f32 v10, v10, v17 :: v_dual_lshlrev_b32 v23, 2, v23
	s_wait_dscnt 0x3
	v_dual_add_f32 v11, v11, v18 :: v_dual_add_f32 v12, v12, v19
	s_wait_dscnt 0x1
	v_dual_add_f32 v13, v13, v20 :: v_dual_add_f32 v14, v14, v21
	s_wait_dscnt 0x0
	v_add_f32_e32 v15, v7, v22
	ds_bpermute_b32 v7, v23, v8
	ds_bpermute_b32 v16, v23, v9
	;; [unrolled: 1-line block ×8, first 2 shown]
	v_xor_b32_e32 v23, 1, v1
	s_delay_alu instid0(VALU_DEP_1) | instskip(SKIP_3) | instid1(VALU_DEP_2)
	v_cmp_gt_i32_e32 vcc_lo, 32, v23
	v_cndmask_b32_e32 v1, v1, v23, vcc_lo
	v_cmp_eq_u32_e32 vcc_lo, 31, v0
	s_wait_dscnt 0x7
	v_dual_lshlrev_b32 v23, 2, v1 :: v_dual_add_f32 v1, v8, v7
	s_wait_dscnt 0x5
	v_dual_add_f32 v7, v9, v16 :: v_dual_add_f32 v8, v10, v17
	s_wait_dscnt 0x3
	v_dual_add_f32 v9, v11, v18 :: v_dual_add_f32 v10, v12, v19
	;; [unrolled: 2-line block ×3, first 2 shown]
	s_wait_dscnt 0x0
	v_add_f32_e32 v13, v15, v22
	ds_bpermute_b32 v14, v23, v1
	ds_bpermute_b32 v15, v23, v7
	;; [unrolled: 1-line block ×8, first 2 shown]
	s_and_b32 exec_lo, exec_lo, vcc_lo
	s_cbranch_execz .LBB33_6
; %bb.34:
	s_load_b64 s[0:1], s[0:1], 0x50
	v_cmp_eq_f32_e32 vcc_lo, 0, v4
	s_wait_dscnt 0x6
	v_dual_add_f32 v0, v1, v14 :: v_dual_add_f32 v22, v7, v15
	s_wait_dscnt 0x4
	v_dual_add_f32 v8, v8, v16 :: v_dual_add_f32 v20, v9, v17
	;; [unrolled: 2-line block ×4, first 2 shown]
	v_xor_b32_e32 v18, 0x80000000, v3
	v_lshlrev_b32_e32 v6, 2, v6
	s_xor_b32 s2, s2, -1
	s_delay_alu instid0(SALU_CYCLE_1) | instskip(NEXT) | instid1(SALU_CYCLE_1)
	s_and_b32 s2, vcc_lo, s2
	s_and_saveexec_b32 s3, s2
	s_delay_alu instid0(SALU_CYCLE_1)
	s_xor_b32 s2, exec_lo, s3
	s_cbranch_execz .LBB33_36
; %bb.35:
	v_dual_mov_b32 v19, v2 :: v_dual_ashrrev_i32 v7, 31, v6
	s_delay_alu instid0(VALU_DEP_1)
	v_pk_mul_f32 v[4:5], v[22:23], v[18:19] op_sel_hi:[0,1]
	v_pk_mul_f32 v[20:21], v[20:21], v[18:19] op_sel_hi:[0,1]
	;; [unrolled: 1-line block ×4, first 2 shown]
	s_wait_kmcnt 0x0
	v_lshl_add_u64 v[18:19], v[6:7], 3, s[0:1]
	v_pk_fma_f32 v[4:5], v[2:3], v[0:1], v[4:5] op_sel_hi:[1,0,1]
	v_pk_fma_f32 v[6:7], v[2:3], v[8:9], v[20:21] op_sel_hi:[1,0,1]
	v_pk_fma_f32 v[0:1], v[2:3], v[10:11], v[16:17] op_sel_hi:[1,0,1]
	v_pk_fma_f32 v[2:3], v[2:3], v[12:13], v[14:15] op_sel_hi:[1,0,1]
                                        ; implicit-def: $vgpr22
                                        ; implicit-def: $vgpr8
                                        ; implicit-def: $vgpr20
                                        ; implicit-def: $vgpr10
                                        ; implicit-def: $vgpr16
                                        ; implicit-def: $vgpr12
                                        ; implicit-def: $vgpr14
	s_clause 0x1
	global_store_b128 v[18:19], v[4:7], off
	global_store_b128 v[18:19], v[0:3], off offset:16
                                        ; implicit-def: $vgpr0
                                        ; implicit-def: $vgpr2_vgpr3
                                        ; implicit-def: $vgpr4_vgpr5
                                        ; implicit-def: $vgpr18
                                        ; implicit-def: $vgpr6
.LBB33_36:
	s_wait_xcnt 0x0
	s_and_not1_saveexec_b32 s2, s2
	s_cbranch_execz .LBB33_6
; %bb.37:
	v_dual_ashrrev_i32 v7, 31, v6 :: v_dual_mov_b32 v19, v2
	s_wait_kmcnt 0x0
	s_delay_alu instid0(VALU_DEP_1) | instskip(NEXT) | instid1(VALU_DEP_2)
	v_lshl_add_u64 v[32:33], v[6:7], 3, s[0:1]
	v_pk_mul_f32 v[6:7], v[22:23], v[18:19] op_sel_hi:[0,1]
	v_pk_mul_f32 v[20:21], v[20:21], v[18:19] op_sel_hi:[0,1]
	;; [unrolled: 1-line block ×4, first 2 shown]
	s_clause 0x1
	global_load_b128 v[24:27], v[32:33], off
	global_load_b128 v[28:31], v[32:33], off offset:16
	v_pk_fma_f32 v[0:1], v[2:3], v[0:1], v[6:7] op_sel_hi:[1,0,1]
	v_pk_fma_f32 v[6:7], v[2:3], v[8:9], v[20:21] op_sel_hi:[1,0,1]
	;; [unrolled: 1-line block ×4, first 2 shown]
	v_xor_b32_e32 v22, 0x80000000, v5
	s_wait_loadcnt 0x1
	v_dual_mov_b32 v23, v4 :: v_dual_mov_b32 v10, v27
	v_pk_fma_f32 v[0:1], v[4:5], v[24:25], v[0:1] op_sel_hi:[1,0,1]
	v_pk_fma_f32 v[6:7], v[4:5], v[26:27], v[6:7] op_sel_hi:[1,0,1]
	s_wait_loadcnt 0x0
	v_pk_fma_f32 v[8:9], v[4:5], v[28:29], v[8:9] op_sel_hi:[1,0,1]
	v_pk_fma_f32 v[12:13], v[4:5], v[30:31], v[2:3] op_sel_hi:[1,0,1]
	v_mov_b32_e32 v14, v31
	v_pk_fma_f32 v[0:1], v[22:23], v[24:25], v[0:1] op_sel:[0,1,0]
	v_pk_fma_f32 v[2:3], v[22:23], v[10:11], v[6:7] op_sel_hi:[1,0,1]
	v_pk_fma_f32 v[4:5], v[22:23], v[28:29], v[8:9] op_sel:[0,1,0]
	s_delay_alu instid0(VALU_DEP_4)
	v_pk_fma_f32 v[6:7], v[22:23], v[14:15], v[12:13] op_sel_hi:[1,0,1]
	s_clause 0x1
	global_store_b128 v[32:33], v[0:3], off
	global_store_b128 v[32:33], v[4:7], off offset:16
	s_sendmsg sendmsg(MSG_DEALLOC_VGPRS)
	s_endpgm
	.section	.rodata,"a",@progbits
	.p2align	6, 0x0
	.amdhsa_kernel _ZN9rocsparseL18bsrxmvn_4x4_kernelILj128ELj32E21rocsparse_complex_numIfEliS2_S2_S2_EEvT3_20rocsparse_direction_NS_24const_host_device_scalarIT1_EES3_PKS3_PKT2_SC_S9_PKT4_PKT5_S7_PT6_21rocsparse_index_base_b
		.amdhsa_group_segment_fixed_size 0
		.amdhsa_private_segment_fixed_size 0
		.amdhsa_kernarg_size 96
		.amdhsa_user_sgpr_count 2
		.amdhsa_user_sgpr_dispatch_ptr 0
		.amdhsa_user_sgpr_queue_ptr 0
		.amdhsa_user_sgpr_kernarg_segment_ptr 1
		.amdhsa_user_sgpr_dispatch_id 0
		.amdhsa_user_sgpr_kernarg_preload_length 0
		.amdhsa_user_sgpr_kernarg_preload_offset 0
		.amdhsa_user_sgpr_private_segment_size 0
		.amdhsa_wavefront_size32 1
		.amdhsa_uses_dynamic_stack 0
		.amdhsa_enable_private_segment 0
		.amdhsa_system_sgpr_workgroup_id_x 1
		.amdhsa_system_sgpr_workgroup_id_y 0
		.amdhsa_system_sgpr_workgroup_id_z 0
		.amdhsa_system_sgpr_workgroup_info 0
		.amdhsa_system_vgpr_workitem_id 0
		.amdhsa_next_free_vgpr 143
		.amdhsa_next_free_sgpr 16
		.amdhsa_named_barrier_count 0
		.amdhsa_reserve_vcc 1
		.amdhsa_float_round_mode_32 0
		.amdhsa_float_round_mode_16_64 0
		.amdhsa_float_denorm_mode_32 3
		.amdhsa_float_denorm_mode_16_64 3
		.amdhsa_fp16_overflow 0
		.amdhsa_memory_ordered 1
		.amdhsa_forward_progress 1
		.amdhsa_inst_pref_size 65
		.amdhsa_round_robin_scheduling 0
		.amdhsa_exception_fp_ieee_invalid_op 0
		.amdhsa_exception_fp_denorm_src 0
		.amdhsa_exception_fp_ieee_div_zero 0
		.amdhsa_exception_fp_ieee_overflow 0
		.amdhsa_exception_fp_ieee_underflow 0
		.amdhsa_exception_fp_ieee_inexact 0
		.amdhsa_exception_int_div_zero 0
	.end_amdhsa_kernel
	.section	.text._ZN9rocsparseL18bsrxmvn_4x4_kernelILj128ELj32E21rocsparse_complex_numIfEliS2_S2_S2_EEvT3_20rocsparse_direction_NS_24const_host_device_scalarIT1_EES3_PKS3_PKT2_SC_S9_PKT4_PKT5_S7_PT6_21rocsparse_index_base_b,"axG",@progbits,_ZN9rocsparseL18bsrxmvn_4x4_kernelILj128ELj32E21rocsparse_complex_numIfEliS2_S2_S2_EEvT3_20rocsparse_direction_NS_24const_host_device_scalarIT1_EES3_PKS3_PKT2_SC_S9_PKT4_PKT5_S7_PT6_21rocsparse_index_base_b,comdat
.Lfunc_end33:
	.size	_ZN9rocsparseL18bsrxmvn_4x4_kernelILj128ELj32E21rocsparse_complex_numIfEliS2_S2_S2_EEvT3_20rocsparse_direction_NS_24const_host_device_scalarIT1_EES3_PKS3_PKT2_SC_S9_PKT4_PKT5_S7_PT6_21rocsparse_index_base_b, .Lfunc_end33-_ZN9rocsparseL18bsrxmvn_4x4_kernelILj128ELj32E21rocsparse_complex_numIfEliS2_S2_S2_EEvT3_20rocsparse_direction_NS_24const_host_device_scalarIT1_EES3_PKS3_PKT2_SC_S9_PKT4_PKT5_S7_PT6_21rocsparse_index_base_b
                                        ; -- End function
	.set _ZN9rocsparseL18bsrxmvn_4x4_kernelILj128ELj32E21rocsparse_complex_numIfEliS2_S2_S2_EEvT3_20rocsparse_direction_NS_24const_host_device_scalarIT1_EES3_PKS3_PKT2_SC_S9_PKT4_PKT5_S7_PT6_21rocsparse_index_base_b.num_vgpr, 143
	.set _ZN9rocsparseL18bsrxmvn_4x4_kernelILj128ELj32E21rocsparse_complex_numIfEliS2_S2_S2_EEvT3_20rocsparse_direction_NS_24const_host_device_scalarIT1_EES3_PKS3_PKT2_SC_S9_PKT4_PKT5_S7_PT6_21rocsparse_index_base_b.num_agpr, 0
	.set _ZN9rocsparseL18bsrxmvn_4x4_kernelILj128ELj32E21rocsparse_complex_numIfEliS2_S2_S2_EEvT3_20rocsparse_direction_NS_24const_host_device_scalarIT1_EES3_PKS3_PKT2_SC_S9_PKT4_PKT5_S7_PT6_21rocsparse_index_base_b.numbered_sgpr, 16
	.set _ZN9rocsparseL18bsrxmvn_4x4_kernelILj128ELj32E21rocsparse_complex_numIfEliS2_S2_S2_EEvT3_20rocsparse_direction_NS_24const_host_device_scalarIT1_EES3_PKS3_PKT2_SC_S9_PKT4_PKT5_S7_PT6_21rocsparse_index_base_b.num_named_barrier, 0
	.set _ZN9rocsparseL18bsrxmvn_4x4_kernelILj128ELj32E21rocsparse_complex_numIfEliS2_S2_S2_EEvT3_20rocsparse_direction_NS_24const_host_device_scalarIT1_EES3_PKS3_PKT2_SC_S9_PKT4_PKT5_S7_PT6_21rocsparse_index_base_b.private_seg_size, 0
	.set _ZN9rocsparseL18bsrxmvn_4x4_kernelILj128ELj32E21rocsparse_complex_numIfEliS2_S2_S2_EEvT3_20rocsparse_direction_NS_24const_host_device_scalarIT1_EES3_PKS3_PKT2_SC_S9_PKT4_PKT5_S7_PT6_21rocsparse_index_base_b.uses_vcc, 1
	.set _ZN9rocsparseL18bsrxmvn_4x4_kernelILj128ELj32E21rocsparse_complex_numIfEliS2_S2_S2_EEvT3_20rocsparse_direction_NS_24const_host_device_scalarIT1_EES3_PKS3_PKT2_SC_S9_PKT4_PKT5_S7_PT6_21rocsparse_index_base_b.uses_flat_scratch, 1
	.set _ZN9rocsparseL18bsrxmvn_4x4_kernelILj128ELj32E21rocsparse_complex_numIfEliS2_S2_S2_EEvT3_20rocsparse_direction_NS_24const_host_device_scalarIT1_EES3_PKS3_PKT2_SC_S9_PKT4_PKT5_S7_PT6_21rocsparse_index_base_b.has_dyn_sized_stack, 0
	.set _ZN9rocsparseL18bsrxmvn_4x4_kernelILj128ELj32E21rocsparse_complex_numIfEliS2_S2_S2_EEvT3_20rocsparse_direction_NS_24const_host_device_scalarIT1_EES3_PKS3_PKT2_SC_S9_PKT4_PKT5_S7_PT6_21rocsparse_index_base_b.has_recursion, 0
	.set _ZN9rocsparseL18bsrxmvn_4x4_kernelILj128ELj32E21rocsparse_complex_numIfEliS2_S2_S2_EEvT3_20rocsparse_direction_NS_24const_host_device_scalarIT1_EES3_PKS3_PKT2_SC_S9_PKT4_PKT5_S7_PT6_21rocsparse_index_base_b.has_indirect_call, 0
	.section	.AMDGPU.csdata,"",@progbits
; Kernel info:
; codeLenInByte = 8224
; TotalNumSgprs: 18
; NumVgprs: 143
; ScratchSize: 0
; MemoryBound: 0
; FloatMode: 240
; IeeeMode: 1
; LDSByteSize: 0 bytes/workgroup (compile time only)
; SGPRBlocks: 0
; VGPRBlocks: 8
; NumSGPRsForWavesPerEU: 18
; NumVGPRsForWavesPerEU: 143
; NamedBarCnt: 0
; Occupancy: 7
; WaveLimiterHint : 1
; COMPUTE_PGM_RSRC2:SCRATCH_EN: 0
; COMPUTE_PGM_RSRC2:USER_SGPR: 2
; COMPUTE_PGM_RSRC2:TRAP_HANDLER: 0
; COMPUTE_PGM_RSRC2:TGID_X_EN: 1
; COMPUTE_PGM_RSRC2:TGID_Y_EN: 0
; COMPUTE_PGM_RSRC2:TGID_Z_EN: 0
; COMPUTE_PGM_RSRC2:TIDIG_COMP_CNT: 0
	.section	.text._ZN9rocsparseL18bsrxmvn_4x4_kernelILj128ELj64E21rocsparse_complex_numIfEliS2_S2_S2_EEvT3_20rocsparse_direction_NS_24const_host_device_scalarIT1_EES3_PKS3_PKT2_SC_S9_PKT4_PKT5_S7_PT6_21rocsparse_index_base_b,"axG",@progbits,_ZN9rocsparseL18bsrxmvn_4x4_kernelILj128ELj64E21rocsparse_complex_numIfEliS2_S2_S2_EEvT3_20rocsparse_direction_NS_24const_host_device_scalarIT1_EES3_PKS3_PKT2_SC_S9_PKT4_PKT5_S7_PT6_21rocsparse_index_base_b,comdat
	.globl	_ZN9rocsparseL18bsrxmvn_4x4_kernelILj128ELj64E21rocsparse_complex_numIfEliS2_S2_S2_EEvT3_20rocsparse_direction_NS_24const_host_device_scalarIT1_EES3_PKS3_PKT2_SC_S9_PKT4_PKT5_S7_PT6_21rocsparse_index_base_b ; -- Begin function _ZN9rocsparseL18bsrxmvn_4x4_kernelILj128ELj64E21rocsparse_complex_numIfEliS2_S2_S2_EEvT3_20rocsparse_direction_NS_24const_host_device_scalarIT1_EES3_PKS3_PKT2_SC_S9_PKT4_PKT5_S7_PT6_21rocsparse_index_base_b
	.p2align	8
	.type	_ZN9rocsparseL18bsrxmvn_4x4_kernelILj128ELj64E21rocsparse_complex_numIfEliS2_S2_S2_EEvT3_20rocsparse_direction_NS_24const_host_device_scalarIT1_EES3_PKS3_PKT2_SC_S9_PKT4_PKT5_S7_PT6_21rocsparse_index_base_b,@function
_ZN9rocsparseL18bsrxmvn_4x4_kernelILj128ELj64E21rocsparse_complex_numIfEliS2_S2_S2_EEvT3_20rocsparse_direction_NS_24const_host_device_scalarIT1_EES3_PKS3_PKT2_SC_S9_PKT4_PKT5_S7_PT6_21rocsparse_index_base_b: ; @_ZN9rocsparseL18bsrxmvn_4x4_kernelILj128ELj64E21rocsparse_complex_numIfEliS2_S2_S2_EEvT3_20rocsparse_direction_NS_24const_host_device_scalarIT1_EES3_PKS3_PKT2_SC_S9_PKT4_PKT5_S7_PT6_21rocsparse_index_base_b
; %bb.0:
	s_clause 0x2
	s_load_b64 s[12:13], s[0:1], 0x58
	s_load_b64 s[2:3], s[0:1], 0x8
	;; [unrolled: 1-line block ×3, first 2 shown]
	v_mov_b32_e32 v1, 0
	s_add_nc_u64 s[6:7], s[0:1], 8
	s_add_nc_u64 s[8:9], s[0:1], 0x48
	s_wait_kmcnt 0x0
	s_bitcmp1_b32 s13, 0
	s_cselect_b32 s3, s7, s3
	s_cselect_b32 s2, s6, s2
	;; [unrolled: 1-line block ×4, first 2 shown]
	s_clause 0x1
	flat_load_b64 v[2:3], v1, s[2:3]
	flat_load_b64 v[4:5], v1, s[4:5]
	s_wait_loadcnt_dscnt 0x101
	v_cmp_neq_f32_e32 vcc_lo, 0, v2
	v_cmp_neq_f32_e64 s3, 0, v3
	s_wait_loadcnt_dscnt 0x0
	v_cmp_neq_f32_e64 s4, 1.0, v4
	v_cmp_neq_f32_e64 s2, 0, v5
	s_or_b32 s5, vcc_lo, s3
	s_mov_b32 s3, 0
	s_or_b32 s4, s4, s2
	s_delay_alu instid0(SALU_CYCLE_1) | instskip(NEXT) | instid1(SALU_CYCLE_1)
	s_or_b32 s4, s5, s4
	s_and_saveexec_b32 s5, s4
	s_cbranch_execz .LBB34_6
; %bb.1:
	s_clause 0x1
	s_load_b64 s[4:5], s[0:1], 0x18
	s_load_b64 s[14:15], s[0:1], 0x0
	s_bfe_u32 s6, ttmp6, 0x4000c
	s_and_b32 s7, ttmp6, 15
	s_add_co_i32 s6, s6, 1
	s_getreg_b32 s8, hwreg(HW_REG_IB_STS2, 6, 4)
	s_mul_i32 s6, ttmp9, s6
	v_lshrrev_b32_e32 v1, 6, v0
	s_add_co_i32 s7, s7, s6
	s_cmp_eq_u32 s8, 0
	s_cselect_b32 s6, ttmp9, s7
	s_delay_alu instid0(VALU_DEP_1) | instid1(SALU_CYCLE_1)
	v_lshl_or_b32 v6, s6, 1, v1
	s_wait_kmcnt 0x0
	s_cmp_lg_u64 s[4:5], 0
	s_cbranch_scc0 .LBB34_7
; %bb.2:
	s_load_b32 s3, s[0:1], 0x10
	s_mov_b32 s6, 0
                                        ; implicit-def: $vgpr1
	s_wait_kmcnt 0x0
	v_cmp_gt_i32_e32 vcc_lo, s3, v6
	s_mov_b32 s3, 0
	s_and_saveexec_b32 s7, vcc_lo
	s_delay_alu instid0(SALU_CYCLE_1)
	s_xor_b32 s7, exec_lo, s7
	s_cbranch_execz .LBB34_4
; %bb.3:
	global_load_b32 v1, v6, s[4:5] scale_offset
	s_mov_b32 s3, exec_lo
	s_wait_loadcnt 0x0
	v_subrev_nc_u32_e32 v1, s12, v1
.LBB34_4:
	s_or_b32 exec_lo, exec_lo, s7
	s_delay_alu instid0(SALU_CYCLE_1)
	s_and_b32 vcc_lo, exec_lo, s6
	s_cbranch_vccz .LBB34_8
.LBB34_5:
	v_cmp_gt_i32_e32 vcc_lo, s14, v6
	s_and_not1_b32 s3, s3, exec_lo
	s_and_b32 s4, vcc_lo, exec_lo
	s_delay_alu instid0(SALU_CYCLE_1) | instskip(NEXT) | instid1(SALU_CYCLE_1)
	s_or_b32 s3, s3, s4
	s_and_b32 exec_lo, exec_lo, s3
	s_cbranch_execnz .LBB34_9
.LBB34_6:
	s_sendmsg sendmsg(MSG_DEALLOC_VGPRS)
	s_endpgm
.LBB34_7:
                                        ; implicit-def: $vgpr1
	s_cbranch_execnz .LBB34_5
.LBB34_8:
	s_delay_alu instid0(VALU_DEP_1)
	v_mov_b32_e32 v6, v1
	s_and_b32 exec_lo, exec_lo, s3
	s_cbranch_execz .LBB34_6
.LBB34_9:
	s_load_b256 s[4:11], s[0:1], 0x20
	s_mov_b32 s13, 0
	v_dual_mov_b32 v1, 0 :: v_dual_bitop2_b32 v0, 63, v0 bitop3:0x40
	s_wait_kmcnt 0x0
	s_cmp_eq_u64 s[6:7], 0
	global_load_b64 v[22:23], v6, s[4:5] scale_offset
	s_cselect_b32 vcc_lo, -1, 0
	v_ashrrev_i32_e32 v7, 31, v6
	s_cmp_eq_u32 s15, 1
	s_delay_alu instid0(VALU_DEP_1) | instskip(NEXT) | instid1(VALU_DEP_1)
	v_lshlrev_b64_e32 v[8:9], 3, v[6:7]
	v_add_nc_u64_e32 v[10:11], s[4:5], v[8:9]
	v_add_nc_u64_e32 v[8:9], s[6:7], v[8:9]
	s_wait_xcnt 0x0
	s_load_b64 s[4:5], s[0:1], 0x40
	s_delay_alu instid0(VALU_DEP_2) | instskip(NEXT) | instid1(VALU_DEP_1)
	v_add_nc_u64_e32 v[10:11], 8, v[10:11]
	v_dual_cndmask_b32 v9, v9, v11 :: v_dual_cndmask_b32 v8, v8, v10
	global_load_b64 v[10:11], v[8:9], off
	s_wait_loadcnt 0x1
	s_wait_xcnt 0x0
	v_sub_nc_u64_e64 v[8:9], v[22:23], s[12:13]
	s_delay_alu instid0(VALU_DEP_1) | instskip(NEXT) | instid1(VALU_DEP_1)
	v_add_nc_u64_e32 v[8:9], v[8:9], v[0:1]
	v_lshlrev_b64_e32 v[12:13], 7, v[8:9]
	s_delay_alu instid0(VALU_DEP_1) | instskip(SKIP_2) | instid1(VALU_DEP_1)
	v_add_nc_u64_e32 v[12:13], s[10:11], v[12:13]
	s_wait_loadcnt 0x0
	v_sub_nc_u64_e64 v[10:11], v[10:11], s[12:13]
	v_cmp_lt_i64_e64 s3, v[8:9], v[10:11]
	s_cbranch_scc1 .LBB34_21
; %bb.10:
	v_dual_mov_b32 v21, v1 :: v_dual_mov_b32 v20, v1
	v_dual_mov_b32 v17, v1 :: v_dual_mov_b32 v16, v1
	;; [unrolled: 1-line block ×4, first 2 shown]
	s_and_saveexec_b32 s6, s3
	s_cbranch_execz .LBB34_20
; %bb.11:
	v_dual_mov_b32 v15, v1 :: v_dual_bitop2_b32 v14, 64, v0 bitop3:0x54
	v_sub_nc_u64_e32 v[16:17], s[12:13], v[0:1]
	v_not_b32_e32 v19, v23
	v_not_b32_e32 v18, v22
	v_mov_b64_e32 v[26:27], v[12:13]
	v_sub_nc_u64_e64 v[14:15], v[14:15], s[12:13]
	v_mov_b64_e32 v[24:25], v[8:9]
	s_delay_alu instid0(VALU_DEP_4) | instskip(NEXT) | instid1(VALU_DEP_3)
	v_add_nc_u64_e32 v[16:17], v[16:17], v[18:19]
	v_add_nc_u64_e32 v[14:15], v[14:15], v[22:23]
	s_delay_alu instid0(VALU_DEP_1) | instskip(NEXT) | instid1(VALU_DEP_1)
	v_max_i64 v[14:15], v[14:15], v[10:11]
	v_add_nc_u64_e32 v[28:29], v[16:17], v[14:15]
	v_mov_b32_e32 v15, 0
	s_delay_alu instid0(VALU_DEP_1) | instskip(NEXT) | instid1(VALU_DEP_3)
	v_dual_mov_b32 v19, v15 :: v_dual_mov_b32 v18, v15
	v_and_b32_e32 v14, 0xc0, v28
	v_dual_mov_b32 v17, v15 :: v_dual_mov_b32 v16, v15
	v_dual_mov_b32 v20, v15 :: v_dual_mov_b32 v21, v15
	s_delay_alu instid0(VALU_DEP_3)
	v_cmp_ne_u64_e32 vcc_lo, 0xc0, v[14:15]
	v_mov_b32_e32 v14, v15
	s_and_saveexec_b32 s7, vcc_lo
	s_cbranch_execz .LBB34_15
; %bb.12:
	v_dual_lshrrev_b32 v7, 6, v28 :: v_dual_mov_b32 v15, 0
	v_mov_b64_e32 v[24:25], v[8:9]
	v_mov_b64_e32 v[26:27], v[12:13]
	v_lshl_add_u64 v[30:31], v[8:9], 2, s[8:9]
	s_delay_alu instid0(VALU_DEP_4) | instskip(SKIP_1) | instid1(VALU_DEP_2)
	v_dual_mov_b32 v18, v15 :: v_dual_add_nc_u32 v7, 1, v7
	v_dual_mov_b32 v16, v15 :: v_dual_mov_b32 v17, v15
	v_dual_mov_b32 v20, v15 :: v_dual_bitop2_b32 v14, 3, v7 bitop3:0x40
	v_dual_mov_b32 v19, v15 :: v_dual_mov_b32 v21, v15
	s_mov_b32 s10, 0
	s_delay_alu instid0(VALU_DEP_2)
	v_sub_nc_u64_e32 v[32:33], 0, v[14:15]
	v_mov_b32_e32 v14, v15
.LBB34_13:                              ; =>This Inner Loop Header: Depth=1
	global_load_b32 v7, v[30:31], off
	s_clause 0x6
	global_load_b128 v[34:37], v[26:27], off offset:48
	global_load_b128 v[38:41], v[26:27], off offset:32
	;; [unrolled: 1-line block ×3, first 2 shown]
	global_load_b128 v[46:49], v[26:27], off
	global_load_b128 v[54:57], v[26:27], off offset:80
	global_load_b128 v[58:61], v[26:27], off offset:64
	;; [unrolled: 1-line block ×3, first 2 shown]
	v_add_nc_u64_e32 v[32:33], 1, v[32:33]
	v_add_nc_u64_e32 v[24:25], 64, v[24:25]
	s_wait_xcnt 0x7
	v_add_nc_u64_e32 v[30:31], 0x100, v[30:31]
	s_delay_alu instid0(VALU_DEP_3)
	v_cmp_eq_u64_e32 vcc_lo, 0, v[32:33]
	s_or_b32 s10, vcc_lo, s10
	s_wait_loadcnt 0x7
	v_subrev_nc_u32_e32 v7, s12, v7
	s_wait_loadcnt 0x6
	v_xor_b32_e32 v80, 0x80000000, v37
	s_wait_loadcnt 0x5
	v_xor_b32_e32 v78, 0x80000000, v41
	v_dual_mov_b32 v79, v40 :: v_dual_mov_b32 v81, v36
	v_lshlrev_b32_e32 v62, 2, v7
	s_wait_loadcnt 0x1
	v_xor_b32_e32 v82, 0x80000000, v61
	v_xor_b32_e32 v76, 0x80000000, v45
	;; [unrolled: 1-line block ×3, first 2 shown]
	v_dual_mov_b32 v77, v44 :: v_dual_ashrrev_i32 v63, 31, v62
	v_mov_b32_e32 v85, v56
	s_wait_kmcnt 0x0
	s_delay_alu instid0(VALU_DEP_2)
	v_lshl_add_u64 v[74:75], v[62:63], 3, s[4:5]
	global_load_b128 v[62:65], v[26:27], off offset:96
	s_clause 0x1
	global_load_b128 v[66:69], v[74:75], off
	global_load_b128 v[70:73], v[74:75], off offset:16
	s_wait_xcnt 0x0
	v_xor_b32_e32 v74, 0x80000000, v49
	v_dual_mov_b32 v75, v48 :: v_dual_mov_b32 v83, v60
	v_add_nc_u64_e32 v[26:27], 0x2000, v[26:27]
	s_wait_loadcnt 0x2
	v_xor_b32_e32 v86, 0x80000000, v65
	s_wait_loadcnt 0x1
	v_pk_fma_f32 v[20:21], v[46:47], v[66:67], v[20:21] op_sel_hi:[1,0,1]
	v_pk_fma_f32 v[14:15], v[38:39], v[66:67], v[14:15] op_sel_hi:[1,0,1]
	;; [unrolled: 1-line block ×4, first 2 shown]
	v_mov_b32_e32 v87, v64
	v_pk_fma_f32 v[20:21], v[46:47], v[66:67], v[20:21] op_sel:[1,1,0] op_sel_hi:[0,1,1] neg_lo:[1,0,0]
	v_pk_fma_f32 v[14:15], v[38:39], v[66:67], v[14:15] op_sel:[1,1,0] op_sel_hi:[0,1,1] neg_lo:[1,0,0]
	;; [unrolled: 1-line block ×4, first 2 shown]
	v_mov_b32_e32 v38, v69
	v_pk_fma_f32 v[20:21], v[48:49], v[68:69], v[20:21] op_sel_hi:[1,0,1]
	v_pk_fma_f32 v[14:15], v[40:41], v[68:69], v[14:15] op_sel_hi:[1,0,1]
	;; [unrolled: 1-line block ×4, first 2 shown]
	s_delay_alu instid0(VALU_DEP_4) | instskip(NEXT) | instid1(VALU_DEP_4)
	v_pk_fma_f32 v[20:21], v[74:75], v[38:39], v[20:21] op_sel_hi:[1,0,1]
	v_pk_fma_f32 v[14:15], v[78:79], v[38:39], v[14:15] op_sel_hi:[1,0,1]
	s_delay_alu instid0(VALU_DEP_4) | instskip(NEXT) | instid1(VALU_DEP_4)
	v_pk_fma_f32 v[18:19], v[82:83], v[38:39], v[18:19] op_sel_hi:[1,0,1]
	v_pk_fma_f32 v[16:17], v[86:87], v[38:39], v[16:17] op_sel_hi:[1,0,1]
	v_xor_b32_e32 v38, 0x80000000, v53
	s_wait_loadcnt 0x0
	v_pk_fma_f32 v[20:21], v[42:43], v[70:71], v[20:21] op_sel_hi:[1,0,1]
	v_pk_fma_f32 v[14:15], v[34:35], v[70:71], v[14:15] op_sel_hi:[1,0,1]
	;; [unrolled: 1-line block ×4, first 2 shown]
	v_mov_b32_e32 v39, v52
	v_pk_fma_f32 v[20:21], v[42:43], v[70:71], v[20:21] op_sel:[1,1,0] op_sel_hi:[0,1,1] neg_lo:[1,0,0]
	v_pk_fma_f32 v[14:15], v[34:35], v[70:71], v[14:15] op_sel:[1,1,0] op_sel_hi:[0,1,1] neg_lo:[1,0,0]
	;; [unrolled: 1-line block ×4, first 2 shown]
	v_mov_b32_e32 v34, v73
	v_pk_fma_f32 v[20:21], v[44:45], v[72:73], v[20:21] op_sel_hi:[1,0,1]
	v_pk_fma_f32 v[14:15], v[36:37], v[72:73], v[14:15] op_sel_hi:[1,0,1]
	;; [unrolled: 1-line block ×4, first 2 shown]
	s_delay_alu instid0(VALU_DEP_4) | instskip(NEXT) | instid1(VALU_DEP_4)
	v_pk_fma_f32 v[20:21], v[76:77], v[34:35], v[20:21] op_sel_hi:[1,0,1]
	v_pk_fma_f32 v[14:15], v[80:81], v[34:35], v[14:15] op_sel_hi:[1,0,1]
	s_delay_alu instid0(VALU_DEP_4) | instskip(NEXT) | instid1(VALU_DEP_4)
	v_pk_fma_f32 v[18:19], v[84:85], v[34:35], v[18:19] op_sel_hi:[1,0,1]
	v_pk_fma_f32 v[16:17], v[38:39], v[34:35], v[16:17] op_sel_hi:[1,0,1]
	s_and_not1_b32 exec_lo, exec_lo, s10
	s_cbranch_execnz .LBB34_13
; %bb.14:
	s_or_b32 exec_lo, exec_lo, s10
.LBB34_15:
	s_delay_alu instid0(SALU_CYCLE_1) | instskip(NEXT) | instid1(SALU_CYCLE_1)
	s_or_b32 exec_lo, exec_lo, s7
	s_mov_b32 s7, exec_lo
	v_cmpx_lt_u64_e32 0xbf, v[28:29]
	s_cbranch_execz .LBB34_19
; %bb.16:
	v_lshl_add_u64 v[28:29], v[24:25], 2, s[8:9]
	s_mov_b32 s10, 0
	s_delay_alu instid0(VALU_DEP_1)
	v_add_nc_u64_e32 v[28:29], 0x200, v[28:29]
.LBB34_17:                              ; =>This Inner Loop Header: Depth=1
	global_load_b32 v7, v[28:29], off offset:-512
	s_clause 0xf
	global_load_b128 v[30:33], v[26:27], off
	global_load_b128 v[34:37], v[26:27], off offset:16
	global_load_b128 v[38:41], v[26:27], off offset:48
	;; [unrolled: 1-line block ×15, first 2 shown]
	s_clause 0x2
	global_load_b32 v140, v[28:29], off offset:-256
	global_load_b32 v141, v[28:29], off
	global_load_b32 v142, v[28:29], off offset:256
	s_clause 0x6
	global_load_b128 v[94:97], v[26:27], off offset:16432
	global_load_b128 v[98:101], v[26:27], off offset:16416
	;; [unrolled: 1-line block ×7, first 2 shown]
	v_add_nc_u64_e32 v[24:25], 0x100, v[24:25]
	s_wait_xcnt 0x7
	v_add_nc_u64_e32 v[28:29], 0x400, v[28:29]
	s_delay_alu instid0(VALU_DEP_2)
	v_cmp_ge_i64_e32 vcc_lo, v[24:25], v[10:11]
	s_or_b32 s10, vcc_lo, s10
	s_wait_loadcnt 0x1a
	v_subrev_nc_u32_e32 v7, s12, v7
	s_wait_loadcnt 0x19
	v_mov_b32_e32 v131, v32
	v_xor_b32_e32 v130, 0x80000000, v33
	s_wait_loadcnt 0x16
	v_xor_b32_e32 v134, 0x80000000, v45
	v_dual_mov_b32 v135, v44 :: v_dual_lshlrev_b32 v122, 2, v7
	s_delay_alu instid0(VALU_DEP_1)
	v_ashrrev_i32_e32 v123, 31, v122
	s_wait_loadcnt 0xe
	v_xor_b32_e32 v138, 0x80000000, v77
	v_mov_b32_e32 v139, v76
	s_wait_kmcnt 0x0
	v_lshl_add_u64 v[132:133], v[122:123], 3, s[4:5]
	s_clause 0x1
	global_load_b128 v[122:125], v[132:133], off
	global_load_b128 v[126:129], v[132:133], off offset:16
	s_wait_loadcnt 0xb
	v_subrev_nc_u32_e32 v7, s12, v140
	s_wait_loadcnt 0x1
	v_pk_fma_f32 v[14:15], v[42:43], v[122:123], v[14:15] op_sel_hi:[1,0,1]
	v_pk_fma_f32 v[20:21], v[30:31], v[122:123], v[20:21] op_sel_hi:[1,0,1]
	s_delay_alu instid0(VALU_DEP_2) | instskip(NEXT) | instid1(VALU_DEP_2)
	v_pk_fma_f32 v[14:15], v[42:43], v[122:123], v[14:15] op_sel:[1,1,0] op_sel_hi:[0,1,1] neg_lo:[1,0,0]
	v_pk_fma_f32 v[20:21], v[30:31], v[122:123], v[20:21] op_sel:[1,1,0] op_sel_hi:[0,1,1] neg_lo:[1,0,0]
	s_delay_alu instid0(VALU_DEP_2) | instskip(SKIP_2) | instid1(VALU_DEP_3)
	v_pk_fma_f32 v[136:137], v[44:45], v[124:125], v[14:15] op_sel_hi:[1,0,1]
	v_pk_fma_f32 v[14:15], v[74:75], v[122:123], v[18:19] op_sel_hi:[1,0,1]
	s_wait_xcnt 0x0
	v_pk_fma_f32 v[132:133], v[32:33], v[124:125], v[20:21] op_sel_hi:[1,0,1]
	s_clause 0x2
	global_load_b128 v[30:33], v[26:27], off offset:16448
	global_load_b128 v[18:21], v[26:27], off offset:24624
	;; [unrolled: 1-line block ×3, first 2 shown]
	v_pk_fma_f32 v[14:15], v[74:75], v[122:123], v[14:15] op_sel:[1,1,0] op_sel_hi:[0,1,1] neg_lo:[1,0,0]
	s_delay_alu instid0(VALU_DEP_1) | instskip(SKIP_3) | instid1(VALU_DEP_3)
	v_pk_fma_f32 v[74:75], v[76:77], v[124:125], v[14:15] op_sel_hi:[1,0,1]
	v_pk_fma_f32 v[14:15], v[66:67], v[122:123], v[16:17] op_sel_hi:[1,0,1]
	v_xor_b32_e32 v76, 0x80000000, v69
	v_mov_b32_e32 v77, v68
	v_pk_fma_f32 v[14:15], v[66:67], v[122:123], v[14:15] op_sel:[1,1,0] op_sel_hi:[0,1,1] neg_lo:[1,0,0]
	s_delay_alu instid0(VALU_DEP_1)
	v_pk_fma_f32 v[122:123], v[68:69], v[124:125], v[14:15] op_sel_hi:[1,0,1]
	v_mov_b32_e32 v124, v125
	s_clause 0x1
	global_load_b128 v[14:17], v[26:27], off offset:24608
	global_load_b128 v[66:69], v[26:27], off offset:24576
	v_pk_fma_f32 v[76:77], v[76:77], v[124:125], v[122:123] op_sel_hi:[1,0,1]
	v_mov_b32_e32 v123, v36
	v_pk_fma_f32 v[130:131], v[130:131], v[124:125], v[132:133] op_sel_hi:[1,0,1]
	v_pk_fma_f32 v[132:133], v[134:135], v[124:125], v[136:137] op_sel_hi:[1,0,1]
	;; [unrolled: 1-line block ×3, first 2 shown]
	v_xor_b32_e32 v122, 0x80000000, v37
	v_xor_b32_e32 v134, 0x80000000, v73
	s_wait_loadcnt 0x5
	v_pk_fma_f32 v[124:125], v[34:35], v[126:127], v[130:131] op_sel_hi:[1,0,1]
	v_pk_fma_f32 v[132:133], v[38:39], v[126:127], v[132:133] op_sel_hi:[1,0,1]
	v_mov_b32_e32 v137, v52
	v_xor_b32_e32 v130, 0x80000000, v41
	v_dual_mov_b32 v131, v40 :: v_dual_mov_b32 v135, v72
	s_delay_alu instid0(VALU_DEP_4) | instskip(SKIP_2) | instid1(VALU_DEP_3)
	v_pk_fma_f32 v[38:39], v[38:39], v[126:127], v[132:133] op_sel:[1,1,0] op_sel_hi:[0,1,1] neg_lo:[1,0,0]
	v_pk_fma_f32 v[34:35], v[34:35], v[126:127], v[124:125] op_sel:[1,1,0] op_sel_hi:[0,1,1] neg_lo:[1,0,0]
	v_xor_b32_e32 v136, 0x80000000, v53
	v_pk_fma_f32 v[132:133], v[40:41], v[128:129], v[38:39] op_sel_hi:[1,0,1]
	v_pk_fma_f32 v[38:39], v[70:71], v[126:127], v[74:75] op_sel_hi:[1,0,1]
	v_pk_fma_f32 v[74:75], v[62:63], v[126:127], v[76:77] op_sel_hi:[1,0,1]
	v_pk_fma_f32 v[124:125], v[36:37], v[128:129], v[34:35] op_sel_hi:[1,0,1]
	v_subrev_nc_u32_e32 v77, s12, v142
	global_load_b128 v[34:37], v[26:27], off offset:24672
	v_pk_fma_f32 v[38:39], v[70:71], v[126:127], v[38:39] op_sel:[1,1,0] op_sel_hi:[0,1,1] neg_lo:[1,0,0]
	v_pk_fma_f32 v[62:63], v[62:63], v[126:127], v[74:75] op_sel:[1,1,0] op_sel_hi:[0,1,1] neg_lo:[1,0,0]
	v_mov_b32_e32 v127, v60
	v_xor_b32_e32 v126, 0x80000000, v61
	s_delay_alu instid0(VALU_DEP_4)
	v_pk_fma_f32 v[70:71], v[72:73], v[128:129], v[38:39] op_sel_hi:[1,0,1]
	v_mov_b32_e32 v73, v64
	v_pk_fma_f32 v[62:63], v[64:65], v[128:129], v[62:63] op_sel_hi:[1,0,1]
	v_mov_b32_e32 v64, v129
	v_xor_b32_e32 v72, 0x80000000, v65
	global_load_b128 v[38:41], v[26:27], off offset:24640
	v_mov_b32_e32 v129, v92
	v_xor_b32_e32 v128, 0x80000000, v93
	v_pk_fma_f32 v[74:75], v[122:123], v[64:65], v[124:125] op_sel_hi:[1,0,1]
	v_subrev_nc_u32_e32 v65, s12, v141
	v_lshlrev_b32_e32 v76, 2, v7
	v_xor_b32_e32 v122, 0x80000000, v85
	v_mov_b32_e32 v123, v84
	s_delay_alu instid0(VALU_DEP_4) | instskip(SKIP_4) | instid1(VALU_DEP_3)
	v_pk_fma_f32 v[124:125], v[130:131], v[64:65], v[132:133] op_sel_hi:[1,0,1]
	v_lshlrev_b32_e32 v130, 2, v65
	v_dual_lshlrev_b32 v132, 2, v77 :: v_dual_ashrrev_i32 v77, 31, v76
	v_pk_fma_f32 v[134:135], v[134:135], v[64:65], v[70:71] op_sel_hi:[1,0,1]
	v_pk_fma_f32 v[138:139], v[72:73], v[64:65], v[62:63] op_sel_hi:[1,0,1]
	v_dual_ashrrev_i32 v131, 31, v130 :: v_dual_ashrrev_i32 v133, 31, v132
	s_delay_alu instid0(VALU_DEP_4)
	v_lshl_add_u64 v[76:77], v[76:77], 3, s[4:5]
	s_clause 0x1
	global_load_b128 v[62:65], v[76:77], off
	global_load_b128 v[70:73], v[76:77], off offset:16
	s_wait_xcnt 0x0
	v_lshl_add_u64 v[76:77], v[130:131], 3, s[4:5]
	v_lshl_add_u64 v[130:131], v[132:133], 3, s[4:5]
	s_wait_loadcnt 0x1
	v_pk_fma_f32 v[74:75], v[58:59], v[62:63], v[74:75] op_sel_hi:[1,0,1]
	v_mov_b32_e32 v140, v65
	s_delay_alu instid0(VALU_DEP_2) | instskip(SKIP_1) | instid1(VALU_DEP_2)
	v_pk_fma_f32 v[58:59], v[58:59], v[62:63], v[74:75] op_sel:[1,1,0] op_sel_hi:[0,1,1] neg_lo:[1,0,0]
	v_pk_fma_f32 v[74:75], v[50:51], v[62:63], v[124:125] op_sel_hi:[1,0,1]
	v_pk_fma_f32 v[132:133], v[60:61], v[64:65], v[58:59] op_sel_hi:[1,0,1]
	global_load_b128 v[58:61], v[76:77], off
	v_pk_fma_f32 v[50:51], v[50:51], v[62:63], v[74:75] op_sel:[1,1,0] op_sel_hi:[0,1,1] neg_lo:[1,0,0]
	v_pk_fma_f32 v[74:75], v[90:91], v[62:63], v[134:135] op_sel_hi:[1,0,1]
	s_delay_alu instid0(VALU_DEP_2) | instskip(SKIP_3) | instid1(VALU_DEP_2)
	v_pk_fma_f32 v[124:125], v[52:53], v[64:65], v[50:51] op_sel_hi:[1,0,1]
	global_load_b128 v[50:53], v[76:77], off offset:16
	v_pk_fma_f32 v[74:75], v[90:91], v[62:63], v[74:75] op_sel:[1,1,0] op_sel_hi:[0,1,1] neg_lo:[1,0,0]
	v_pk_fma_f32 v[90:91], v[82:83], v[62:63], v[138:139] op_sel_hi:[1,0,1]
	v_pk_fma_f32 v[134:135], v[92:93], v[64:65], v[74:75] op_sel_hi:[1,0,1]
	global_load_b128 v[74:77], v[130:131], off
	v_pk_fma_f32 v[62:63], v[82:83], v[62:63], v[90:91] op_sel:[1,1,0] op_sel_hi:[0,1,1] neg_lo:[1,0,0]
	global_load_b128 v[90:93], v[130:131], off offset:16
	s_wait_xcnt 0x0
	v_mov_b32_e32 v131, v56
	v_pk_fma_f32 v[126:127], v[126:127], v[140:141], v[132:133] op_sel_hi:[1,0,1]
	v_pk_fma_f32 v[124:125], v[136:137], v[140:141], v[124:125] op_sel_hi:[1,0,1]
	;; [unrolled: 1-line block ×3, first 2 shown]
	s_clause 0x1
	global_load_b128 v[82:85], v[26:27], off offset:24656
	global_load_b128 v[62:65], v[26:27], off offset:24688
	v_pk_fma_f32 v[128:129], v[128:129], v[140:141], v[134:135] op_sel_hi:[1,0,1]
	s_wait_loadcnt 0x6
	v_pk_fma_f32 v[126:127], v[54:55], v[70:71], v[126:127] op_sel_hi:[1,0,1]
	v_pk_fma_f32 v[122:123], v[122:123], v[140:141], v[138:139] op_sel_hi:[1,0,1]
	;; [unrolled: 1-line block ×3, first 2 shown]
	v_xor_b32_e32 v130, 0x80000000, v57
	v_pk_fma_f32 v[128:129], v[86:87], v[70:71], v[128:129] op_sel_hi:[1,0,1]
	v_pk_fma_f32 v[54:55], v[54:55], v[70:71], v[126:127] op_sel:[1,1,0] op_sel_hi:[0,1,1] neg_lo:[1,0,0]
	v_pk_fma_f32 v[122:123], v[78:79], v[70:71], v[122:123] op_sel_hi:[1,0,1]
	v_pk_fma_f32 v[46:47], v[46:47], v[70:71], v[124:125] op_sel:[1,1,0] op_sel_hi:[0,1,1] neg_lo:[1,0,0]
	v_xor_b32_e32 v132, 0x80000000, v49
	v_pk_fma_f32 v[86:87], v[86:87], v[70:71], v[128:129] op_sel:[1,1,0] op_sel_hi:[0,1,1] neg_lo:[1,0,0]
	v_dual_mov_b32 v133, v48 :: v_dual_mov_b32 v135, v88
	v_pk_fma_f32 v[70:71], v[78:79], v[70:71], v[122:123] op_sel:[1,1,0] op_sel_hi:[0,1,1] neg_lo:[1,0,0]
	v_xor_b32_e32 v134, 0x80000000, v89
	v_xor_b32_e32 v136, 0x80000000, v81
	v_mov_b32_e32 v137, v80
	v_pk_fma_f32 v[54:55], v[56:57], v[72:73], v[54:55] op_sel_hi:[1,0,1]
	v_pk_fma_f32 v[46:47], v[48:49], v[72:73], v[46:47] op_sel_hi:[1,0,1]
	;; [unrolled: 1-line block ×4, first 2 shown]
	v_dual_mov_b32 v81, v96 :: v_dual_mov_b32 v72, v73
	v_mov_b32_e32 v57, v108
	v_xor_b32_e32 v56, 0x80000000, v109
	v_xor_b32_e32 v126, 0x80000000, v101
	v_dual_mov_b32 v127, v100 :: v_dual_mov_b32 v49, v32
	v_pk_fma_f32 v[54:55], v[130:131], v[72:73], v[54:55] op_sel_hi:[1,0,1]
	v_pk_fma_f32 v[46:47], v[132:133], v[72:73], v[46:47] op_sel_hi:[1,0,1]
	;; [unrolled: 1-line block ×4, first 2 shown]
	v_xor_b32_e32 v48, 0x80000000, v33
	v_xor_b32_e32 v124, 0x80000000, v117
	v_dual_mov_b32 v125, v116 :: v_dual_mov_b32 v89, v104
	v_mov_b32_e32 v133, v120
	v_xor_b32_e32 v88, 0x80000000, v105
	v_xor_b32_e32 v80, 0x80000000, v97
	;; [unrolled: 1-line block ×4, first 2 shown]
	v_dual_mov_b32 v129, v68 :: v_dual_mov_b32 v79, v44
	v_xor_b32_e32 v122, 0x80000000, v17
	v_dual_mov_b32 v123, v16 :: v_dual_mov_b32 v131, v20
	v_xor_b32_e32 v78, 0x80000000, v45
	v_xor_b32_e32 v130, 0x80000000, v21
	s_wait_xcnt 0x0
	v_add_nc_u64_e32 v[26:27], 0x8000, v[26:27]
	s_wait_loadcnt 0x5
	v_pk_fma_f32 v[54:55], v[106:107], v[58:59], v[54:55] op_sel_hi:[1,0,1]
	v_pk_fma_f32 v[46:47], v[98:99], v[58:59], v[46:47] op_sel_hi:[1,0,1]
	;; [unrolled: 1-line block ×4, first 2 shown]
	v_mov_b32_e32 v87, v40
	v_pk_fma_f32 v[54:55], v[106:107], v[58:59], v[54:55] op_sel:[1,1,0] op_sel_hi:[0,1,1] neg_lo:[1,0,0]
	v_pk_fma_f32 v[46:47], v[98:99], v[58:59], v[46:47] op_sel:[1,1,0] op_sel_hi:[0,1,1] neg_lo:[1,0,0]
	;; [unrolled: 1-line block ×4, first 2 shown]
	v_mov_b32_e32 v70, v61
	v_pk_fma_f32 v[54:55], v[108:109], v[60:61], v[54:55] op_sel_hi:[1,0,1]
	v_pk_fma_f32 v[46:47], v[100:101], v[60:61], v[46:47] op_sel_hi:[1,0,1]
	;; [unrolled: 1-line block ×4, first 2 shown]
	v_xor_b32_e32 v86, 0x80000000, v41
	v_pk_fma_f32 v[54:55], v[56:57], v[70:71], v[54:55] op_sel_hi:[1,0,1]
	v_pk_fma_f32 v[46:47], v[126:127], v[70:71], v[46:47] op_sel_hi:[1,0,1]
	;; [unrolled: 1-line block ×4, first 2 shown]
	v_xor_b32_e32 v48, 0x80000000, v113
	s_wait_loadcnt 0x4
	v_pk_fma_f32 v[54:55], v[102:103], v[50:51], v[54:55] op_sel_hi:[1,0,1]
	v_pk_fma_f32 v[46:47], v[94:95], v[50:51], v[46:47] op_sel_hi:[1,0,1]
	;; [unrolled: 1-line block ×4, first 2 shown]
	v_mov_b32_e32 v49, v112
	v_pk_fma_f32 v[54:55], v[102:103], v[50:51], v[54:55] op_sel:[1,1,0] op_sel_hi:[0,1,1] neg_lo:[1,0,0]
	v_pk_fma_f32 v[46:47], v[94:95], v[50:51], v[46:47] op_sel:[1,1,0] op_sel_hi:[0,1,1] neg_lo:[1,0,0]
	;; [unrolled: 1-line block ×4, first 2 shown]
	v_mov_b32_e32 v50, v53
	v_pk_fma_f32 v[54:55], v[104:105], v[52:53], v[54:55] op_sel_hi:[1,0,1]
	v_pk_fma_f32 v[46:47], v[96:97], v[52:53], v[46:47] op_sel_hi:[1,0,1]
	v_pk_fma_f32 v[30:31], v[120:121], v[52:53], v[30:31] op_sel_hi:[1,0,1]
	v_pk_fma_f32 v[32:33], v[112:113], v[52:53], v[32:33] op_sel_hi:[1,0,1]
	s_wait_loadcnt 0x1
	v_mov_b32_e32 v53, v84
	v_xor_b32_e32 v52, 0x80000000, v85
	s_delay_alu instid0(VALU_DEP_3)
	v_pk_fma_f32 v[32:33], v[48:49], v[50:51], v[32:33] op_sel_hi:[1,0,1]
	v_mov_b32_e32 v49, v36
	v_pk_fma_f32 v[54:55], v[88:89], v[50:51], v[54:55] op_sel_hi:[1,0,1]
	v_pk_fma_f32 v[46:47], v[80:81], v[50:51], v[46:47] op_sel_hi:[1,0,1]
	;; [unrolled: 1-line block ×4, first 2 shown]
	v_xor_b32_e32 v48, 0x80000000, v37
	v_pk_fma_f32 v[50:51], v[66:67], v[74:75], v[54:55] op_sel_hi:[1,0,1]
	v_pk_fma_f32 v[46:47], v[14:15], v[74:75], v[46:47] op_sel_hi:[1,0,1]
	;; [unrolled: 1-line block ×3, first 2 shown]
	v_pk_fma_f32 v[32:33], v[34:35], v[74:75], v[32:33] op_sel:[1,1,0] op_sel_hi:[0,1,1] neg_lo:[1,0,0]
	v_mov_b32_e32 v34, v77
	v_pk_fma_f32 v[50:51], v[66:67], v[74:75], v[50:51] op_sel:[1,1,0] op_sel_hi:[0,1,1] neg_lo:[1,0,0]
	v_pk_fma_f32 v[14:15], v[14:15], v[74:75], v[46:47] op_sel:[1,1,0] op_sel_hi:[0,1,1] neg_lo:[1,0,0]
	;; [unrolled: 1-line block ×3, first 2 shown]
	s_delay_alu instid0(VALU_DEP_3) | instskip(NEXT) | instid1(VALU_DEP_3)
	v_pk_fma_f32 v[38:39], v[68:69], v[76:77], v[50:51] op_sel_hi:[1,0,1]
	v_pk_fma_f32 v[14:15], v[16:17], v[76:77], v[14:15] op_sel_hi:[1,0,1]
	s_delay_alu instid0(VALU_DEP_3) | instskip(SKIP_1) | instid1(VALU_DEP_4)
	v_pk_fma_f32 v[16:17], v[40:41], v[76:77], v[30:31] op_sel_hi:[1,0,1]
	v_pk_fma_f32 v[30:31], v[36:37], v[76:77], v[32:33] op_sel_hi:[1,0,1]
	;; [unrolled: 1-line block ×3, first 2 shown]
	s_delay_alu instid0(VALU_DEP_4) | instskip(NEXT) | instid1(VALU_DEP_4)
	v_pk_fma_f32 v[14:15], v[122:123], v[34:35], v[14:15] op_sel_hi:[1,0,1]
	v_pk_fma_f32 v[16:17], v[86:87], v[34:35], v[16:17] op_sel_hi:[1,0,1]
	s_delay_alu instid0(VALU_DEP_4)
	v_pk_fma_f32 v[30:31], v[48:49], v[34:35], v[30:31] op_sel_hi:[1,0,1]
	s_wait_loadcnt 0x0
	v_xor_b32_e32 v34, 0x80000000, v65
	v_pk_fma_f32 v[32:33], v[42:43], v[90:91], v[32:33] op_sel_hi:[1,0,1]
	v_pk_fma_f32 v[14:15], v[18:19], v[90:91], v[14:15] op_sel_hi:[1,0,1]
	;; [unrolled: 1-line block ×4, first 2 shown]
	v_mov_b32_e32 v35, v64
	v_pk_fma_f32 v[32:33], v[42:43], v[90:91], v[32:33] op_sel:[1,1,0] op_sel_hi:[0,1,1] neg_lo:[1,0,0]
	v_pk_fma_f32 v[14:15], v[18:19], v[90:91], v[14:15] op_sel:[1,1,0] op_sel_hi:[0,1,1] neg_lo:[1,0,0]
	;; [unrolled: 1-line block ×4, first 2 shown]
	v_mov_b32_e32 v30, v93
	v_pk_fma_f32 v[32:33], v[44:45], v[92:93], v[32:33] op_sel_hi:[1,0,1]
	v_pk_fma_f32 v[14:15], v[20:21], v[92:93], v[14:15] op_sel_hi:[1,0,1]
	;; [unrolled: 1-line block ×4, first 2 shown]
	s_delay_alu instid0(VALU_DEP_4) | instskip(NEXT) | instid1(VALU_DEP_4)
	v_pk_fma_f32 v[20:21], v[78:79], v[30:31], v[32:33] op_sel_hi:[1,0,1]
	v_pk_fma_f32 v[14:15], v[130:131], v[30:31], v[14:15] op_sel_hi:[1,0,1]
	s_delay_alu instid0(VALU_DEP_4) | instskip(NEXT) | instid1(VALU_DEP_4)
	v_pk_fma_f32 v[18:19], v[52:53], v[30:31], v[16:17] op_sel_hi:[1,0,1]
	v_pk_fma_f32 v[16:17], v[34:35], v[30:31], v[36:37] op_sel_hi:[1,0,1]
	s_and_not1_b32 exec_lo, exec_lo, s10
	s_cbranch_execnz .LBB34_17
; %bb.18:
	s_or_b32 exec_lo, exec_lo, s10
.LBB34_19:
	s_delay_alu instid0(SALU_CYCLE_1)
	s_or_b32 exec_lo, exec_lo, s7
.LBB34_20:
	s_delay_alu instid0(SALU_CYCLE_1)
	s_or_b32 exec_lo, exec_lo, s6
	s_cbranch_execz .LBB34_22
	s_branch .LBB34_33
.LBB34_21:
                                        ; implicit-def: $vgpr21
                                        ; implicit-def: $vgpr17
                                        ; implicit-def: $vgpr19
                                        ; implicit-def: $vgpr15
.LBB34_22:
	v_dual_mov_b32 v21, 0 :: v_dual_mov_b32 v20, 0
	v_dual_mov_b32 v17, 0 :: v_dual_mov_b32 v16, 0
	;; [unrolled: 1-line block ×4, first 2 shown]
	s_and_saveexec_b32 s6, s3
	s_cbranch_execz .LBB34_32
; %bb.23:
	v_dual_mov_b32 v15, v1 :: v_dual_bitop2_b32 v14, 64, v0 bitop3:0x54
	v_sub_nc_u64_e32 v[16:17], s[12:13], v[0:1]
	v_not_b32_e32 v19, v23
	v_not_b32_e32 v18, v22
	s_delay_alu instid0(VALU_DEP_4) | instskip(NEXT) | instid1(VALU_DEP_2)
	v_sub_nc_u64_e64 v[14:15], v[14:15], s[12:13]
	v_add_nc_u64_e32 v[16:17], v[16:17], v[18:19]
	s_delay_alu instid0(VALU_DEP_2) | instskip(NEXT) | instid1(VALU_DEP_1)
	v_add_nc_u64_e32 v[14:15], v[14:15], v[22:23]
	v_max_i64 v[14:15], v[14:15], v[10:11]
	s_delay_alu instid0(VALU_DEP_1) | instskip(SKIP_1) | instid1(VALU_DEP_1)
	v_add_nc_u64_e32 v[22:23], v[16:17], v[14:15]
	v_mov_b32_e32 v15, 0
	v_dual_mov_b32 v19, v15 :: v_dual_mov_b32 v18, v15
	s_delay_alu instid0(VALU_DEP_3) | instskip(SKIP_2) | instid1(VALU_DEP_3)
	v_and_b32_e32 v14, 0xc0, v22
	v_dual_mov_b32 v17, v15 :: v_dual_mov_b32 v16, v15
	v_dual_mov_b32 v20, v15 :: v_dual_mov_b32 v21, v15
	v_cmp_ne_u64_e32 vcc_lo, 0xc0, v[14:15]
	v_mov_b32_e32 v14, v15
	s_and_saveexec_b32 s3, vcc_lo
	s_cbranch_execz .LBB34_27
; %bb.24:
	v_dual_lshrrev_b32 v1, 6, v22 :: v_dual_mov_b32 v15, 0
	v_lshl_add_u64 v[24:25], v[8:9], 2, s[8:9]
	s_mov_b32 s7, 0
	s_delay_alu instid0(VALU_DEP_2) | instskip(SKIP_1) | instid1(VALU_DEP_2)
	v_dual_mov_b32 v18, v15 :: v_dual_add_nc_u32 v1, 1, v1
	v_dual_mov_b32 v16, v15 :: v_dual_mov_b32 v17, v15
	v_dual_mov_b32 v20, v15 :: v_dual_bitop2_b32 v14, 3, v1 bitop3:0x40
	v_dual_mov_b32 v19, v15 :: v_dual_mov_b32 v21, v15
	s_delay_alu instid0(VALU_DEP_2)
	v_sub_nc_u64_e32 v[26:27], 0, v[14:15]
	v_mov_b32_e32 v14, v15
.LBB34_25:                              ; =>This Inner Loop Header: Depth=1
	global_load_b32 v1, v[24:25], off
	s_clause 0x4
	global_load_b128 v[28:31], v[12:13], off offset:32
	global_load_b128 v[32:35], v[12:13], off offset:16
	global_load_b128 v[36:39], v[12:13], off
	global_load_b128 v[40:43], v[12:13], off offset:64
	global_load_b128 v[44:47], v[12:13], off offset:96
	v_add_nc_u64_e32 v[26:27], 1, v[26:27]
	v_add_nc_u64_e32 v[8:9], 64, v[8:9]
	s_wait_xcnt 0x5
	v_add_nc_u64_e32 v[24:25], 0x100, v[24:25]
	s_delay_alu instid0(VALU_DEP_3)
	v_cmp_eq_u64_e32 vcc_lo, 0, v[26:27]
	s_or_b32 s7, vcc_lo, s7
	s_wait_loadcnt 0x5
	v_subrev_nc_u32_e32 v1, s12, v1
	s_wait_loadcnt 0x4
	v_xor_b32_e32 v70, 0x80000000, v31
	s_wait_loadcnt 0x3
	v_xor_b32_e32 v76, 0x80000000, v35
	v_mov_b32_e32 v71, v30
	s_wait_loadcnt 0x1
	v_xor_b32_e32 v72, 0x80000000, v43
	v_dual_mov_b32 v73, v42 :: v_dual_lshlrev_b32 v48, 2, v1
	s_wait_loadcnt 0x0
	v_mov_b32_e32 v75, v46
	v_xor_b32_e32 v74, 0x80000000, v47
	s_delay_alu instid0(VALU_DEP_3) | instskip(SKIP_1) | instid1(VALU_DEP_1)
	v_ashrrev_i32_e32 v49, 31, v48
	s_wait_kmcnt 0x0
	v_lshl_add_u64 v[68:69], v[48:49], 3, s[4:5]
	global_load_b128 v[48:51], v[12:13], off offset:48
	s_clause 0x1
	global_load_b128 v[52:55], v[68:69], off
	global_load_b128 v[56:59], v[68:69], off offset:16
	s_clause 0x1
	global_load_b128 v[60:63], v[12:13], off offset:80
	global_load_b128 v[64:67], v[12:13], off offset:112
	s_wait_xcnt 0x2
	v_xor_b32_e32 v68, 0x80000000, v39
	v_dual_mov_b32 v69, v38 :: v_dual_mov_b32 v77, v34
	s_wait_xcnt 0x0
	v_add_nc_u64_e32 v[12:13], 0x2000, v[12:13]
	s_wait_loadcnt 0x4
	v_mov_b32_e32 v79, v50
	s_wait_loadcnt 0x3
	v_pk_fma_f32 v[20:21], v[36:37], v[52:53], v[20:21] op_sel_hi:[1,0,1]
	v_pk_fma_f32 v[14:15], v[38:39], v[52:53], v[14:15] op_sel_hi:[1,0,1]
	;; [unrolled: 1-line block ×4, first 2 shown]
	v_xor_b32_e32 v78, 0x80000000, v51
	v_pk_fma_f32 v[20:21], v[36:37], v[52:53], v[20:21] op_sel:[1,1,0] op_sel_hi:[0,1,1] neg_lo:[1,0,0]
	v_pk_fma_f32 v[14:15], v[68:69], v[52:53], v[14:15] op_sel:[0,1,0]
	v_pk_fma_f32 v[18:19], v[32:33], v[52:53], v[18:19] op_sel:[1,1,0] op_sel_hi:[0,1,1] neg_lo:[1,0,0]
	v_pk_fma_f32 v[16:17], v[76:77], v[52:53], v[16:17] op_sel:[0,1,0]
	s_wait_loadcnt 0x1
	v_dual_mov_b32 v32, v55 :: v_dual_mov_b32 v35, v62
	v_pk_fma_f32 v[20:21], v[28:29], v[54:55], v[20:21] op_sel_hi:[1,0,1]
	v_pk_fma_f32 v[14:15], v[30:31], v[54:55], v[14:15] op_sel_hi:[1,0,1]
	;; [unrolled: 1-line block ×4, first 2 shown]
	v_xor_b32_e32 v34, 0x80000000, v63
	v_pk_fma_f32 v[20:21], v[28:29], v[32:33], v[20:21] op_sel:[1,0,0] op_sel_hi:[0,0,1] neg_lo:[1,0,0]
	v_pk_fma_f32 v[14:15], v[70:71], v[32:33], v[14:15] op_sel_hi:[1,0,1]
	v_pk_fma_f32 v[18:19], v[48:49], v[32:33], v[18:19] op_sel:[1,0,0] op_sel_hi:[0,0,1] neg_lo:[1,0,0]
	v_pk_fma_f32 v[16:17], v[78:79], v[32:33], v[16:17] op_sel_hi:[1,0,1]
	s_wait_loadcnt 0x0
	v_xor_b32_e32 v28, 0x80000000, v67
	v_pk_fma_f32 v[20:21], v[40:41], v[56:57], v[20:21] op_sel_hi:[1,0,1]
	v_pk_fma_f32 v[14:15], v[42:43], v[56:57], v[14:15] op_sel_hi:[1,0,1]
	v_pk_fma_f32 v[18:19], v[60:61], v[56:57], v[18:19] op_sel_hi:[1,0,1]
	v_pk_fma_f32 v[16:17], v[62:63], v[56:57], v[16:17] op_sel_hi:[1,0,1]
	v_dual_mov_b32 v29, v66 :: v_dual_mov_b32 v30, v59
	v_pk_fma_f32 v[20:21], v[40:41], v[56:57], v[20:21] op_sel:[1,1,0] op_sel_hi:[0,1,1] neg_lo:[1,0,0]
	v_pk_fma_f32 v[14:15], v[72:73], v[56:57], v[14:15] op_sel:[0,1,0]
	v_pk_fma_f32 v[18:19], v[60:61], v[56:57], v[18:19] op_sel:[1,1,0] op_sel_hi:[0,1,1] neg_lo:[1,0,0]
	v_pk_fma_f32 v[16:17], v[34:35], v[56:57], v[16:17] op_sel:[0,1,0]
	s_delay_alu instid0(VALU_DEP_4) | instskip(NEXT) | instid1(VALU_DEP_4)
	v_pk_fma_f32 v[20:21], v[44:45], v[58:59], v[20:21] op_sel_hi:[1,0,1]
	v_pk_fma_f32 v[14:15], v[46:47], v[58:59], v[14:15] op_sel_hi:[1,0,1]
	s_delay_alu instid0(VALU_DEP_4) | instskip(NEXT) | instid1(VALU_DEP_4)
	v_pk_fma_f32 v[18:19], v[64:65], v[58:59], v[18:19] op_sel_hi:[1,0,1]
	v_pk_fma_f32 v[16:17], v[66:67], v[58:59], v[16:17] op_sel_hi:[1,0,1]
	s_delay_alu instid0(VALU_DEP_4) | instskip(NEXT) | instid1(VALU_DEP_4)
	v_pk_fma_f32 v[20:21], v[44:45], v[30:31], v[20:21] op_sel:[1,0,0] op_sel_hi:[0,0,1] neg_lo:[1,0,0]
	v_pk_fma_f32 v[14:15], v[74:75], v[30:31], v[14:15] op_sel_hi:[1,0,1]
	s_delay_alu instid0(VALU_DEP_4) | instskip(NEXT) | instid1(VALU_DEP_4)
	v_pk_fma_f32 v[18:19], v[64:65], v[30:31], v[18:19] op_sel:[1,0,0] op_sel_hi:[0,0,1] neg_lo:[1,0,0]
	v_pk_fma_f32 v[16:17], v[28:29], v[30:31], v[16:17] op_sel_hi:[1,0,1]
	s_and_not1_b32 exec_lo, exec_lo, s7
	s_cbranch_execnz .LBB34_25
; %bb.26:
	s_or_b32 exec_lo, exec_lo, s7
.LBB34_27:
	s_delay_alu instid0(SALU_CYCLE_1) | instskip(NEXT) | instid1(SALU_CYCLE_1)
	s_or_b32 exec_lo, exec_lo, s3
	s_mov_b32 s3, exec_lo
	v_cmpx_lt_u64_e32 0xbf, v[22:23]
	s_cbranch_execz .LBB34_31
; %bb.28:
	v_lshl_add_u64 v[22:23], v[8:9], 2, s[8:9]
	s_mov_b32 s7, 0
	s_delay_alu instid0(VALU_DEP_1)
	v_add_nc_u64_e32 v[22:23], 0x200, v[22:23]
.LBB34_29:                              ; =>This Inner Loop Header: Depth=1
	global_load_b32 v1, v[22:23], off offset:-512
	s_clause 0xb
	global_load_b128 v[24:27], v[12:13], off
	global_load_b128 v[28:31], v[12:13], off offset:16
	global_load_b128 v[32:35], v[12:13], off offset:48
	global_load_b128 v[36:39], v[12:13], off offset:32
	global_load_b128 v[40:43], v[12:13], off offset:112
	global_load_b128 v[44:47], v[12:13], off offset:96
	global_load_b128 v[48:51], v[12:13], off offset:80
	global_load_b128 v[52:55], v[12:13], off offset:64
	global_load_b128 v[56:59], v[12:13], off offset:8240
	global_load_b128 v[60:63], v[12:13], off offset:8224
	global_load_b128 v[64:67], v[12:13], off offset:8208
	global_load_b128 v[68:71], v[12:13], off offset:8192
	s_clause 0x2
	global_load_b32 v7, v[22:23], off offset:-256
	global_load_b32 v116, v[22:23], off
	global_load_b32 v118, v[22:23], off offset:256
	s_clause 0x6
	global_load_b128 v[72:75], v[12:13], off offset:8304
	global_load_b128 v[76:79], v[12:13], off offset:8288
	;; [unrolled: 1-line block ×7, first 2 shown]
	v_add_nc_u64_e32 v[8:9], 0x100, v[8:9]
	s_wait_xcnt 0x7
	v_add_nc_u64_e32 v[22:23], 0x400, v[22:23]
	s_delay_alu instid0(VALU_DEP_2)
	v_cmp_ge_i64_e32 vcc_lo, v[8:9], v[10:11]
	s_or_b32 s7, vcc_lo, s7
	s_wait_loadcnt 0x16
	v_subrev_nc_u32_e32 v1, s12, v1
	s_wait_loadcnt 0x15
	v_mov_b32_e32 v109, v26
	v_xor_b32_e32 v108, 0x80000000, v27
	s_delay_alu instid0(VALU_DEP_3) | instskip(SKIP_1) | instid1(VALU_DEP_1)
	v_lshlrev_b32_e32 v100, 2, v1
	s_wait_loadcnt 0xc
	v_dual_ashrrev_i32 v101, 31, v100 :: v_dual_mov_b32 v117, v62
	s_wait_loadcnt 0x9
	v_subrev_nc_u32_e32 v1, s12, v7
	s_wait_kmcnt 0x0
	s_delay_alu instid0(VALU_DEP_2)
	v_lshl_add_u64 v[110:111], v[100:101], 3, s[4:5]
	s_clause 0x1
	global_load_b128 v[100:103], v[110:111], off
	global_load_b128 v[104:107], v[110:111], off offset:16
	s_wait_loadcnt 0x1
	v_pk_fma_f32 v[20:21], v[24:25], v[100:101], v[20:21] op_sel_hi:[1,0,1]
	s_wait_xcnt 0x0
	v_pk_fma_f32 v[110:111], v[26:27], v[100:101], v[14:15] op_sel_hi:[1,0,1]
	v_pk_fma_f32 v[14:15], v[28:29], v[100:101], v[18:19] op_sel_hi:[1,0,1]
	;; [unrolled: 1-line block ×3, first 2 shown]
	v_pk_fma_f32 v[112:113], v[24:25], v[100:101], v[20:21] op_sel:[1,1,0] op_sel_hi:[0,1,1] neg_lo:[1,0,0]
	v_xor_b32_e32 v20, 0x80000000, v31
	v_mov_b32_e32 v21, v30
	v_pk_fma_f32 v[28:29], v[28:29], v[100:101], v[14:15] op_sel:[1,1,0] op_sel_hi:[0,1,1] neg_lo:[1,0,0]
	v_pk_fma_f32 v[30:31], v[108:109], v[100:101], v[110:111] op_sel:[0,1,0]
	v_pk_fma_f32 v[108:109], v[36:37], v[102:103], v[112:113] op_sel_hi:[1,0,1]
	v_xor_b32_e32 v112, 0x80000000, v39
	v_pk_fma_f32 v[100:101], v[20:21], v[100:101], v[18:19] op_sel:[0,1,0]
	v_pk_fma_f32 v[28:29], v[32:33], v[102:103], v[28:29] op_sel_hi:[1,0,1]
	v_pk_fma_f32 v[110:111], v[38:39], v[102:103], v[30:31] op_sel_hi:[1,0,1]
	v_mov_b32_e32 v113, v38
	v_xor_b32_e32 v38, 0x80000000, v35
	v_pk_fma_f32 v[100:101], v[34:35], v[102:103], v[100:101] op_sel_hi:[1,0,1]
	v_dual_mov_b32 v102, v103 :: v_dual_mov_b32 v39, v34
	s_clause 0x2
	global_load_b128 v[24:27], v[12:13], off offset:16384
	global_load_b128 v[14:17], v[12:13], off offset:16496
	;; [unrolled: 1-line block ×3, first 2 shown]
	v_pk_fma_f32 v[36:37], v[36:37], v[102:103], v[108:109] op_sel:[1,0,0] op_sel_hi:[0,0,1] neg_lo:[1,0,0]
	v_pk_fma_f32 v[110:111], v[112:113], v[102:103], v[110:111] op_sel_hi:[1,0,1]
	v_pk_fma_f32 v[108:109], v[32:33], v[102:103], v[28:29] op_sel:[1,0,0] op_sel_hi:[0,0,1] neg_lo:[1,0,0]
	v_pk_fma_f32 v[100:101], v[38:39], v[102:103], v[100:101] op_sel_hi:[1,0,1]
	v_xor_b32_e32 v102, 0x80000000, v55
	v_mov_b32_e32 v103, v54
	s_wait_loadcnt 0x3
	v_pk_fma_f32 v[36:37], v[52:53], v[104:105], v[36:37] op_sel_hi:[1,0,1]
	v_pk_fma_f32 v[54:55], v[54:55], v[104:105], v[110:111] op_sel_hi:[1,0,1]
	;; [unrolled: 1-line block ×4, first 2 shown]
	v_mov_b32_e32 v113, v70
	v_pk_fma_f32 v[110:111], v[52:53], v[104:105], v[36:37] op_sel:[1,1,0] op_sel_hi:[0,1,1] neg_lo:[1,0,0]
	v_xor_b32_e32 v52, 0x80000000, v51
	v_mov_b32_e32 v53, v50
	v_pk_fma_f32 v[102:103], v[102:103], v[104:105], v[54:55] op_sel:[0,1,0]
	v_pk_fma_f32 v[108:109], v[48:49], v[104:105], v[108:109] op_sel:[1,1,0] op_sel_hi:[0,1,1] neg_lo:[1,0,0]
	s_clause 0x1
	global_load_b128 v[28:31], v[12:13], off offset:16464
	global_load_b128 v[32:35], v[12:13], off offset:16448
	v_pk_fma_f32 v[100:101], v[52:53], v[104:105], v[100:101] op_sel:[0,1,0]
	v_pk_fma_f32 v[104:105], v[44:45], v[106:107], v[110:111] op_sel_hi:[1,0,1]
	v_pk_fma_f32 v[102:103], v[46:47], v[106:107], v[102:103] op_sel_hi:[1,0,1]
	v_dual_mov_b32 v111, v46 :: v_dual_lshlrev_b32 v46, 2, v1
	v_pk_fma_f32 v[108:109], v[40:41], v[106:107], v[108:109] op_sel_hi:[1,0,1]
	v_pk_fma_f32 v[100:101], v[42:43], v[106:107], v[100:101] op_sel_hi:[1,0,1]
	v_mov_b32_e32 v106, v107
	v_xor_b32_e32 v110, 0x80000000, v47
	v_ashrrev_i32_e32 v47, 31, v46
	s_clause 0x1
	global_load_b128 v[36:39], v[12:13], off offset:24624
	global_load_b128 v[48:51], v[12:13], off offset:24608
	v_pk_fma_f32 v[104:105], v[44:45], v[106:107], v[104:105] op_sel:[1,0,0] op_sel_hi:[0,0,1] neg_lo:[1,0,0]
	v_xor_b32_e32 v44, 0x80000000, v43
	v_mov_b32_e32 v45, v42
	v_lshl_add_u64 v[114:115], v[46:47], 3, s[4:5]
	global_load_b128 v[52:55], v[12:13], off offset:24576
	v_pk_fma_f32 v[108:109], v[40:41], v[106:107], v[108:109] op_sel:[1,0,0] op_sel_hi:[0,0,1] neg_lo:[1,0,0]
	global_load_b128 v[40:43], v[12:13], off offset:24672
	v_pk_fma_f32 v[110:111], v[110:111], v[106:107], v[102:103] op_sel_hi:[1,0,1]
	v_pk_fma_f32 v[106:107], v[44:45], v[106:107], v[100:101] op_sel_hi:[1,0,1]
	s_clause 0x1
	global_load_b128 v[44:47], v[114:115], off
	global_load_b128 v[100:103], v[114:115], off offset:16
	v_subrev_nc_u32_e32 v1, s12, v116
	v_xor_b32_e32 v112, 0x80000000, v71
	v_xor_b32_e32 v116, 0x80000000, v63
	s_wait_loadcnt 0x1
	v_pk_fma_f32 v[70:71], v[70:71], v[44:45], v[110:111] op_sel_hi:[1,0,1]
	s_wait_xcnt 0x0
	v_dual_lshlrev_b32 v110, 2, v1 :: v_dual_mov_b32 v114, v47
	v_pk_fma_f32 v[104:105], v[68:69], v[44:45], v[104:105] op_sel_hi:[1,0,1]
	v_pk_fma_f32 v[108:109], v[64:65], v[44:45], v[108:109] op_sel_hi:[1,0,1]
	;; [unrolled: 1-line block ×3, first 2 shown]
	s_delay_alu instid0(VALU_DEP_4)
	v_ashrrev_i32_e32 v111, 31, v110
	v_pk_fma_f32 v[112:113], v[112:113], v[44:45], v[70:71] op_sel:[0,1,0]
	v_pk_fma_f32 v[104:105], v[68:69], v[44:45], v[104:105] op_sel:[1,1,0] op_sel_hi:[0,1,1] neg_lo:[1,0,0]
	v_xor_b32_e32 v68, 0x80000000, v67
	v_mov_b32_e32 v69, v66
	v_lshl_add_u64 v[110:111], v[110:111], 3, s[4:5]
	v_pk_fma_f32 v[108:109], v[64:65], v[44:45], v[108:109] op_sel:[1,1,0] op_sel_hi:[0,1,1] neg_lo:[1,0,0]
	v_pk_fma_f32 v[104:105], v[60:61], v[46:47], v[104:105] op_sel_hi:[1,0,1]
	v_subrev_nc_u32_e32 v1, s12, v118
	v_pk_fma_f32 v[44:45], v[68:69], v[44:45], v[106:107] op_sel:[0,1,0]
	global_load_b128 v[68:71], v[110:111], off
	v_pk_fma_f32 v[108:109], v[56:57], v[46:47], v[108:109] op_sel_hi:[1,0,1]
	v_pk_fma_f32 v[106:107], v[62:63], v[46:47], v[112:113] op_sel_hi:[1,0,1]
	v_pk_fma_f32 v[60:61], v[60:61], v[114:115], v[104:105] op_sel:[1,0,0] op_sel_hi:[0,0,1] neg_lo:[1,0,0]
	v_pk_fma_f32 v[112:113], v[58:59], v[46:47], v[44:45] op_sel_hi:[1,0,1]
	v_xor_b32_e32 v62, 0x80000000, v59
	v_mov_b32_e32 v63, v58
	v_pk_fma_f32 v[104:105], v[56:57], v[114:115], v[108:109] op_sel:[1,0,0] op_sel_hi:[0,0,1] neg_lo:[1,0,0]
	global_load_b128 v[56:59], v[110:111], off offset:16
	v_mov_b32_e32 v109, v86
	v_pk_fma_f32 v[106:107], v[116:117], v[114:115], v[106:107] op_sel_hi:[1,0,1]
	v_mov_b32_e32 v117, v82
	v_pk_fma_f32 v[112:113], v[62:63], v[114:115], v[112:113] op_sel_hi:[1,0,1]
	v_lshlrev_b32_e32 v62, 2, v1
	s_clause 0x1
	global_load_b128 v[64:67], v[12:13], off offset:24640
	global_load_b128 v[44:47], v[12:13], off offset:24592
	s_wait_loadcnt 0x4
	v_pk_fma_f32 v[60:61], v[84:85], v[100:101], v[60:61] op_sel_hi:[1,0,1]
	v_xor_b32_e32 v108, 0x80000000, v87
	v_ashrrev_i32_e32 v63, 31, v62
	v_xor_b32_e32 v116, 0x80000000, v83
	v_pk_fma_f32 v[106:107], v[86:87], v[100:101], v[106:107] op_sel_hi:[1,0,1]
	v_pk_fma_f32 v[114:115], v[84:85], v[100:101], v[60:61] op_sel:[1,1,0] op_sel_hi:[0,1,1] neg_lo:[1,0,0]
	v_pk_fma_f32 v[84:85], v[80:81], v[100:101], v[104:105] op_sel_hi:[1,0,1]
	s_wait_xcnt 0x2
	v_lshl_add_u64 v[110:111], v[62:63], 3, s[4:5]
	v_pk_fma_f32 v[104:105], v[82:83], v[100:101], v[112:113] op_sel_hi:[1,0,1]
	v_pk_fma_f32 v[108:109], v[108:109], v[100:101], v[106:107] op_sel:[0,1,0]
	v_pk_fma_f32 v[112:113], v[80:81], v[100:101], v[84:85] op_sel:[1,1,0] op_sel_hi:[0,1,1] neg_lo:[1,0,0]
	global_load_b128 v[60:63], v[110:111], off
	global_load_b128 v[80:83], v[12:13], off offset:24656
	global_load_b128 v[84:87], v[110:111], off offset:16
	v_pk_fma_f32 v[100:101], v[116:117], v[100:101], v[104:105] op_sel:[0,1,0]
	global_load_b128 v[104:107], v[12:13], off offset:24688
	s_wait_xcnt 0x1
	v_pk_fma_f32 v[110:111], v[76:77], v[102:103], v[114:115] op_sel_hi:[1,0,1]
	v_pk_fma_f32 v[108:109], v[78:79], v[102:103], v[108:109] op_sel_hi:[1,0,1]
	;; [unrolled: 1-line block ×4, first 2 shown]
	v_mov_b32_e32 v102, v103
	v_xor_b32_e32 v114, 0x80000000, v79
	v_dual_mov_b32 v115, v78 :: v_dual_mov_b32 v79, v74
	v_xor_b32_e32 v78, 0x80000000, v75
	s_delay_alu instid0(VALU_DEP_4) | instskip(SKIP_1) | instid1(VALU_DEP_4)
	v_pk_fma_f32 v[76:77], v[76:77], v[102:103], v[110:111] op_sel:[1,0,0] op_sel_hi:[0,0,1] neg_lo:[1,0,0]
	v_pk_fma_f32 v[72:73], v[72:73], v[102:103], v[112:113] op_sel:[1,0,0] op_sel_hi:[0,0,1] neg_lo:[1,0,0]
	v_pk_fma_f32 v[108:109], v[114:115], v[102:103], v[108:109] op_sel_hi:[1,0,1]
	v_xor_b32_e32 v74, 0x80000000, v27
	v_pk_fma_f32 v[78:79], v[78:79], v[102:103], v[100:101] op_sel_hi:[1,0,1]
	v_dual_mov_b32 v75, v26 :: v_dual_mov_b32 v111, v98
	v_xor_b32_e32 v110, 0x80000000, v99
	v_xor_b32_e32 v112, 0x80000000, v95
	v_dual_mov_b32 v113, v94 :: v_dual_mov_b32 v115, v90
	v_xor_b32_e32 v114, 0x80000000, v91
	v_xor_b32_e32 v100, 0x80000000, v35
	v_dual_mov_b32 v101, v34 :: v_dual_mov_b32 v103, v30
	v_xor_b32_e32 v102, 0x80000000, v31
	s_wait_xcnt 0x0
	v_add_nc_u64_e32 v[12:13], 0x8000, v[12:13]
	s_wait_loadcnt 0x7
	v_pk_fma_f32 v[76:77], v[24:25], v[68:69], v[76:77] op_sel_hi:[1,0,1]
	v_pk_fma_f32 v[26:27], v[26:27], v[68:69], v[108:109] op_sel_hi:[1,0,1]
	v_pk_fma_f32 v[72:73], v[96:97], v[68:69], v[72:73] op_sel_hi:[1,0,1]
	v_pk_fma_f32 v[78:79], v[98:99], v[68:69], v[78:79] op_sel_hi:[1,0,1]
	v_mov_b32_e32 v109, v54
	v_pk_fma_f32 v[24:25], v[24:25], v[68:69], v[76:77] op_sel:[1,1,0] op_sel_hi:[0,1,1] neg_lo:[1,0,0]
	v_pk_fma_f32 v[26:27], v[74:75], v[68:69], v[26:27] op_sel:[0,1,0]
	v_pk_fma_f32 v[72:73], v[96:97], v[68:69], v[72:73] op_sel:[1,1,0] op_sel_hi:[0,1,1] neg_lo:[1,0,0]
	v_pk_fma_f32 v[68:69], v[110:111], v[68:69], v[78:79] op_sel:[0,1,0]
	v_mov_b32_e32 v75, v42
	v_pk_fma_f32 v[24:25], v[92:93], v[70:71], v[24:25] op_sel_hi:[1,0,1]
	v_pk_fma_f32 v[26:27], v[94:95], v[70:71], v[26:27] op_sel_hi:[1,0,1]
	;; [unrolled: 1-line block ×4, first 2 shown]
	v_mov_b32_e32 v70, v71
	v_xor_b32_e32 v76, 0x80000000, v21
	v_mov_b32_e32 v77, v20
	v_xor_b32_e32 v78, 0x80000000, v17
	v_mov_b32_e32 v79, v16
	v_pk_fma_f32 v[24:25], v[92:93], v[70:71], v[24:25] op_sel:[1,0,0] op_sel_hi:[0,0,1] neg_lo:[1,0,0]
	v_pk_fma_f32 v[26:27], v[112:113], v[70:71], v[26:27] op_sel_hi:[1,0,1]
	v_pk_fma_f32 v[72:73], v[88:89], v[70:71], v[72:73] op_sel:[1,0,0] op_sel_hi:[0,0,1] neg_lo:[1,0,0]
	v_pk_fma_f32 v[68:69], v[114:115], v[70:71], v[68:69] op_sel_hi:[1,0,1]
	s_wait_loadcnt 0x4
	v_mov_b32_e32 v71, v46
	v_pk_fma_f32 v[24:25], v[32:33], v[56:57], v[24:25] op_sel_hi:[1,0,1]
	v_pk_fma_f32 v[26:27], v[34:35], v[56:57], v[26:27] op_sel_hi:[1,0,1]
	;; [unrolled: 1-line block ×4, first 2 shown]
	v_xor_b32_e32 v108, 0x80000000, v55
	v_pk_fma_f32 v[24:25], v[32:33], v[56:57], v[24:25] op_sel:[1,1,0] op_sel_hi:[0,1,1] neg_lo:[1,0,0]
	v_pk_fma_f32 v[26:27], v[100:101], v[56:57], v[26:27] op_sel:[0,1,0]
	v_pk_fma_f32 v[28:29], v[28:29], v[56:57], v[34:35] op_sel:[1,1,0] op_sel_hi:[0,1,1] neg_lo:[1,0,0]
	v_pk_fma_f32 v[30:31], v[102:103], v[56:57], v[30:31] op_sel:[0,1,0]
	v_mov_b32_e32 v32, v59
	v_pk_fma_f32 v[24:25], v[18:19], v[58:59], v[24:25] op_sel_hi:[1,0,1]
	v_pk_fma_f32 v[20:21], v[20:21], v[58:59], v[26:27] op_sel_hi:[1,0,1]
	;; [unrolled: 1-line block ×4, first 2 shown]
	v_mov_b32_e32 v29, v38
	v_pk_fma_f32 v[18:19], v[18:19], v[32:33], v[24:25] op_sel:[1,0,0] op_sel_hi:[0,0,1] neg_lo:[1,0,0]
	v_pk_fma_f32 v[20:21], v[76:77], v[32:33], v[20:21] op_sel_hi:[1,0,1]
	v_pk_fma_f32 v[14:15], v[14:15], v[32:33], v[26:27] op_sel:[1,0,0] op_sel_hi:[0,0,1] neg_lo:[1,0,0]
	v_pk_fma_f32 v[16:17], v[78:79], v[32:33], v[16:17] op_sel_hi:[1,0,1]
	v_xor_b32_e32 v70, 0x80000000, v47
	s_wait_loadcnt 0x3
	v_pk_fma_f32 v[18:19], v[52:53], v[60:61], v[18:19] op_sel_hi:[1,0,1]
	v_pk_fma_f32 v[20:21], v[54:55], v[60:61], v[20:21] op_sel_hi:[1,0,1]
	;; [unrolled: 1-line block ×4, first 2 shown]
	v_xor_b32_e32 v96, 0x80000000, v51
	v_pk_fma_f32 v[18:19], v[52:53], v[60:61], v[18:19] op_sel:[1,1,0] op_sel_hi:[0,1,1] neg_lo:[1,0,0]
	v_pk_fma_f32 v[20:21], v[108:109], v[60:61], v[20:21] op_sel:[0,1,0]
	v_pk_fma_f32 v[14:15], v[44:45], v[60:61], v[14:15] op_sel:[1,1,0] op_sel_hi:[0,1,1] neg_lo:[1,0,0]
	v_pk_fma_f32 v[16:17], v[70:71], v[60:61], v[16:17] op_sel:[0,1,0]
	v_dual_mov_b32 v97, v50 :: v_dual_mov_b32 v99, v66
	v_xor_b32_e32 v28, 0x80000000, v39
	s_wait_loadcnt 0x2
	v_dual_mov_b32 v26, v63 :: v_dual_mov_b32 v25, v82
	v_pk_fma_f32 v[18:19], v[48:49], v[62:63], v[18:19] op_sel_hi:[1,0,1]
	v_pk_fma_f32 v[20:21], v[50:51], v[62:63], v[20:21] op_sel_hi:[1,0,1]
	;; [unrolled: 1-line block ×4, first 2 shown]
	v_xor_b32_e32 v98, 0x80000000, v67
	v_pk_fma_f32 v[18:19], v[48:49], v[26:27], v[18:19] op_sel:[1,0,0] op_sel_hi:[0,0,1] neg_lo:[1,0,0]
	v_pk_fma_f32 v[20:21], v[96:97], v[26:27], v[20:21] op_sel_hi:[1,0,1]
	v_pk_fma_f32 v[14:15], v[36:37], v[26:27], v[14:15] op_sel:[1,0,0] op_sel_hi:[0,0,1] neg_lo:[1,0,0]
	v_pk_fma_f32 v[16:17], v[28:29], v[26:27], v[16:17] op_sel_hi:[1,0,1]
	v_xor_b32_e32 v24, 0x80000000, v83
	s_wait_loadcnt 0x1
	v_pk_fma_f32 v[18:19], v[64:65], v[84:85], v[18:19] op_sel_hi:[1,0,1]
	v_pk_fma_f32 v[20:21], v[66:67], v[84:85], v[20:21] op_sel_hi:[1,0,1]
	;; [unrolled: 1-line block ×4, first 2 shown]
	v_xor_b32_e32 v74, 0x80000000, v43
	v_pk_fma_f32 v[18:19], v[64:65], v[84:85], v[18:19] op_sel:[1,1,0] op_sel_hi:[0,1,1] neg_lo:[1,0,0]
	v_pk_fma_f32 v[20:21], v[98:99], v[84:85], v[20:21] op_sel:[0,1,0]
	v_pk_fma_f32 v[14:15], v[80:81], v[84:85], v[14:15] op_sel:[1,1,0] op_sel_hi:[0,1,1] neg_lo:[1,0,0]
	v_pk_fma_f32 v[16:17], v[24:25], v[84:85], v[16:17] op_sel:[0,1,0]
	s_wait_loadcnt 0x0
	v_xor_b32_e32 v26, 0x80000000, v107
	v_dual_mov_b32 v27, v106 :: v_dual_mov_b32 v24, v87
	v_pk_fma_f32 v[18:19], v[40:41], v[86:87], v[18:19] op_sel_hi:[1,0,1]
	v_pk_fma_f32 v[28:29], v[42:43], v[86:87], v[20:21] op_sel_hi:[1,0,1]
	;; [unrolled: 1-line block ×4, first 2 shown]
	s_delay_alu instid0(VALU_DEP_4) | instskip(NEXT) | instid1(VALU_DEP_4)
	v_pk_fma_f32 v[20:21], v[40:41], v[24:25], v[18:19] op_sel:[1,0,0] op_sel_hi:[0,0,1] neg_lo:[1,0,0]
	v_pk_fma_f32 v[14:15], v[74:75], v[24:25], v[28:29] op_sel_hi:[1,0,1]
	s_delay_alu instid0(VALU_DEP_4) | instskip(NEXT) | instid1(VALU_DEP_4)
	v_pk_fma_f32 v[18:19], v[104:105], v[24:25], v[30:31] op_sel:[1,0,0] op_sel_hi:[0,0,1] neg_lo:[1,0,0]
	v_pk_fma_f32 v[16:17], v[26:27], v[24:25], v[16:17] op_sel_hi:[1,0,1]
	s_and_not1_b32 exec_lo, exec_lo, s7
	s_cbranch_execnz .LBB34_29
; %bb.30:
	s_or_b32 exec_lo, exec_lo, s7
.LBB34_31:
	s_delay_alu instid0(SALU_CYCLE_1)
	s_or_b32 exec_lo, exec_lo, s3
.LBB34_32:
	s_delay_alu instid0(SALU_CYCLE_1)
	s_or_b32 exec_lo, exec_lo, s6
.LBB34_33:
	v_mbcnt_lo_u32_b32 v1, -1, 0
	s_delay_alu instid0(VALU_DEP_1) | instskip(SKIP_1) | instid1(VALU_DEP_1)
	v_xor_b32_e32 v23, 16, v1
	v_or_b32_e32 v7, 32, v1
	v_cmp_gt_i32_e32 vcc_lo, 32, v7
	v_cndmask_b32_e32 v7, v1, v7, vcc_lo
	s_delay_alu instid0(VALU_DEP_1)
	v_lshlrev_b32_e32 v7, 2, v7
	ds_bpermute_b32 v9, v7, v21
	s_wait_dscnt 0x0
	v_add_f32_e32 v9, v21, v9
	ds_bpermute_b32 v10, v7, v14
	ds_bpermute_b32 v8, v7, v20
	;; [unrolled: 1-line block ×7, first 2 shown]
	s_wait_dscnt 0x6
	v_add_f32_e32 v10, v14, v10
	v_cmp_gt_i32_e32 vcc_lo, 32, v23
	s_wait_dscnt 0x4
	v_dual_add_f32 v8, v20, v8 :: v_dual_add_f32 v11, v15, v11
	s_wait_dscnt 0x1
	v_dual_add_f32 v13, v19, v13 :: v_dual_add_f32 v14, v16, v22
	v_cndmask_b32_e32 v23, v1, v23, vcc_lo
	s_wait_dscnt 0x0
	v_dual_add_f32 v7, v17, v7 :: v_dual_add_f32 v12, v18, v12
	s_delay_alu instid0(VALU_DEP_2)
	v_lshlrev_b32_e32 v23, 2, v23
	ds_bpermute_b32 v15, v23, v8
	ds_bpermute_b32 v17, v23, v10
	;; [unrolled: 1-line block ×8, first 2 shown]
	s_wait_dscnt 0x7
	v_dual_add_f32 v8, v8, v15 :: v_dual_bitop2_b32 v23, 8, v1 bitop3:0x14
	s_delay_alu instid0(VALU_DEP_1)
	v_cmp_gt_i32_e32 vcc_lo, 32, v23
	s_wait_dscnt 0x4
	v_dual_add_f32 v10, v10, v17 :: v_dual_add_f32 v11, v11, v18
	s_wait_dscnt 0x2
	v_dual_add_f32 v12, v12, v19 :: v_dual_add_f32 v13, v13, v20
	s_wait_dscnt 0x1
	v_dual_add_f32 v14, v14, v21 :: v_dual_cndmask_b32 v23, v1, v23
	s_wait_dscnt 0x0
	v_dual_add_f32 v9, v9, v16 :: v_dual_add_f32 v7, v7, v22
	s_delay_alu instid0(VALU_DEP_2)
	v_lshlrev_b32_e32 v23, 2, v23
	ds_bpermute_b32 v15, v23, v8
	ds_bpermute_b32 v17, v23, v10
	;; [unrolled: 1-line block ×8, first 2 shown]
	v_xor_b32_e32 v23, 4, v1
	s_delay_alu instid0(VALU_DEP_1) | instskip(SKIP_4) | instid1(VALU_DEP_2)
	v_cmp_gt_i32_e32 vcc_lo, 32, v23
	v_cndmask_b32_e32 v23, v1, v23, vcc_lo
	s_wait_dscnt 0x6
	v_dual_add_f32 v8, v8, v15 :: v_dual_add_f32 v10, v10, v17
	s_wait_dscnt 0x5
	v_dual_add_f32 v9, v9, v16 :: v_dual_lshlrev_b32 v23, 2, v23
	s_wait_dscnt 0x3
	v_dual_add_f32 v11, v11, v18 :: v_dual_add_f32 v12, v12, v19
	s_wait_dscnt 0x1
	v_dual_add_f32 v13, v13, v20 :: v_dual_add_f32 v14, v14, v21
	s_wait_dscnt 0x0
	v_add_f32_e32 v7, v7, v22
	ds_bpermute_b32 v15, v23, v8
	ds_bpermute_b32 v16, v23, v9
	;; [unrolled: 1-line block ×8, first 2 shown]
	s_wait_dscnt 0x7
	v_dual_add_f32 v8, v8, v15 :: v_dual_bitop2_b32 v23, 2, v1 bitop3:0x14
	s_delay_alu instid0(VALU_DEP_1)
	v_cmp_gt_i32_e32 vcc_lo, 32, v23
	s_wait_dscnt 0x5
	v_dual_add_f32 v9, v9, v16 :: v_dual_add_f32 v10, v10, v17
	s_wait_dscnt 0x3
	v_dual_add_f32 v11, v11, v18 :: v_dual_add_f32 v12, v12, v19
	v_cndmask_b32_e32 v23, v1, v23, vcc_lo
	s_wait_dscnt 0x1
	v_dual_add_f32 v13, v13, v20 :: v_dual_add_f32 v14, v14, v21
	s_wait_dscnt 0x0
	s_delay_alu instid0(VALU_DEP_2)
	v_dual_add_f32 v15, v7, v22 :: v_dual_lshlrev_b32 v23, 2, v23
	ds_bpermute_b32 v7, v23, v8
	ds_bpermute_b32 v16, v23, v9
	;; [unrolled: 1-line block ×8, first 2 shown]
	v_xor_b32_e32 v23, 1, v1
	s_delay_alu instid0(VALU_DEP_1) | instskip(SKIP_3) | instid1(VALU_DEP_2)
	v_cmp_gt_i32_e32 vcc_lo, 32, v23
	v_cndmask_b32_e32 v1, v1, v23, vcc_lo
	v_cmp_eq_u32_e32 vcc_lo, 63, v0
	s_wait_dscnt 0x7
	v_dual_lshlrev_b32 v23, 2, v1 :: v_dual_add_f32 v1, v8, v7
	s_wait_dscnt 0x4
	v_dual_add_f32 v7, v9, v16 :: v_dual_add_f32 v9, v11, v18
	s_wait_dscnt 0x3
	v_dual_add_f32 v8, v10, v17 :: v_dual_add_f32 v10, v12, v19
	s_wait_dscnt 0x1
	v_dual_add_f32 v11, v13, v20 :: v_dual_add_f32 v12, v14, v21
	s_wait_dscnt 0x0
	v_add_f32_e32 v13, v15, v22
	ds_bpermute_b32 v14, v23, v1
	ds_bpermute_b32 v15, v23, v7
	;; [unrolled: 1-line block ×8, first 2 shown]
	s_and_b32 exec_lo, exec_lo, vcc_lo
	s_cbranch_execz .LBB34_6
; %bb.34:
	s_load_b64 s[0:1], s[0:1], 0x50
	v_cmp_eq_f32_e32 vcc_lo, 0, v4
	s_wait_dscnt 0x6
	v_dual_add_f32 v0, v1, v14 :: v_dual_add_f32 v22, v7, v15
	s_wait_dscnt 0x4
	v_dual_add_f32 v8, v8, v16 :: v_dual_add_f32 v20, v9, v17
	;; [unrolled: 2-line block ×4, first 2 shown]
	v_xor_b32_e32 v18, 0x80000000, v3
	v_lshlrev_b32_e32 v6, 2, v6
	s_xor_b32 s2, s2, -1
	s_delay_alu instid0(SALU_CYCLE_1) | instskip(NEXT) | instid1(SALU_CYCLE_1)
	s_and_b32 s2, vcc_lo, s2
	s_and_saveexec_b32 s3, s2
	s_delay_alu instid0(SALU_CYCLE_1)
	s_xor_b32 s2, exec_lo, s3
	s_cbranch_execz .LBB34_36
; %bb.35:
	v_dual_mov_b32 v19, v2 :: v_dual_ashrrev_i32 v7, 31, v6
	s_delay_alu instid0(VALU_DEP_1)
	v_pk_mul_f32 v[4:5], v[22:23], v[18:19] op_sel_hi:[0,1]
	v_pk_mul_f32 v[20:21], v[20:21], v[18:19] op_sel_hi:[0,1]
	;; [unrolled: 1-line block ×4, first 2 shown]
	s_wait_kmcnt 0x0
	v_lshl_add_u64 v[18:19], v[6:7], 3, s[0:1]
	v_pk_fma_f32 v[4:5], v[2:3], v[0:1], v[4:5] op_sel_hi:[1,0,1]
	v_pk_fma_f32 v[6:7], v[2:3], v[8:9], v[20:21] op_sel_hi:[1,0,1]
	;; [unrolled: 1-line block ×4, first 2 shown]
                                        ; implicit-def: $vgpr22
                                        ; implicit-def: $vgpr8
                                        ; implicit-def: $vgpr20
                                        ; implicit-def: $vgpr10
                                        ; implicit-def: $vgpr16
                                        ; implicit-def: $vgpr12
                                        ; implicit-def: $vgpr14
	s_clause 0x1
	global_store_b128 v[18:19], v[4:7], off
	global_store_b128 v[18:19], v[0:3], off offset:16
                                        ; implicit-def: $vgpr0
                                        ; implicit-def: $vgpr2_vgpr3
                                        ; implicit-def: $vgpr4_vgpr5
                                        ; implicit-def: $vgpr18
                                        ; implicit-def: $vgpr6
.LBB34_36:
	s_wait_xcnt 0x0
	s_and_not1_saveexec_b32 s2, s2
	s_cbranch_execz .LBB34_6
; %bb.37:
	v_dual_ashrrev_i32 v7, 31, v6 :: v_dual_mov_b32 v19, v2
	s_wait_kmcnt 0x0
	s_delay_alu instid0(VALU_DEP_1) | instskip(NEXT) | instid1(VALU_DEP_2)
	v_lshl_add_u64 v[32:33], v[6:7], 3, s[0:1]
	v_pk_mul_f32 v[6:7], v[22:23], v[18:19] op_sel_hi:[0,1]
	v_pk_mul_f32 v[20:21], v[20:21], v[18:19] op_sel_hi:[0,1]
	;; [unrolled: 1-line block ×4, first 2 shown]
	s_clause 0x1
	global_load_b128 v[24:27], v[32:33], off
	global_load_b128 v[28:31], v[32:33], off offset:16
	v_pk_fma_f32 v[0:1], v[2:3], v[0:1], v[6:7] op_sel_hi:[1,0,1]
	v_pk_fma_f32 v[6:7], v[2:3], v[8:9], v[20:21] op_sel_hi:[1,0,1]
	;; [unrolled: 1-line block ×4, first 2 shown]
	v_xor_b32_e32 v22, 0x80000000, v5
	s_wait_loadcnt 0x1
	v_dual_mov_b32 v23, v4 :: v_dual_mov_b32 v10, v27
	v_pk_fma_f32 v[0:1], v[4:5], v[24:25], v[0:1] op_sel_hi:[1,0,1]
	v_pk_fma_f32 v[6:7], v[4:5], v[26:27], v[6:7] op_sel_hi:[1,0,1]
	s_wait_loadcnt 0x0
	v_pk_fma_f32 v[8:9], v[4:5], v[28:29], v[8:9] op_sel_hi:[1,0,1]
	v_pk_fma_f32 v[12:13], v[4:5], v[30:31], v[2:3] op_sel_hi:[1,0,1]
	v_mov_b32_e32 v14, v31
	v_pk_fma_f32 v[0:1], v[22:23], v[24:25], v[0:1] op_sel:[0,1,0]
	v_pk_fma_f32 v[2:3], v[22:23], v[10:11], v[6:7] op_sel_hi:[1,0,1]
	v_pk_fma_f32 v[4:5], v[22:23], v[28:29], v[8:9] op_sel:[0,1,0]
	s_delay_alu instid0(VALU_DEP_4)
	v_pk_fma_f32 v[6:7], v[22:23], v[14:15], v[12:13] op_sel_hi:[1,0,1]
	s_clause 0x1
	global_store_b128 v[32:33], v[0:3], off
	global_store_b128 v[32:33], v[4:7], off offset:16
	s_sendmsg sendmsg(MSG_DEALLOC_VGPRS)
	s_endpgm
	.section	.rodata,"a",@progbits
	.p2align	6, 0x0
	.amdhsa_kernel _ZN9rocsparseL18bsrxmvn_4x4_kernelILj128ELj64E21rocsparse_complex_numIfEliS2_S2_S2_EEvT3_20rocsparse_direction_NS_24const_host_device_scalarIT1_EES3_PKS3_PKT2_SC_S9_PKT4_PKT5_S7_PT6_21rocsparse_index_base_b
		.amdhsa_group_segment_fixed_size 0
		.amdhsa_private_segment_fixed_size 0
		.amdhsa_kernarg_size 96
		.amdhsa_user_sgpr_count 2
		.amdhsa_user_sgpr_dispatch_ptr 0
		.amdhsa_user_sgpr_queue_ptr 0
		.amdhsa_user_sgpr_kernarg_segment_ptr 1
		.amdhsa_user_sgpr_dispatch_id 0
		.amdhsa_user_sgpr_kernarg_preload_length 0
		.amdhsa_user_sgpr_kernarg_preload_offset 0
		.amdhsa_user_sgpr_private_segment_size 0
		.amdhsa_wavefront_size32 1
		.amdhsa_uses_dynamic_stack 0
		.amdhsa_enable_private_segment 0
		.amdhsa_system_sgpr_workgroup_id_x 1
		.amdhsa_system_sgpr_workgroup_id_y 0
		.amdhsa_system_sgpr_workgroup_id_z 0
		.amdhsa_system_sgpr_workgroup_info 0
		.amdhsa_system_vgpr_workitem_id 0
		.amdhsa_next_free_vgpr 143
		.amdhsa_next_free_sgpr 16
		.amdhsa_named_barrier_count 0
		.amdhsa_reserve_vcc 1
		.amdhsa_float_round_mode_32 0
		.amdhsa_float_round_mode_16_64 0
		.amdhsa_float_denorm_mode_32 3
		.amdhsa_float_denorm_mode_16_64 3
		.amdhsa_fp16_overflow 0
		.amdhsa_memory_ordered 1
		.amdhsa_forward_progress 1
		.amdhsa_inst_pref_size 66
		.amdhsa_round_robin_scheduling 0
		.amdhsa_exception_fp_ieee_invalid_op 0
		.amdhsa_exception_fp_denorm_src 0
		.amdhsa_exception_fp_ieee_div_zero 0
		.amdhsa_exception_fp_ieee_overflow 0
		.amdhsa_exception_fp_ieee_underflow 0
		.amdhsa_exception_fp_ieee_inexact 0
		.amdhsa_exception_int_div_zero 0
	.end_amdhsa_kernel
	.section	.text._ZN9rocsparseL18bsrxmvn_4x4_kernelILj128ELj64E21rocsparse_complex_numIfEliS2_S2_S2_EEvT3_20rocsparse_direction_NS_24const_host_device_scalarIT1_EES3_PKS3_PKT2_SC_S9_PKT4_PKT5_S7_PT6_21rocsparse_index_base_b,"axG",@progbits,_ZN9rocsparseL18bsrxmvn_4x4_kernelILj128ELj64E21rocsparse_complex_numIfEliS2_S2_S2_EEvT3_20rocsparse_direction_NS_24const_host_device_scalarIT1_EES3_PKS3_PKT2_SC_S9_PKT4_PKT5_S7_PT6_21rocsparse_index_base_b,comdat
.Lfunc_end34:
	.size	_ZN9rocsparseL18bsrxmvn_4x4_kernelILj128ELj64E21rocsparse_complex_numIfEliS2_S2_S2_EEvT3_20rocsparse_direction_NS_24const_host_device_scalarIT1_EES3_PKS3_PKT2_SC_S9_PKT4_PKT5_S7_PT6_21rocsparse_index_base_b, .Lfunc_end34-_ZN9rocsparseL18bsrxmvn_4x4_kernelILj128ELj64E21rocsparse_complex_numIfEliS2_S2_S2_EEvT3_20rocsparse_direction_NS_24const_host_device_scalarIT1_EES3_PKS3_PKT2_SC_S9_PKT4_PKT5_S7_PT6_21rocsparse_index_base_b
                                        ; -- End function
	.set _ZN9rocsparseL18bsrxmvn_4x4_kernelILj128ELj64E21rocsparse_complex_numIfEliS2_S2_S2_EEvT3_20rocsparse_direction_NS_24const_host_device_scalarIT1_EES3_PKS3_PKT2_SC_S9_PKT4_PKT5_S7_PT6_21rocsparse_index_base_b.num_vgpr, 143
	.set _ZN9rocsparseL18bsrxmvn_4x4_kernelILj128ELj64E21rocsparse_complex_numIfEliS2_S2_S2_EEvT3_20rocsparse_direction_NS_24const_host_device_scalarIT1_EES3_PKS3_PKT2_SC_S9_PKT4_PKT5_S7_PT6_21rocsparse_index_base_b.num_agpr, 0
	.set _ZN9rocsparseL18bsrxmvn_4x4_kernelILj128ELj64E21rocsparse_complex_numIfEliS2_S2_S2_EEvT3_20rocsparse_direction_NS_24const_host_device_scalarIT1_EES3_PKS3_PKT2_SC_S9_PKT4_PKT5_S7_PT6_21rocsparse_index_base_b.numbered_sgpr, 16
	.set _ZN9rocsparseL18bsrxmvn_4x4_kernelILj128ELj64E21rocsparse_complex_numIfEliS2_S2_S2_EEvT3_20rocsparse_direction_NS_24const_host_device_scalarIT1_EES3_PKS3_PKT2_SC_S9_PKT4_PKT5_S7_PT6_21rocsparse_index_base_b.num_named_barrier, 0
	.set _ZN9rocsparseL18bsrxmvn_4x4_kernelILj128ELj64E21rocsparse_complex_numIfEliS2_S2_S2_EEvT3_20rocsparse_direction_NS_24const_host_device_scalarIT1_EES3_PKS3_PKT2_SC_S9_PKT4_PKT5_S7_PT6_21rocsparse_index_base_b.private_seg_size, 0
	.set _ZN9rocsparseL18bsrxmvn_4x4_kernelILj128ELj64E21rocsparse_complex_numIfEliS2_S2_S2_EEvT3_20rocsparse_direction_NS_24const_host_device_scalarIT1_EES3_PKS3_PKT2_SC_S9_PKT4_PKT5_S7_PT6_21rocsparse_index_base_b.uses_vcc, 1
	.set _ZN9rocsparseL18bsrxmvn_4x4_kernelILj128ELj64E21rocsparse_complex_numIfEliS2_S2_S2_EEvT3_20rocsparse_direction_NS_24const_host_device_scalarIT1_EES3_PKS3_PKT2_SC_S9_PKT4_PKT5_S7_PT6_21rocsparse_index_base_b.uses_flat_scratch, 1
	.set _ZN9rocsparseL18bsrxmvn_4x4_kernelILj128ELj64E21rocsparse_complex_numIfEliS2_S2_S2_EEvT3_20rocsparse_direction_NS_24const_host_device_scalarIT1_EES3_PKS3_PKT2_SC_S9_PKT4_PKT5_S7_PT6_21rocsparse_index_base_b.has_dyn_sized_stack, 0
	.set _ZN9rocsparseL18bsrxmvn_4x4_kernelILj128ELj64E21rocsparse_complex_numIfEliS2_S2_S2_EEvT3_20rocsparse_direction_NS_24const_host_device_scalarIT1_EES3_PKS3_PKT2_SC_S9_PKT4_PKT5_S7_PT6_21rocsparse_index_base_b.has_recursion, 0
	.set _ZN9rocsparseL18bsrxmvn_4x4_kernelILj128ELj64E21rocsparse_complex_numIfEliS2_S2_S2_EEvT3_20rocsparse_direction_NS_24const_host_device_scalarIT1_EES3_PKS3_PKT2_SC_S9_PKT4_PKT5_S7_PT6_21rocsparse_index_base_b.has_indirect_call, 0
	.section	.AMDGPU.csdata,"",@progbits
; Kernel info:
; codeLenInByte = 8388
; TotalNumSgprs: 18
; NumVgprs: 143
; ScratchSize: 0
; MemoryBound: 0
; FloatMode: 240
; IeeeMode: 1
; LDSByteSize: 0 bytes/workgroup (compile time only)
; SGPRBlocks: 0
; VGPRBlocks: 8
; NumSGPRsForWavesPerEU: 18
; NumVGPRsForWavesPerEU: 143
; NamedBarCnt: 0
; Occupancy: 7
; WaveLimiterHint : 1
; COMPUTE_PGM_RSRC2:SCRATCH_EN: 0
; COMPUTE_PGM_RSRC2:USER_SGPR: 2
; COMPUTE_PGM_RSRC2:TRAP_HANDLER: 0
; COMPUTE_PGM_RSRC2:TGID_X_EN: 1
; COMPUTE_PGM_RSRC2:TGID_Y_EN: 0
; COMPUTE_PGM_RSRC2:TGID_Z_EN: 0
; COMPUTE_PGM_RSRC2:TIDIG_COMP_CNT: 0
	.section	.text._ZN9rocsparseL18bsrxmvn_4x4_kernelILj128ELj4E21rocsparse_complex_numIdEliS2_S2_S2_EEvT3_20rocsparse_direction_NS_24const_host_device_scalarIT1_EES3_PKS3_PKT2_SC_S9_PKT4_PKT5_S7_PT6_21rocsparse_index_base_b,"axG",@progbits,_ZN9rocsparseL18bsrxmvn_4x4_kernelILj128ELj4E21rocsparse_complex_numIdEliS2_S2_S2_EEvT3_20rocsparse_direction_NS_24const_host_device_scalarIT1_EES3_PKS3_PKT2_SC_S9_PKT4_PKT5_S7_PT6_21rocsparse_index_base_b,comdat
	.globl	_ZN9rocsparseL18bsrxmvn_4x4_kernelILj128ELj4E21rocsparse_complex_numIdEliS2_S2_S2_EEvT3_20rocsparse_direction_NS_24const_host_device_scalarIT1_EES3_PKS3_PKT2_SC_S9_PKT4_PKT5_S7_PT6_21rocsparse_index_base_b ; -- Begin function _ZN9rocsparseL18bsrxmvn_4x4_kernelILj128ELj4E21rocsparse_complex_numIdEliS2_S2_S2_EEvT3_20rocsparse_direction_NS_24const_host_device_scalarIT1_EES3_PKS3_PKT2_SC_S9_PKT4_PKT5_S7_PT6_21rocsparse_index_base_b
	.p2align	8
	.type	_ZN9rocsparseL18bsrxmvn_4x4_kernelILj128ELj4E21rocsparse_complex_numIdEliS2_S2_S2_EEvT3_20rocsparse_direction_NS_24const_host_device_scalarIT1_EES3_PKS3_PKT2_SC_S9_PKT4_PKT5_S7_PT6_21rocsparse_index_base_b,@function
_ZN9rocsparseL18bsrxmvn_4x4_kernelILj128ELj4E21rocsparse_complex_numIdEliS2_S2_S2_EEvT3_20rocsparse_direction_NS_24const_host_device_scalarIT1_EES3_PKS3_PKT2_SC_S9_PKT4_PKT5_S7_PT6_21rocsparse_index_base_b: ; @_ZN9rocsparseL18bsrxmvn_4x4_kernelILj128ELj4E21rocsparse_complex_numIdEliS2_S2_S2_EEvT3_20rocsparse_direction_NS_24const_host_device_scalarIT1_EES3_PKS3_PKT2_SC_S9_PKT4_PKT5_S7_PT6_21rocsparse_index_base_b
; %bb.0:
	s_clause 0x1
	s_load_b64 s[12:13], s[0:1], 0x68
	s_load_b64 s[2:3], s[0:1], 0x8
	v_mov_b32_e32 v1, 0
	s_add_nc_u64 s[4:5], s[0:1], 8
	s_load_b64 s[6:7], s[0:1], 0x50
	s_wait_kmcnt 0x0
	s_bitcmp1_b32 s13, 0
	s_cselect_b32 s3, s5, s3
	s_cselect_b32 s2, s4, s2
	flat_load_b128 v[6:9], v1, s[2:3]
	s_wait_xcnt 0x0
	s_add_nc_u64 s[2:3], s[0:1], 0x50
	s_delay_alu instid0(SALU_CYCLE_1)
	s_cselect_b32 s3, s3, s7
	s_cselect_b32 s2, s2, s6
	flat_load_b128 v[2:5], v1, s[2:3]
	s_wait_loadcnt_dscnt 0x101
	v_cmp_eq_f64_e32 vcc_lo, 0, v[6:7]
	s_wait_xcnt 0x0
	v_cmp_eq_f64_e64 s2, 0, v[8:9]
	s_and_b32 s4, vcc_lo, s2
	s_mov_b32 s2, -1
	s_and_saveexec_b32 s3, s4
	s_cbranch_execz .LBB35_2
; %bb.1:
	s_wait_loadcnt_dscnt 0x0
	v_cmp_neq_f64_e32 vcc_lo, 1.0, v[2:3]
	v_cmp_neq_f64_e64 s2, 0, v[4:5]
	s_or_b32 s2, vcc_lo, s2
	s_delay_alu instid0(SALU_CYCLE_1)
	s_or_not1_b32 s2, s2, exec_lo
.LBB35_2:
	s_or_b32 exec_lo, exec_lo, s3
	s_and_saveexec_b32 s3, s2
	s_cbranch_execz .LBB35_8
; %bb.3:
	s_clause 0x1
	s_load_b64 s[4:5], s[0:1], 0x20
	s_load_b64 s[2:3], s[0:1], 0x0
	s_bfe_u32 s6, ttmp6, 0x4000c
	s_and_b32 s7, ttmp6, 15
	s_add_co_i32 s6, s6, 1
	s_getreg_b32 s8, hwreg(HW_REG_IB_STS2, 6, 4)
	s_mul_i32 s6, ttmp9, s6
	v_lshrrev_b32_e32 v1, 2, v0
	s_add_co_i32 s7, s7, s6
	s_cmp_eq_u32 s8, 0
	s_cselect_b32 s6, ttmp9, s7
	s_delay_alu instid0(VALU_DEP_1) | instid1(SALU_CYCLE_1)
	v_lshl_or_b32 v26, s6, 5, v1
	s_mov_b32 s6, 0
	s_wait_kmcnt 0x0
	s_cmp_lg_u64 s[4:5], 0
	s_cbranch_scc0 .LBB35_9
; %bb.4:
	s_load_b32 s6, s[0:1], 0x18
	s_mov_b32 s7, 0
                                        ; implicit-def: $vgpr1
	s_wait_kmcnt 0x0
	v_cmp_gt_i32_e32 vcc_lo, s6, v26
	s_mov_b32 s6, 0
	s_and_saveexec_b32 s8, vcc_lo
	s_delay_alu instid0(SALU_CYCLE_1)
	s_xor_b32 s8, exec_lo, s8
	s_cbranch_execz .LBB35_6
; %bb.5:
	global_load_b32 v1, v26, s[4:5] scale_offset
	s_mov_b32 s6, exec_lo
	s_wait_loadcnt 0x0
	v_subrev_nc_u32_e32 v1, s12, v1
.LBB35_6:
	s_or_b32 exec_lo, exec_lo, s8
	s_delay_alu instid0(SALU_CYCLE_1)
	s_and_b32 vcc_lo, exec_lo, s7
	s_cbranch_vccz .LBB35_10
.LBB35_7:
	v_cmp_gt_i32_e32 vcc_lo, s2, v26
	s_and_not1_b32 s2, s6, exec_lo
	s_and_b32 s4, vcc_lo, exec_lo
	s_delay_alu instid0(SALU_CYCLE_1) | instskip(NEXT) | instid1(SALU_CYCLE_1)
	s_or_b32 s6, s2, s4
	s_and_b32 exec_lo, exec_lo, s6
	s_cbranch_execnz .LBB35_11
.LBB35_8:
	s_sendmsg sendmsg(MSG_DEALLOC_VGPRS)
	s_endpgm
.LBB35_9:
                                        ; implicit-def: $vgpr1
	s_cbranch_execnz .LBB35_7
.LBB35_10:
	s_delay_alu instid0(VALU_DEP_1)
	v_mov_b32_e32 v26, v1
	s_and_b32 exec_lo, exec_lo, s6
	s_cbranch_execz .LBB35_8
.LBB35_11:
	s_load_b256 s[4:11], s[0:1], 0x28
	s_mov_b32 s13, 0
	v_dual_mov_b32 v1, 0 :: v_dual_bitop2_b32 v0, 3, v0 bitop3:0x40
	s_wait_kmcnt 0x0
	s_cmp_eq_u64 s[6:7], 0
	global_load_b64 v[34:35], v26, s[4:5] scale_offset
	s_cselect_b32 vcc_lo, -1, 0
	v_ashrrev_i32_e32 v27, 31, v26
	s_cmp_eq_u32 s3, 1
	s_delay_alu instid0(VALU_DEP_1) | instskip(NEXT) | instid1(VALU_DEP_1)
	v_lshlrev_b64_e32 v[10:11], 3, v[26:27]
	v_add_nc_u64_e32 v[12:13], s[4:5], v[10:11]
	v_add_nc_u64_e32 v[10:11], s[6:7], v[10:11]
	s_wait_xcnt 0x0
	s_load_b64 s[4:5], s[0:1], 0x48
	s_delay_alu instid0(VALU_DEP_2) | instskip(NEXT) | instid1(VALU_DEP_1)
	v_add_nc_u64_e32 v[12:13], 8, v[12:13]
	v_dual_cndmask_b32 v11, v11, v13 :: v_dual_cndmask_b32 v10, v10, v12
	global_load_b64 v[10:11], v[10:11], off
	s_wait_loadcnt 0x1
	v_sub_nc_u64_e64 v[12:13], v[34:35], s[12:13]
	s_delay_alu instid0(VALU_DEP_1) | instskip(NEXT) | instid1(VALU_DEP_1)
	v_add_nc_u64_e32 v[12:13], v[12:13], v[0:1]
	v_lshlrev_b64_e32 v[16:17], 8, v[12:13]
	s_delay_alu instid0(VALU_DEP_1) | instskip(SKIP_2) | instid1(VALU_DEP_1)
	v_add_nc_u64_e32 v[16:17], s[10:11], v[16:17]
	s_wait_loadcnt 0x0
	v_sub_nc_u64_e64 v[14:15], v[10:11], s[12:13]
	v_cmp_lt_i64_e64 s2, v[12:13], v[14:15]
	s_cbranch_scc1 .LBB35_23
; %bb.12:
	v_mov_b64_e32 v[10:11], 0
	v_mov_b64_e32 v[32:33], 0
	;; [unrolled: 1-line block ×8, first 2 shown]
	s_and_saveexec_b32 s3, s2
	s_cbranch_execz .LBB35_22
; %bb.13:
	v_dual_mov_b32 v11, v1 :: v_dual_bitop2_b32 v10, 4, v0 bitop3:0x54
	v_sub_nc_u64_e32 v[18:19], s[12:13], v[0:1]
	v_not_b32_e32 v21, v35
	v_not_b32_e32 v20, v34
	v_mov_b64_e32 v[30:31], 0
	v_sub_nc_u64_e64 v[10:11], v[10:11], s[12:13]
	v_mov_b64_e32 v[22:23], 0
	v_mov_b64_e32 v[28:29], 0
	v_add_nc_u64_e32 v[18:19], v[18:19], v[20:21]
	v_mov_b64_e32 v[20:21], 0
	v_mov_b64_e32 v[24:25], 0
	;; [unrolled: 1-line block ×3, first 2 shown]
	v_add_nc_u64_e32 v[10:11], v[10:11], v[34:35]
	v_mov_b64_e32 v[36:37], v[16:17]
	v_mov_b64_e32 v[38:39], v[12:13]
	s_mov_b32 s6, exec_lo
	s_delay_alu instid0(VALU_DEP_3) | instskip(NEXT) | instid1(VALU_DEP_1)
	v_max_i64 v[10:11], v[10:11], v[14:15]
	v_add_nc_u64_e32 v[40:41], v[18:19], v[10:11]
	v_mov_b64_e32 v[18:19], 0
	v_mov_b64_e32 v[10:11], 0
	s_delay_alu instid0(VALU_DEP_3) | instskip(NEXT) | instid1(VALU_DEP_1)
	v_dual_mov_b32 v45, 0 :: v_dual_bitop2_b32 v44, 12, v40 bitop3:0x40
	v_cmpx_ne_u64_e32 12, v[44:45]
	s_cbranch_execz .LBB35_17
; %bb.14:
	v_lshrrev_b32_e32 v10, 2, v40
	v_mov_b64_e32 v[32:33], 0
	v_mov_b64_e32 v[24:25], 0
	;; [unrolled: 1-line block ×4, first 2 shown]
	v_add_nc_u32_e32 v18, 1, v10
	v_mov_b64_e32 v[10:11], 0
	v_mov_b64_e32 v[30:31], 0
	;; [unrolled: 1-line block ×4, first 2 shown]
	v_and_b32_e32 v44, 3, v18
	v_mov_b64_e32 v[18:19], 0
	v_mov_b64_e32 v[36:37], v[16:17]
	v_lshl_add_u64 v[42:43], v[12:13], 2, s[8:9]
	s_mov_b32 s7, 0
	v_sub_nc_u64_e32 v[44:45], 0, v[44:45]
.LBB35_15:                              ; =>This Inner Loop Header: Depth=1
	global_load_b32 v27, v[42:43], off
	s_clause 0x6
	global_load_b128 v[46:49], v[36:37], off offset:16
	global_load_b128 v[50:53], v[36:37], off
	global_load_b128 v[54:57], v[36:37], off offset:80
	global_load_b128 v[58:61], v[36:37], off offset:64
	;; [unrolled: 1-line block ×5, first 2 shown]
	v_add_nc_u64_e32 v[44:45], 1, v[44:45]
	v_add_nc_u64_e32 v[38:39], 4, v[38:39]
	s_wait_xcnt 0x7
	v_add_nc_u64_e32 v[42:43], 16, v[42:43]
	s_delay_alu instid0(VALU_DEP_3) | instskip(SKIP_3) | instid1(VALU_DEP_1)
	v_cmp_eq_u64_e32 vcc_lo, 0, v[44:45]
	s_or_b32 s7, vcc_lo, s7
	s_wait_loadcnt 0x7
	v_subrev_nc_u32_e32 v27, s12, v27
	v_lshlrev_b32_e32 v27, 2, v27
	s_wait_kmcnt 0x0
	global_load_b128 v[74:77], v27, s[4:5] scale_offset
	global_load_b128 v[78:81], v[36:37], off offset:208
	global_load_b128 v[82:85], v27, s[4:5] offset:16 scale_offset
	s_clause 0x6
	global_load_b128 v[86:89], v[36:37], off offset:48
	global_load_b128 v[90:93], v[36:37], off offset:32
	global_load_b128 v[94:97], v[36:37], off offset:112
	global_load_b128 v[98:101], v[36:37], off offset:96
	global_load_b128 v[102:105], v[36:37], off offset:176
	global_load_b128 v[106:109], v[36:37], off offset:160
	global_load_b128 v[110:113], v[36:37], off offset:224
	global_load_b128 v[114:117], v27, s[4:5] offset:32 scale_offset
	global_load_b128 v[118:121], v[36:37], off offset:240
	global_load_b128 v[122:125], v27, s[4:5] offset:48 scale_offset
	s_wait_xcnt 0x1
	v_add_nc_u64_e32 v[36:37], 0x400, v[36:37]
	s_wait_loadcnt 0xc
	v_fmac_f64_e32 v[32:33], v[50:51], v[74:75]
	v_fmac_f64_e32 v[10:11], v[52:53], v[74:75]
	v_fmac_f64_e32 v[30:31], v[58:59], v[74:75]
	v_fmac_f64_e32 v[20:21], v[60:61], v[74:75]
	v_fmac_f64_e32 v[28:29], v[66:67], v[74:75]
	v_fmac_f64_e32 v[22:23], v[68:69], v[74:75]
	v_fmac_f64_e32 v[24:25], v[70:71], v[74:75]
	v_fmac_f64_e32 v[18:19], v[72:73], v[74:75]
	v_fma_f64 v[32:33], -v[52:53], v[76:77], v[32:33]
	v_fmac_f64_e32 v[10:11], v[50:51], v[76:77]
	v_fma_f64 v[30:31], -v[60:61], v[76:77], v[30:31]
	v_fmac_f64_e32 v[20:21], v[58:59], v[76:77]
	v_fma_f64 v[28:29], -v[68:69], v[76:77], v[28:29]
	v_fmac_f64_e32 v[22:23], v[66:67], v[76:77]
	v_fma_f64 v[24:25], -v[72:73], v[76:77], v[24:25]
	v_fmac_f64_e32 v[18:19], v[70:71], v[76:77]
	s_wait_loadcnt 0xa
	v_fmac_f64_e32 v[32:33], v[46:47], v[82:83]
	v_fmac_f64_e32 v[10:11], v[48:49], v[82:83]
	v_fmac_f64_e32 v[30:31], v[54:55], v[82:83]
	v_fmac_f64_e32 v[20:21], v[56:57], v[82:83]
	v_fmac_f64_e32 v[28:29], v[62:63], v[82:83]
	v_fmac_f64_e32 v[22:23], v[64:65], v[82:83]
	v_fmac_f64_e32 v[24:25], v[78:79], v[82:83]
	v_fmac_f64_e32 v[18:19], v[80:81], v[82:83]
	v_fma_f64 v[32:33], -v[48:49], v[84:85], v[32:33]
	v_fmac_f64_e32 v[10:11], v[46:47], v[84:85]
	v_fma_f64 v[30:31], -v[56:57], v[84:85], v[30:31]
	v_fmac_f64_e32 v[20:21], v[54:55], v[84:85]
	v_fma_f64 v[28:29], -v[64:65], v[84:85], v[28:29]
	v_fmac_f64_e32 v[22:23], v[62:63], v[84:85]
	v_fma_f64 v[24:25], -v[80:81], v[84:85], v[24:25]
	v_fmac_f64_e32 v[18:19], v[78:79], v[84:85]
	;; [unrolled: 17-line block ×4, first 2 shown]
	s_and_not1_b32 exec_lo, exec_lo, s7
	s_cbranch_execnz .LBB35_15
; %bb.16:
	s_or_b32 exec_lo, exec_lo, s7
.LBB35_17:
	s_delay_alu instid0(SALU_CYCLE_1) | instskip(NEXT) | instid1(SALU_CYCLE_1)
	s_or_b32 exec_lo, exec_lo, s6
	s_mov_b32 s6, exec_lo
	v_cmpx_lt_u64_e32 11, v[40:41]
	s_cbranch_execz .LBB35_21
; %bb.18:
	v_lshl_add_u64 v[40:41], v[38:39], 2, s[8:9]
	s_mov_b32 s7, 0
	s_delay_alu instid0(VALU_DEP_1)
	v_add_nc_u64_e32 v[40:41], 32, v[40:41]
.LBB35_19:                              ; =>This Inner Loop Header: Depth=1
	global_load_b32 v27, v[40:41], off offset:-32
	s_clause 0x15
	global_load_b128 v[42:45], v[36:37], off offset:48
	global_load_b128 v[46:49], v[36:37], off offset:32
	;; [unrolled: 1-line block ×3, first 2 shown]
	global_load_b128 v[54:57], v[36:37], off
	global_load_b128 v[58:61], v[36:37], off offset:112
	global_load_b128 v[62:65], v[36:37], off offset:96
	;; [unrolled: 1-line block ×18, first 2 shown]
	s_clause 0x2
	global_load_b32 v174, v[40:41], off offset:-16
	global_load_b32 v175, v[40:41], off
	global_load_b32 v176, v[40:41], off offset:16
	s_clause 0x7
	global_load_b128 v[130:133], v[36:37], off offset:1104
	global_load_b128 v[134:137], v[36:37], off offset:1088
	;; [unrolled: 1-line block ×8, first 2 shown]
	v_add_nc_u64_e32 v[38:39], 16, v[38:39]
	s_wait_xcnt 0x8
	v_add_nc_u64_e32 v[40:41], 64, v[40:41]
	s_delay_alu instid0(VALU_DEP_2) | instskip(SKIP_3) | instid1(VALU_DEP_1)
	v_cmp_ge_i64_e32 vcc_lo, v[38:39], v[14:15]
	s_or_b32 s7, vcc_lo, s7
	s_wait_loadcnt 0x21
	v_subrev_nc_u32_e32 v27, s12, v27
	v_lshlrev_b32_e32 v27, 2, v27
	s_wait_kmcnt 0x0
	s_clause 0x1
	global_load_b128 v[162:165], v27, s[4:5] scale_offset
	global_load_b128 v[166:169], v27, s[4:5] offset:16 scale_offset
	s_wait_loadcnt 0x1
	v_fmac_f64_e32 v[32:33], v[54:55], v[162:163]
	v_fmac_f64_e32 v[10:11], v[56:57], v[162:163]
	;; [unrolled: 1-line block ×8, first 2 shown]
	v_fma_f64 v[170:171], -v[56:57], v[164:165], v[32:33]
	v_fmac_f64_e32 v[10:11], v[54:55], v[164:165]
	v_fma_f64 v[172:173], -v[72:73], v[164:165], v[30:31]
	v_fmac_f64_e32 v[20:21], v[70:71], v[164:165]
	;; [unrolled: 2-line block ×4, first 2 shown]
	s_clause 0x4
	global_load_b128 v[54:57], v[36:37], off offset:1232
	global_load_b128 v[30:33], v[36:37], off offset:1216
	;; [unrolled: 1-line block ×5, first 2 shown]
	s_wait_loadcnt 0x5
	v_fmac_f64_e32 v[170:171], v[50:51], v[166:167]
	v_fmac_f64_e32 v[10:11], v[52:53], v[166:167]
	;; [unrolled: 1-line block ×8, first 2 shown]
	v_fma_f64 v[170:171], -v[52:53], v[168:169], v[170:171]
	v_fmac_f64_e32 v[10:11], v[50:51], v[168:169]
	global_load_b128 v[50:53], v[36:37], off offset:2048
	v_fma_f64 v[172:173], -v[68:69], v[168:169], v[172:173]
	v_fmac_f64_e32 v[20:21], v[66:67], v[168:169]
	global_load_b128 v[66:69], v[36:37], off offset:2160
	;; [unrolled: 3-line block ×3, first 2 shown]
	v_fma_f64 v[24:25], -v[100:101], v[168:169], v[24:25]
	v_fmac_f64_e32 v[18:19], v[98:99], v[168:169]
	s_clause 0x1
	global_load_b128 v[98:101], v27, s[4:5] offset:32 scale_offset
	global_load_b128 v[162:165], v27, s[4:5] offset:48 scale_offset
	s_wait_xcnt 0x0
	v_subrev_nc_u32_e32 v27, s12, v174
	s_delay_alu instid0(VALU_DEP_1)
	v_lshlrev_b32_e32 v27, 2, v27
	s_wait_loadcnt 0x1
	v_fmac_f64_e32 v[170:171], v[46:47], v[98:99]
	v_fmac_f64_e32 v[10:11], v[48:49], v[98:99]
	;; [unrolled: 1-line block ×8, first 2 shown]
	v_fma_f64 v[166:167], -v[48:49], v[100:101], v[170:171]
	v_fmac_f64_e32 v[10:11], v[46:47], v[100:101]
	v_fma_f64 v[168:169], -v[64:65], v[100:101], v[172:173]
	v_fmac_f64_e32 v[20:21], v[62:63], v[100:101]
	;; [unrolled: 2-line block ×4, first 2 shown]
	s_clause 0x4
	global_load_b128 v[46:49], v[36:37], off offset:2128
	global_load_b128 v[62:65], v[36:37], off offset:2112
	;; [unrolled: 1-line block ×5, first 2 shown]
	s_wait_loadcnt 0x5
	v_fmac_f64_e32 v[166:167], v[42:43], v[162:163]
	v_fmac_f64_e32 v[10:11], v[44:45], v[162:163]
	;; [unrolled: 1-line block ×8, first 2 shown]
	v_fma_f64 v[166:167], -v[44:45], v[164:165], v[166:167]
	v_fmac_f64_e32 v[10:11], v[42:43], v[164:165]
	global_load_b128 v[42:45], v[36:37], off offset:2176
	v_fma_f64 v[168:169], -v[60:61], v[164:165], v[168:169]
	v_fmac_f64_e32 v[20:21], v[58:59], v[164:165]
	global_load_b128 v[58:61], v[36:37], off offset:2288
	;; [unrolled: 3-line block ×3, first 2 shown]
	v_fma_f64 v[24:25], -v[92:93], v[164:165], v[24:25]
	v_fmac_f64_e32 v[18:19], v[90:91], v[164:165]
	s_clause 0x1
	global_load_b128 v[90:93], v27, s[4:5] scale_offset
	global_load_b128 v[162:165], v27, s[4:5] offset:16 scale_offset
	s_wait_loadcnt 0x1
	v_fmac_f64_e32 v[166:167], v[118:119], v[90:91]
	v_fmac_f64_e32 v[168:169], v[134:135], v[90:91]
	;; [unrolled: 1-line block ×8, first 2 shown]
	v_fma_f64 v[166:167], -v[120:121], v[92:93], v[166:167]
	v_fma_f64 v[168:169], -v[136:137], v[92:93], v[168:169]
	v_fmac_f64_e32 v[20:21], v[134:135], v[92:93]
	v_fmac_f64_e32 v[10:11], v[118:119], v[92:93]
	s_clause 0x1
	global_load_b128 v[118:121], v[36:37], off offset:2256
	global_load_b128 v[134:137], v[36:37], off offset:2240
	v_fma_f64 v[170:171], -v[152:153], v[92:93], v[28:29]
	v_fmac_f64_e32 v[22:23], v[150:151], v[92:93]
	global_load_b128 v[150:153], v[36:37], off offset:3088
	v_fma_f64 v[24:25], -v[32:33], v[92:93], v[24:25]
	v_fmac_f64_e32 v[18:19], v[30:31], v[92:93]
	s_clause 0x1
	global_load_b128 v[28:31], v[36:37], off offset:3072
	global_load_b128 v[90:93], v[36:37], off offset:3152
	s_wait_loadcnt 0x5
	v_fmac_f64_e32 v[166:167], v[114:115], v[162:163]
	v_fmac_f64_e32 v[168:169], v[130:131], v[162:163]
	;; [unrolled: 1-line block ×8, first 2 shown]
	v_fma_f64 v[32:33], -v[116:117], v[164:165], v[166:167]
	v_fma_f64 v[166:167], -v[132:133], v[164:165], v[168:169]
	v_fmac_f64_e32 v[20:21], v[130:131], v[164:165]
	global_load_b128 v[130:133], v27, s[4:5] offset:32 scale_offset
	v_fmac_f64_e32 v[10:11], v[114:115], v[164:165]
	global_load_b128 v[114:117], v[36:37], off offset:3136
	v_fma_f64 v[168:169], -v[148:149], v[164:165], v[170:171]
	v_fmac_f64_e32 v[22:23], v[146:147], v[164:165]
	global_load_b128 v[146:149], v27, s[4:5] offset:48 scale_offset
	s_wait_xcnt 0x0
	v_subrev_nc_u32_e32 v27, s12, v175
	v_fma_f64 v[24:25], -v[56:57], v[164:165], v[24:25]
	v_fmac_f64_e32 v[18:19], v[54:55], v[164:165]
	global_load_b128 v[54:57], v[36:37], off offset:3216
	v_lshlrev_b32_e32 v27, 2, v27
	global_load_b128 v[162:165], v27, s[4:5] scale_offset
	s_wait_loadcnt 0x4
	v_fmac_f64_e32 v[32:33], v[110:111], v[130:131]
	v_fmac_f64_e32 v[10:11], v[112:113], v[130:131]
	;; [unrolled: 1-line block ×8, first 2 shown]
	v_fma_f64 v[32:33], -v[112:113], v[132:133], v[32:33]
	v_fmac_f64_e32 v[10:11], v[110:111], v[132:133]
	global_load_b128 v[110:113], v27, s[4:5] offset:16 scale_offset
	v_fma_f64 v[168:169], -v[144:145], v[132:133], v[168:169]
	v_fmac_f64_e32 v[22:23], v[142:143], v[132:133]
	global_load_b128 v[142:145], v27, s[4:5] offset:32 scale_offset
	v_fma_f64 v[166:167], -v[128:129], v[132:133], v[166:167]
	v_fmac_f64_e32 v[20:21], v[126:127], v[132:133]
	global_load_b128 v[126:129], v[36:37], off offset:3200
	v_fma_f64 v[24:25], -v[160:161], v[132:133], v[24:25]
	v_fmac_f64_e32 v[18:19], v[158:159], v[132:133]
	global_load_b128 v[130:133], v[36:37], off offset:3280
	global_load_b128 v[158:161], v27, s[4:5] offset:48 scale_offset
	s_wait_xcnt 0x0
	v_subrev_nc_u32_e32 v27, s12, v176
	s_delay_alu instid0(VALU_DEP_1)
	v_lshlrev_b32_e32 v27, 2, v27
	s_wait_loadcnt 0x7
	v_fmac_f64_e32 v[32:33], v[106:107], v[146:147]
	v_fmac_f64_e32 v[10:11], v[108:109], v[146:147]
	;; [unrolled: 1-line block ×8, first 2 shown]
	v_fma_f64 v[32:33], -v[108:109], v[148:149], v[32:33]
	v_fmac_f64_e32 v[10:11], v[106:107], v[148:149]
	global_load_b128 v[106:109], v[36:37], off offset:3264
	v_fma_f64 v[168:169], -v[140:141], v[148:149], v[168:169]
	v_fmac_f64_e32 v[22:23], v[138:139], v[148:149]
	global_load_b128 v[138:141], v[36:37], off offset:3120
	v_fma_f64 v[166:167], -v[124:125], v[148:149], v[166:167]
	v_fmac_f64_e32 v[20:21], v[122:123], v[148:149]
	global_load_b128 v[122:125], v27, s[4:5] scale_offset
	v_fma_f64 v[24:25], -v[156:157], v[148:149], v[24:25]
	v_fmac_f64_e32 v[18:19], v[154:155], v[148:149]
	global_load_b128 v[146:149], v[36:37], off offset:3104
	global_load_b128 v[154:157], v27, s[4:5] offset:16 scale_offset
	s_wait_loadcnt 0xa
	v_fmac_f64_e32 v[32:33], v[50:51], v[162:163]
	v_fmac_f64_e32 v[10:11], v[52:53], v[162:163]
	;; [unrolled: 1-line block ×8, first 2 shown]
	v_fma_f64 v[32:33], -v[52:53], v[164:165], v[32:33]
	v_fmac_f64_e32 v[10:11], v[50:51], v[164:165]
	global_load_b128 v[50:53], v[36:37], off offset:3184
	v_fma_f64 v[168:169], -v[44:45], v[164:165], v[168:169]
	v_fmac_f64_e32 v[22:23], v[42:43], v[164:165]
	global_load_b128 v[42:45], v[36:37], off offset:3248
	;; [unrolled: 3-line block ×3, first 2 shown]
	v_fma_f64 v[24:25], -v[136:137], v[164:165], v[24:25]
	v_fmac_f64_e32 v[18:19], v[134:135], v[164:165]
	s_clause 0x1
	global_load_b128 v[134:137], v[36:37], off offset:3232
	global_load_b128 v[162:165], v[36:37], off offset:3296
	s_wait_loadcnt 0xe
	v_fmac_f64_e32 v[32:33], v[102:103], v[110:111]
	v_fmac_f64_e32 v[10:11], v[104:105], v[110:111]
	v_fmac_f64_e32 v[166:167], v[46:47], v[110:111]
	v_fmac_f64_e32 v[20:21], v[48:49], v[110:111]
	v_fmac_f64_e32 v[168:169], v[98:99], v[110:111]
	v_fmac_f64_e32 v[22:23], v[100:101], v[110:111]
	v_fmac_f64_e32 v[24:25], v[118:119], v[110:111]
	v_fmac_f64_e32 v[18:19], v[120:121], v[110:111]
	v_fma_f64 v[32:33], -v[104:105], v[112:113], v[32:33]
	v_fmac_f64_e32 v[10:11], v[102:103], v[112:113]
	global_load_b128 v[102:105], v27, s[4:5] offset:32 scale_offset
	v_fma_f64 v[110:111], -v[48:49], v[112:113], v[166:167]
	v_fmac_f64_e32 v[20:21], v[46:47], v[112:113]
	v_fma_f64 v[166:167], -v[100:101], v[112:113], v[168:169]
	v_fmac_f64_e32 v[22:23], v[98:99], v[112:113]
	;; [unrolled: 2-line block ×3, first 2 shown]
	global_load_b128 v[46:49], v[36:37], off offset:3312
	global_load_b128 v[98:101], v27, s[4:5] offset:48 scale_offset
	s_wait_xcnt 0x1
	v_add_nc_u64_e32 v[36:37], 0x1000, v[36:37]
	s_wait_loadcnt 0x10
	v_fmac_f64_e32 v[32:33], v[86:87], v[142:143]
	v_fmac_f64_e32 v[10:11], v[88:89], v[142:143]
	v_fmac_f64_e32 v[110:111], v[82:83], v[142:143]
	v_fmac_f64_e32 v[20:21], v[84:85], v[142:143]
	v_fmac_f64_e32 v[166:167], v[94:95], v[142:143]
	v_fmac_f64_e32 v[22:23], v[96:97], v[142:143]
	v_fmac_f64_e32 v[24:25], v[74:75], v[142:143]
	v_fmac_f64_e32 v[18:19], v[76:77], v[142:143]
	v_fma_f64 v[32:33], -v[88:89], v[144:145], v[32:33]
	v_fmac_f64_e32 v[10:11], v[86:87], v[144:145]
	v_fma_f64 v[84:85], -v[84:85], v[144:145], v[110:111]
	v_fmac_f64_e32 v[20:21], v[82:83], v[144:145]
	v_fma_f64 v[82:83], -v[96:97], v[144:145], v[166:167]
	v_fmac_f64_e32 v[22:23], v[94:95], v[144:145]
	v_fma_f64 v[24:25], -v[76:77], v[144:145], v[24:25]
	v_fmac_f64_e32 v[18:19], v[74:75], v[144:145]
	s_wait_loadcnt 0xd
	v_fmac_f64_e32 v[32:33], v[70:71], v[158:159]
	v_fmac_f64_e32 v[10:11], v[72:73], v[158:159]
	v_fmac_f64_e32 v[84:85], v[66:67], v[158:159]
	v_fmac_f64_e32 v[20:21], v[68:69], v[158:159]
	v_fmac_f64_e32 v[82:83], v[78:79], v[158:159]
	v_fmac_f64_e32 v[22:23], v[80:81], v[158:159]
	v_fmac_f64_e32 v[24:25], v[58:59], v[158:159]
	v_fmac_f64_e32 v[18:19], v[60:61], v[158:159]
	v_fma_f64 v[32:33], -v[72:73], v[160:161], v[32:33]
	v_fmac_f64_e32 v[10:11], v[70:71], v[160:161]
	v_fma_f64 v[68:69], -v[68:69], v[160:161], v[84:85]
	v_fmac_f64_e32 v[20:21], v[66:67], v[160:161]
	v_fma_f64 v[66:67], -v[80:81], v[160:161], v[82:83]
	v_fmac_f64_e32 v[22:23], v[78:79], v[160:161]
	v_fma_f64 v[24:25], -v[60:61], v[160:161], v[24:25]
	v_fmac_f64_e32 v[18:19], v[58:59], v[160:161]
	;; [unrolled: 17-line block ×6, first 2 shown]
	s_and_not1_b32 exec_lo, exec_lo, s7
	s_cbranch_execnz .LBB35_19
; %bb.20:
	s_or_b32 exec_lo, exec_lo, s7
.LBB35_21:
	s_delay_alu instid0(SALU_CYCLE_1)
	s_or_b32 exec_lo, exec_lo, s6
.LBB35_22:
	s_delay_alu instid0(SALU_CYCLE_1)
	s_or_b32 exec_lo, exec_lo, s3
	s_cbranch_execz .LBB35_24
	s_branch .LBB35_35
.LBB35_23:
                                        ; implicit-def: $vgpr10_vgpr11
                                        ; implicit-def: $vgpr32_vgpr33
                                        ; implicit-def: $vgpr24_vgpr25
                                        ; implicit-def: $vgpr18_vgpr19
                                        ; implicit-def: $vgpr28_vgpr29
                                        ; implicit-def: $vgpr22_vgpr23
                                        ; implicit-def: $vgpr30_vgpr31
                                        ; implicit-def: $vgpr20_vgpr21
.LBB35_24:
	v_mov_b64_e32 v[10:11], 0
	v_mov_b64_e32 v[32:33], 0
	;; [unrolled: 1-line block ×8, first 2 shown]
	s_and_saveexec_b32 s3, s2
	s_cbranch_execz .LBB35_34
; %bb.25:
	v_dual_mov_b32 v11, v1 :: v_dual_bitop2_b32 v10, 4, v0 bitop3:0x54
	v_sub_nc_u64_e32 v[18:19], s[12:13], v[0:1]
	v_not_b32_e32 v21, v35
	v_not_b32_e32 v20, v34
	v_mov_b64_e32 v[30:31], 0
	v_sub_nc_u64_e64 v[10:11], v[10:11], s[12:13]
	v_mov_b64_e32 v[22:23], 0
	v_mov_b64_e32 v[28:29], 0
	v_add_nc_u64_e32 v[18:19], v[18:19], v[20:21]
	v_mov_b64_e32 v[20:21], 0
	v_mov_b64_e32 v[24:25], 0
	;; [unrolled: 1-line block ×3, first 2 shown]
	v_add_nc_u64_e32 v[10:11], v[10:11], v[34:35]
	s_mov_b32 s2, exec_lo
	s_delay_alu instid0(VALU_DEP_1) | instskip(NEXT) | instid1(VALU_DEP_1)
	v_max_i64 v[10:11], v[10:11], v[14:15]
	v_add_nc_u64_e32 v[34:35], v[18:19], v[10:11]
	v_mov_b64_e32 v[18:19], 0
	v_mov_b64_e32 v[10:11], 0
	s_delay_alu instid0(VALU_DEP_3) | instskip(NEXT) | instid1(VALU_DEP_1)
	v_dual_mov_b32 v37, 0 :: v_dual_bitop2_b32 v36, 12, v34 bitop3:0x40
	v_cmpx_ne_u64_e32 12, v[36:37]
	s_cbranch_execz .LBB35_29
; %bb.26:
	v_lshrrev_b32_e32 v1, 2, v34
	v_mov_b64_e32 v[10:11], 0
	v_mov_b64_e32 v[32:33], 0
	;; [unrolled: 1-line block ×4, first 2 shown]
	v_add_nc_u32_e32 v1, 1, v1
	v_mov_b64_e32 v[28:29], 0
	v_mov_b64_e32 v[22:23], 0
	v_mov_b64_e32 v[30:31], 0
	v_mov_b64_e32 v[20:21], 0
	v_and_b32_e32 v36, 3, v1
	v_lshl_add_u64 v[38:39], v[12:13], 2, s[8:9]
	s_mov_b32 s6, 0
	s_delay_alu instid0(VALU_DEP_2)
	v_sub_nc_u64_e32 v[36:37], 0, v[36:37]
.LBB35_27:                              ; =>This Inner Loop Header: Depth=1
	global_load_b32 v1, v[38:39], off
	s_clause 0x3
	global_load_b128 v[40:43], v[16:17], off offset:48
	global_load_b128 v[44:47], v[16:17], off offset:32
	;; [unrolled: 1-line block ×3, first 2 shown]
	global_load_b128 v[52:55], v[16:17], off
	v_add_nc_u64_e32 v[36:37], 1, v[36:37]
	v_add_nc_u64_e32 v[12:13], 4, v[12:13]
	s_wait_xcnt 0x4
	v_add_nc_u64_e32 v[38:39], 16, v[38:39]
	s_delay_alu instid0(VALU_DEP_3) | instskip(SKIP_3) | instid1(VALU_DEP_1)
	v_cmp_eq_u64_e32 vcc_lo, 0, v[36:37]
	s_or_b32 s6, vcc_lo, s6
	s_wait_loadcnt 0x4
	v_subrev_nc_u32_e32 v1, s12, v1
	v_lshlrev_b32_e32 v1, 2, v1
	s_wait_kmcnt 0x0
	global_load_b128 v[56:59], v1, s[4:5] scale_offset
	s_clause 0x3
	global_load_b128 v[60:63], v[16:17], off offset:64
	global_load_b128 v[64:67], v[16:17], off offset:80
	;; [unrolled: 1-line block ×4, first 2 shown]
	global_load_b128 v[76:79], v1, s[4:5] offset:16 scale_offset
	s_clause 0x3
	global_load_b128 v[80:83], v[16:17], off offset:176
	global_load_b128 v[84:87], v[16:17], off offset:160
	;; [unrolled: 1-line block ×4, first 2 shown]
	s_clause 0x1
	global_load_b128 v[96:99], v1, s[4:5] offset:32 scale_offset
	global_load_b128 v[100:103], v1, s[4:5] offset:48 scale_offset
	s_clause 0x3
	global_load_b128 v[104:107], v[16:17], off offset:192
	global_load_b128 v[108:111], v[16:17], off offset:208
	global_load_b128 v[112:115], v[16:17], off offset:224
	; meta instruction
	global_load_b128 v[116:119], v[16:17], off offset:240
	s_wait_xcnt 0x0
	v_add_nc_u64_e32 v[16:17], 0x400, v[16:17]
	s_wait_loadcnt 0xf
	v_fmac_f64_e32 v[32:33], v[52:53], v[56:57]
	v_fmac_f64_e32 v[10:11], v[54:55], v[56:57]
	v_fmac_f64_e32 v[30:31], v[48:49], v[56:57]
	v_fmac_f64_e32 v[20:21], v[50:51], v[56:57]
	v_fmac_f64_e32 v[28:29], v[44:45], v[56:57]
	v_fmac_f64_e32 v[22:23], v[46:47], v[56:57]
	v_fmac_f64_e32 v[24:25], v[40:41], v[56:57]
	v_fmac_f64_e32 v[18:19], v[42:43], v[56:57]
	v_fma_f64 v[32:33], -v[54:55], v[58:59], v[32:33]
	v_fmac_f64_e32 v[10:11], v[52:53], v[58:59]
	v_fma_f64 v[30:31], -v[50:51], v[58:59], v[30:31]
	v_fmac_f64_e32 v[20:21], v[48:49], v[58:59]
	v_fma_f64 v[28:29], -v[46:47], v[58:59], v[28:29]
	v_fmac_f64_e32 v[22:23], v[44:45], v[58:59]
	v_fma_f64 v[24:25], -v[42:43], v[58:59], v[24:25]
	v_fmac_f64_e32 v[18:19], v[40:41], v[58:59]
	s_wait_loadcnt 0xa
	v_fmac_f64_e32 v[32:33], v[60:61], v[76:77]
	v_fmac_f64_e32 v[10:11], v[62:63], v[76:77]
	v_fmac_f64_e32 v[30:31], v[64:65], v[76:77]
	v_fmac_f64_e32 v[20:21], v[66:67], v[76:77]
	v_fmac_f64_e32 v[28:29], v[68:69], v[76:77]
	v_fmac_f64_e32 v[22:23], v[70:71], v[76:77]
	v_fmac_f64_e32 v[24:25], v[72:73], v[76:77]
	v_fmac_f64_e32 v[18:19], v[74:75], v[76:77]
	v_fma_f64 v[32:33], -v[62:63], v[78:79], v[32:33]
	v_fmac_f64_e32 v[10:11], v[60:61], v[78:79]
	v_fma_f64 v[30:31], -v[66:67], v[78:79], v[30:31]
	v_fmac_f64_e32 v[20:21], v[64:65], v[78:79]
	v_fma_f64 v[28:29], -v[70:71], v[78:79], v[28:29]
	v_fmac_f64_e32 v[22:23], v[68:69], v[78:79]
	v_fma_f64 v[24:25], -v[74:75], v[78:79], v[24:25]
	v_fmac_f64_e32 v[18:19], v[72:73], v[78:79]
	;; [unrolled: 17-line block ×3, first 2 shown]
	s_wait_loadcnt 0x3
	v_fmac_f64_e32 v[32:33], v[104:105], v[100:101]
	v_fmac_f64_e32 v[10:11], v[106:107], v[100:101]
	s_wait_loadcnt 0x2
	v_fmac_f64_e32 v[30:31], v[108:109], v[100:101]
	v_fmac_f64_e32 v[20:21], v[110:111], v[100:101]
	;; [unrolled: 3-line block ×4, first 2 shown]
	v_fma_f64 v[32:33], -v[106:107], v[102:103], v[32:33]
	v_fmac_f64_e32 v[10:11], v[104:105], v[102:103]
	v_fma_f64 v[30:31], -v[110:111], v[102:103], v[30:31]
	v_fmac_f64_e32 v[20:21], v[108:109], v[102:103]
	;; [unrolled: 2-line block ×4, first 2 shown]
	s_and_not1_b32 exec_lo, exec_lo, s6
	s_cbranch_execnz .LBB35_27
; %bb.28:
	s_or_b32 exec_lo, exec_lo, s6
.LBB35_29:
	s_delay_alu instid0(SALU_CYCLE_1) | instskip(NEXT) | instid1(SALU_CYCLE_1)
	s_or_b32 exec_lo, exec_lo, s2
	s_mov_b32 s2, exec_lo
	v_cmpx_lt_u64_e32 11, v[34:35]
	s_cbranch_execz .LBB35_33
; %bb.30:
	v_lshl_add_u64 v[34:35], v[12:13], 2, s[8:9]
	s_mov_b32 s6, 0
	s_delay_alu instid0(VALU_DEP_1)
	v_add_nc_u64_e32 v[34:35], 32, v[34:35]
.LBB35_31:                              ; =>This Inner Loop Header: Depth=1
	global_load_b32 v1, v[34:35], off offset:-32
	s_clause 0x11
	global_load_b128 v[36:39], v[16:17], off offset:48
	global_load_b128 v[40:43], v[16:17], off offset:32
	;; [unrolled: 1-line block ×3, first 2 shown]
	global_load_b128 v[48:51], v[16:17], off
	global_load_b128 v[52:55], v[16:17], off offset:112
	global_load_b128 v[56:59], v[16:17], off offset:96
	global_load_b128 v[60:63], v[16:17], off offset:80
	global_load_b128 v[64:67], v[16:17], off offset:64
	global_load_b128 v[68:71], v[16:17], off offset:176
	global_load_b128 v[72:75], v[16:17], off offset:160
	global_load_b128 v[76:79], v[16:17], off offset:144
	global_load_b128 v[80:83], v[16:17], off offset:128
	global_load_b128 v[84:87], v[16:17], off offset:240
	global_load_b128 v[88:91], v[16:17], off offset:224
	global_load_b128 v[92:95], v[16:17], off offset:208
	global_load_b128 v[96:99], v[16:17], off offset:192
	global_load_b128 v[100:103], v[16:17], off offset:1072
	global_load_b128 v[104:107], v[16:17], off offset:1056
	s_clause 0x2
	global_load_b32 v27, v[34:35], off offset:-16
	global_load_b32 v152, v[34:35], off
	global_load_b32 v153, v[34:35], off offset:16
	s_clause 0x7
	global_load_b128 v[108:111], v[16:17], off offset:1040
	global_load_b128 v[112:115], v[16:17], off offset:1024
	;; [unrolled: 1-line block ×8, first 2 shown]
	v_add_nc_u64_e32 v[12:13], 16, v[12:13]
	s_wait_xcnt 0x8
	v_add_nc_u64_e32 v[34:35], 64, v[34:35]
	s_delay_alu instid0(VALU_DEP_2) | instskip(SKIP_3) | instid1(VALU_DEP_1)
	v_cmp_ge_i64_e32 vcc_lo, v[12:13], v[14:15]
	s_or_b32 s6, vcc_lo, s6
	s_wait_loadcnt 0x1d
	v_subrev_nc_u32_e32 v1, s12, v1
	v_lshlrev_b32_e32 v1, 2, v1
	s_wait_kmcnt 0x0
	s_clause 0x1
	global_load_b128 v[140:143], v1, s[4:5] scale_offset
	global_load_b128 v[144:147], v1, s[4:5] offset:16 scale_offset
	s_wait_loadcnt 0x1
	v_fmac_f64_e32 v[32:33], v[48:49], v[140:141]
	v_fmac_f64_e32 v[10:11], v[50:51], v[140:141]
	v_fmac_f64_e32 v[30:31], v[44:45], v[140:141]
	v_fmac_f64_e32 v[20:21], v[46:47], v[140:141]
	v_fmac_f64_e32 v[28:29], v[40:41], v[140:141]
	v_fmac_f64_e32 v[22:23], v[42:43], v[140:141]
	v_fmac_f64_e32 v[24:25], v[36:37], v[140:141]
	v_fmac_f64_e32 v[18:19], v[38:39], v[140:141]
	v_fma_f64 v[148:149], -v[50:51], v[142:143], v[32:33]
	v_fmac_f64_e32 v[10:11], v[48:49], v[142:143]
	v_fma_f64 v[150:151], -v[46:47], v[142:143], v[30:31]
	v_fmac_f64_e32 v[20:21], v[44:45], v[142:143]
	v_fma_f64 v[28:29], -v[42:43], v[142:143], v[28:29]
	v_fmac_f64_e32 v[22:23], v[40:41], v[142:143]
	v_fma_f64 v[24:25], -v[38:39], v[142:143], v[24:25]
	v_fmac_f64_e32 v[18:19], v[36:37], v[142:143]
	s_clause 0x4
	global_load_b128 v[48:51], v[16:17], off offset:1168
	global_load_b128 v[30:33], v[16:17], off offset:1152
	;; [unrolled: 1-line block ×5, first 2 shown]
	s_wait_loadcnt 0x5
	v_fmac_f64_e32 v[148:149], v[64:65], v[144:145]
	v_fmac_f64_e32 v[10:11], v[66:67], v[144:145]
	;; [unrolled: 1-line block ×8, first 2 shown]
	v_fma_f64 v[148:149], -v[66:67], v[146:147], v[148:149]
	v_fmac_f64_e32 v[10:11], v[64:65], v[146:147]
	global_load_b128 v[64:67], v[16:17], off offset:1216
	v_fma_f64 v[150:151], -v[62:63], v[146:147], v[150:151]
	v_fmac_f64_e32 v[20:21], v[60:61], v[146:147]
	global_load_b128 v[60:63], v[16:17], off offset:2096
	;; [unrolled: 3-line block ×3, first 2 shown]
	v_fma_f64 v[24:25], -v[54:55], v[146:147], v[24:25]
	v_fmac_f64_e32 v[18:19], v[52:53], v[146:147]
	s_clause 0x1
	global_load_b128 v[52:55], v1, s[4:5] offset:32 scale_offset
	global_load_b128 v[140:143], v1, s[4:5] offset:48 scale_offset
	s_wait_xcnt 0x0
	v_subrev_nc_u32_e32 v1, s12, v27
	v_subrev_nc_u32_e32 v27, s12, v153
	s_delay_alu instid0(VALU_DEP_1)
	v_dual_lshlrev_b32 v1, 2, v1 :: v_dual_lshlrev_b32 v27, 2, v27
	s_wait_loadcnt 0x1
	v_fmac_f64_e32 v[148:149], v[80:81], v[52:53]
	v_fmac_f64_e32 v[10:11], v[82:83], v[52:53]
	;; [unrolled: 1-line block ×8, first 2 shown]
	v_fma_f64 v[144:145], -v[82:83], v[54:55], v[148:149]
	v_fmac_f64_e32 v[10:11], v[80:81], v[54:55]
	v_fma_f64 v[146:147], -v[78:79], v[54:55], v[150:151]
	v_fmac_f64_e32 v[20:21], v[76:77], v[54:55]
	;; [unrolled: 2-line block ×4, first 2 shown]
	s_clause 0x4
	global_load_b128 v[80:83], v[16:17], off offset:2064
	global_load_b128 v[76:79], v[16:17], off offset:2048
	global_load_b128 v[72:75], v[16:17], off offset:2160
	global_load_b128 v[52:55], v[16:17], off offset:2144
	global_load_b128 v[68:71], v[16:17], off offset:2128
	s_wait_loadcnt 0x5
	v_fmac_f64_e32 v[144:145], v[96:97], v[140:141]
	v_fmac_f64_e32 v[10:11], v[98:99], v[140:141]
	;; [unrolled: 1-line block ×8, first 2 shown]
	v_fma_f64 v[144:145], -v[98:99], v[142:143], v[144:145]
	v_fmac_f64_e32 v[10:11], v[96:97], v[142:143]
	global_load_b128 v[96:99], v[16:17], off offset:2112
	v_fma_f64 v[146:147], -v[94:95], v[142:143], v[146:147]
	v_fmac_f64_e32 v[20:21], v[92:93], v[142:143]
	global_load_b128 v[92:95], v[16:17], off offset:2224
	v_fma_f64 v[28:29], -v[90:91], v[142:143], v[28:29]
	v_fmac_f64_e32 v[22:23], v[88:89], v[142:143]
	global_load_b128 v[88:91], v[16:17], off offset:2208
	v_fma_f64 v[24:25], -v[86:87], v[142:143], v[24:25]
	v_fmac_f64_e32 v[18:19], v[84:85], v[142:143]
	s_clause 0x1
	global_load_b128 v[84:87], v1, s[4:5] scale_offset
	global_load_b128 v[140:143], v1, s[4:5] offset:16 scale_offset
	s_wait_loadcnt 0x1
	v_fmac_f64_e32 v[144:145], v[112:113], v[84:85]
	v_fmac_f64_e32 v[10:11], v[114:115], v[84:85]
	;; [unrolled: 1-line block ×8, first 2 shown]
	v_fma_f64 v[144:145], -v[114:115], v[86:87], v[144:145]
	v_fmac_f64_e32 v[10:11], v[112:113], v[86:87]
	v_fma_f64 v[146:147], -v[110:111], v[86:87], v[146:147]
	v_fmac_f64_e32 v[20:21], v[108:109], v[86:87]
	;; [unrolled: 2-line block ×4, first 2 shown]
	s_clause 0x4
	global_load_b128 v[112:115], v[16:17], off offset:2192
	global_load_b128 v[108:111], v[16:17], off offset:2176
	;; [unrolled: 1-line block ×5, first 2 shown]
	s_wait_loadcnt 0x5
	v_fmac_f64_e32 v[144:145], v[128:129], v[140:141]
	v_fmac_f64_e32 v[10:11], v[130:131], v[140:141]
	v_fmac_f64_e32 v[146:147], v[124:125], v[140:141]
	v_fmac_f64_e32 v[20:21], v[126:127], v[140:141]
	v_fmac_f64_e32 v[28:29], v[120:121], v[140:141]
	v_fmac_f64_e32 v[22:23], v[122:123], v[140:141]
	v_fmac_f64_e32 v[24:25], v[116:117], v[140:141]
	v_fmac_f64_e32 v[18:19], v[118:119], v[140:141]
	v_fma_f64 v[144:145], -v[130:131], v[142:143], v[144:145]
	v_fmac_f64_e32 v[10:11], v[128:129], v[142:143]
	global_load_b128 v[128:131], v[16:17], off offset:2240
	v_fma_f64 v[146:147], -v[126:127], v[142:143], v[146:147]
	v_fmac_f64_e32 v[20:21], v[124:125], v[142:143]
	global_load_b128 v[124:127], v[16:17], off offset:3120
	;; [unrolled: 3-line block ×3, first 2 shown]
	v_fma_f64 v[24:25], -v[118:119], v[142:143], v[24:25]
	v_fmac_f64_e32 v[18:19], v[116:117], v[142:143]
	s_clause 0x1
	global_load_b128 v[116:119], v1, s[4:5] offset:32 scale_offset
	global_load_b128 v[140:143], v1, s[4:5] offset:48 scale_offset
	s_wait_xcnt 0x0
	v_subrev_nc_u32_e32 v1, s12, v152
	s_delay_alu instid0(VALU_DEP_1)
	v_lshlrev_b32_e32 v1, 2, v1
	s_wait_loadcnt 0x1
	v_fmac_f64_e32 v[144:145], v[30:31], v[116:117]
	v_fmac_f64_e32 v[10:11], v[32:33], v[116:117]
	;; [unrolled: 1-line block ×8, first 2 shown]
	v_fma_f64 v[32:33], -v[32:33], v[118:119], v[144:145]
	v_fmac_f64_e32 v[10:11], v[30:31], v[118:119]
	global_load_b128 v[28:31], v[16:17], off offset:3088
	v_fma_f64 v[144:145], -v[50:51], v[118:119], v[146:147]
	v_fmac_f64_e32 v[20:21], v[48:49], v[118:119]
	global_load_b128 v[48:51], v[16:17], off offset:3072
	;; [unrolled: 3-line block ×3, first 2 shown]
	v_fma_f64 v[24:25], -v[134:135], v[118:119], v[24:25]
	v_fmac_f64_e32 v[18:19], v[132:133], v[118:119]
	s_clause 0x1
	global_load_b128 v[116:119], v[16:17], off offset:3168
	global_load_b128 v[132:135], v[16:17], off offset:3152
	s_wait_loadcnt 0x5
	v_fmac_f64_e32 v[32:33], v[64:65], v[140:141]
	v_fmac_f64_e32 v[10:11], v[66:67], v[140:141]
	;; [unrolled: 1-line block ×8, first 2 shown]
	v_fma_f64 v[32:33], -v[66:67], v[142:143], v[32:33]
	v_fmac_f64_e32 v[10:11], v[64:65], v[142:143]
	global_load_b128 v[64:67], v1, s[4:5] scale_offset
	v_fma_f64 v[144:145], -v[46:47], v[142:143], v[144:145]
	v_fmac_f64_e32 v[20:21], v[44:45], v[142:143]
	global_load_b128 v[44:47], v1, s[4:5] offset:16 scale_offset
	v_fma_f64 v[146:147], -v[38:39], v[142:143], v[146:147]
	v_fmac_f64_e32 v[22:23], v[36:37], v[142:143]
	global_load_b128 v[36:39], v1, s[4:5] offset:32 scale_offset
	;; [unrolled: 3-line block ×3, first 2 shown]
	global_load_b128 v[40:43], v[16:17], off offset:3136
	s_wait_loadcnt 0x4
	v_fmac_f64_e32 v[32:33], v[76:77], v[64:65]
	v_fmac_f64_e32 v[10:11], v[78:79], v[64:65]
	;; [unrolled: 1-line block ×8, first 2 shown]
	v_fma_f64 v[32:33], -v[78:79], v[66:67], v[32:33]
	v_fmac_f64_e32 v[10:11], v[76:77], v[66:67]
	global_load_b128 v[76:79], v27, s[4:5] offset:16 scale_offset
	v_fma_f64 v[144:145], -v[82:83], v[66:67], v[144:145]
	v_fmac_f64_e32 v[20:21], v[80:81], v[66:67]
	global_load_b128 v[80:83], v27, s[4:5] scale_offset
	v_fma_f64 v[148:149], -v[58:59], v[66:67], v[146:147]
	v_fmac_f64_e32 v[22:23], v[56:57], v[66:67]
	v_fma_f64 v[24:25], -v[62:63], v[66:67], v[24:25]
	v_fmac_f64_e32 v[18:19], v[60:61], v[66:67]
	s_clause 0x2
	global_load_b128 v[56:59], v[16:17], off offset:3248
	global_load_b128 v[60:63], v[16:17], off offset:3232
	;; [unrolled: 1-line block ×3, first 2 shown]
	s_wait_loadcnt 0x8
	v_fmac_f64_e32 v[32:33], v[96:97], v[44:45]
	v_fmac_f64_e32 v[10:11], v[98:99], v[44:45]
	;; [unrolled: 1-line block ×8, first 2 shown]
	v_fma_f64 v[32:33], -v[98:99], v[46:47], v[32:33]
	v_fmac_f64_e32 v[10:11], v[96:97], v[46:47]
	global_load_b128 v[96:99], v[16:17], off offset:3200
	v_fma_f64 v[150:151], -v[70:71], v[46:47], v[144:145]
	v_fmac_f64_e32 v[20:21], v[68:69], v[46:47]
	s_clause 0x1
	global_load_b128 v[68:71], v27, s[4:5] offset:48 scale_offset
	global_load_b128 v[144:147], v27, s[4:5] offset:32 scale_offset
	v_fma_f64 v[148:149], -v[54:55], v[46:47], v[148:149]
	v_fmac_f64_e32 v[22:23], v[52:53], v[46:47]
	v_fma_f64 v[24:25], -v[74:75], v[46:47], v[24:25]
	v_fmac_f64_e32 v[18:19], v[72:73], v[46:47]
	s_clause 0x2
	global_load_b128 v[52:55], v[16:17], off offset:3296
	global_load_b128 v[44:47], v[16:17], off offset:3280
	;; [unrolled: 1-line block ×3, first 2 shown]
	s_wait_loadcnt 0xd
	v_fmac_f64_e32 v[32:33], v[108:109], v[36:37]
	v_fmac_f64_e32 v[10:11], v[110:111], v[36:37]
	;; [unrolled: 1-line block ×8, first 2 shown]
	v_fma_f64 v[32:33], -v[110:111], v[38:39], v[32:33]
	v_fmac_f64_e32 v[10:11], v[108:109], v[38:39]
	global_load_b128 v[108:111], v[16:17], off offset:3312
	v_fma_f64 v[36:37], -v[114:115], v[38:39], v[150:151]
	v_fmac_f64_e32 v[20:21], v[112:113], v[38:39]
	s_wait_xcnt 0x0
	v_add_nc_u64_e32 v[16:17], 0x1000, v[16:17]
	v_fma_f64 v[90:91], -v[90:91], v[38:39], v[148:149]
	v_fmac_f64_e32 v[22:23], v[88:89], v[38:39]
	v_fma_f64 v[24:25], -v[94:95], v[38:39], v[24:25]
	v_fmac_f64_e32 v[18:19], v[92:93], v[38:39]
	s_wait_loadcnt 0xd
	v_fmac_f64_e32 v[32:33], v[128:129], v[140:141]
	v_fmac_f64_e32 v[10:11], v[130:131], v[140:141]
	v_fmac_f64_e32 v[36:37], v[100:101], v[140:141]
	v_fmac_f64_e32 v[20:21], v[102:103], v[140:141]
	v_fmac_f64_e32 v[90:91], v[84:85], v[140:141]
	v_fmac_f64_e32 v[22:23], v[86:87], v[140:141]
	v_fmac_f64_e32 v[24:25], v[104:105], v[140:141]
	v_fmac_f64_e32 v[18:19], v[106:107], v[140:141]
	v_fma_f64 v[32:33], -v[130:131], v[142:143], v[32:33]
	v_fmac_f64_e32 v[10:11], v[128:129], v[142:143]
	v_fma_f64 v[36:37], -v[102:103], v[142:143], v[36:37]
	v_fmac_f64_e32 v[20:21], v[100:101], v[142:143]
	;; [unrolled: 2-line block ×4, first 2 shown]
	s_wait_loadcnt 0xa
	v_fmac_f64_e32 v[32:33], v[48:49], v[80:81]
	v_fmac_f64_e32 v[10:11], v[50:51], v[80:81]
	;; [unrolled: 1-line block ×8, first 2 shown]
	v_fma_f64 v[32:33], -v[50:51], v[82:83], v[32:33]
	v_fmac_f64_e32 v[10:11], v[48:49], v[82:83]
	v_fma_f64 v[30:31], -v[30:31], v[82:83], v[36:37]
	v_fmac_f64_e32 v[20:21], v[28:29], v[82:83]
	;; [unrolled: 2-line block ×4, first 2 shown]
	v_fmac_f64_e32 v[32:33], v[40:41], v[76:77]
	v_fmac_f64_e32 v[10:11], v[42:43], v[76:77]
	;; [unrolled: 1-line block ×8, first 2 shown]
	v_fma_f64 v[32:33], -v[42:43], v[78:79], v[32:33]
	v_fmac_f64_e32 v[10:11], v[40:41], v[78:79]
	v_fma_f64 v[30:31], -v[134:135], v[78:79], v[30:31]
	v_fmac_f64_e32 v[20:21], v[132:133], v[78:79]
	;; [unrolled: 2-line block ×4, first 2 shown]
	s_wait_loadcnt 0x4
	v_fmac_f64_e32 v[32:33], v[96:97], v[144:145]
	v_fmac_f64_e32 v[10:11], v[98:99], v[144:145]
	;; [unrolled: 1-line block ×8, first 2 shown]
	v_fma_f64 v[32:33], -v[98:99], v[146:147], v[32:33]
	v_fmac_f64_e32 v[10:11], v[96:97], v[146:147]
	v_fma_f64 v[30:31], -v[66:67], v[146:147], v[30:31]
	v_fmac_f64_e32 v[20:21], v[64:65], v[146:147]
	;; [unrolled: 2-line block ×4, first 2 shown]
	s_wait_loadcnt 0x1
	v_fmac_f64_e32 v[32:33], v[72:73], v[68:69]
	v_fmac_f64_e32 v[10:11], v[74:75], v[68:69]
	;; [unrolled: 1-line block ×6, first 2 shown]
	s_wait_loadcnt 0x0
	v_fmac_f64_e32 v[24:25], v[108:109], v[68:69]
	v_fmac_f64_e32 v[18:19], v[110:111], v[68:69]
	v_fma_f64 v[32:33], -v[74:75], v[70:71], v[32:33]
	v_fmac_f64_e32 v[10:11], v[72:73], v[70:71]
	v_fma_f64 v[30:31], -v[46:47], v[70:71], v[30:31]
	;; [unrolled: 2-line block ×4, first 2 shown]
	v_fmac_f64_e32 v[18:19], v[108:109], v[70:71]
	s_and_not1_b32 exec_lo, exec_lo, s6
	s_cbranch_execnz .LBB35_31
; %bb.32:
	s_or_b32 exec_lo, exec_lo, s6
.LBB35_33:
	s_delay_alu instid0(SALU_CYCLE_1)
	s_or_b32 exec_lo, exec_lo, s2
.LBB35_34:
	s_delay_alu instid0(SALU_CYCLE_1)
	s_or_b32 exec_lo, exec_lo, s3
.LBB35_35:
	v_mbcnt_lo_u32_b32 v1, -1, 0
	s_delay_alu instid0(VALU_DEP_1) | instskip(NEXT) | instid1(VALU_DEP_1)
	v_xor_b32_e32 v12, 2, v1
	v_cmp_gt_i32_e32 vcc_lo, 32, v12
	v_cndmask_b32_e32 v12, v1, v12, vcc_lo
	s_delay_alu instid0(VALU_DEP_1)
	v_lshlrev_b32_e32 v27, 2, v12
	ds_bpermute_b32 v12, v27, v32
	ds_bpermute_b32 v13, v27, v33
	;; [unrolled: 1-line block ×8, first 2 shown]
	s_wait_dscnt 0x6
	v_add_f64_e32 v[12:13], v[32:33], v[12:13]
	s_wait_dscnt 0x4
	v_add_f64_e32 v[32:33], v[10:11], v[14:15]
	;; [unrolled: 2-line block ×4, first 2 shown]
	ds_bpermute_b32 v36, v27, v28
	ds_bpermute_b32 v37, v27, v29
	;; [unrolled: 1-line block ×8, first 2 shown]
	s_wait_dscnt 0x6
	v_add_f64_e32 v[14:15], v[28:29], v[36:37]
	s_wait_dscnt 0x4
	v_dual_add_f64 v[20:21], v[22:23], v[38:39] :: v_dual_bitop2_b32 v22, 1, v1 bitop3:0x14
	s_wait_dscnt 0x2
	v_add_f64_e32 v[16:17], v[24:25], v[40:41]
	s_wait_dscnt 0x0
	v_add_f64_e32 v[18:19], v[18:19], v[42:43]
	v_cmp_gt_i32_e32 vcc_lo, 32, v22
	v_cndmask_b32_e32 v1, v1, v22, vcc_lo
	v_cmp_eq_u32_e32 vcc_lo, 3, v0
	s_delay_alu instid0(VALU_DEP_2)
	v_lshlrev_b32_e32 v1, 2, v1
	ds_bpermute_b32 v22, v1, v12
	ds_bpermute_b32 v23, v1, v13
	;; [unrolled: 1-line block ×16, first 2 shown]
	s_and_b32 exec_lo, exec_lo, vcc_lo
	s_cbranch_execz .LBB35_8
; %bb.36:
	s_wait_dscnt 0xc
	v_add_f64_e32 v[0:1], v[32:33], v[42:43]
	s_wait_dscnt 0x8
	v_add_f64_e32 v[30:31], v[30:31], v[40:41]
	;; [unrolled: 2-line block ×4, first 2 shown]
	v_add_f64_e32 v[38:39], v[12:13], v[22:23]
	v_add_f64_e32 v[40:41], v[10:11], v[24:25]
	;; [unrolled: 1-line block ×4, first 2 shown]
	v_cmp_eq_f64_e32 vcc_lo, 0, v[2:3]
	v_cmp_eq_f64_e64 s2, 0, v[4:5]
	s_load_b64 s[0:1], s[0:1], 0x60
	v_mul_f64_e64 v[22:23], v[0:1], -v[8:9]
	v_mul_f64_e32 v[24:25], v[6:7], v[0:1]
	v_mul_f64_e64 v[14:15], v[32:33], -v[8:9]
	v_mul_f64_e32 v[16:17], v[6:7], v[32:33]
	v_mul_f64_e64 v[10:11], v[36:37], -v[8:9]
	v_dual_mul_f64 v[12:13], v[6:7], v[36:37] :: v_dual_lshlrev_b32 v0, 2, v26
	v_mul_f64_e64 v[18:19], v[30:31], -v[8:9]
	v_mul_f64_e32 v[20:21], v[6:7], v[30:31]
	s_and_b32 s2, vcc_lo, s2
	v_fmac_f64_e32 v[22:23], v[6:7], v[38:39]
	v_fmac_f64_e32 v[24:25], v[8:9], v[38:39]
	;; [unrolled: 1-line block ×8, first 2 shown]
	s_and_saveexec_b32 s3, s2
	s_delay_alu instid0(SALU_CYCLE_1)
	s_xor_b32 s2, exec_lo, s3
	s_cbranch_execz .LBB35_38
; %bb.37:
	s_wait_kmcnt 0x0
	s_clause 0x3
	global_store_b128 v0, v[22:25], s[0:1] scale_offset
	global_store_b128 v0, v[18:21], s[0:1] offset:16 scale_offset
	global_store_b128 v0, v[14:17], s[0:1] offset:32 scale_offset
	;; [unrolled: 1-line block ×3, first 2 shown]
                                        ; implicit-def: $vgpr4_vgpr5
                                        ; implicit-def: $vgpr22_vgpr23
                                        ; implicit-def: $vgpr0
                                        ; implicit-def: $vgpr18_vgpr19
                                        ; implicit-def: $vgpr14_vgpr15
                                        ; implicit-def: $vgpr10_vgpr11
.LBB35_38:
	s_wait_xcnt 0x0
	s_and_not1_saveexec_b32 s2, s2
	s_cbranch_execz .LBB35_8
; %bb.39:
	s_wait_kmcnt 0x0
	s_clause 0x3
	global_load_b128 v[6:9], v0, s[0:1] scale_offset
	global_load_b128 v[26:29], v0, s[0:1] offset:16 scale_offset
	global_load_b128 v[30:33], v0, s[0:1] offset:32 scale_offset
	;; [unrolled: 1-line block ×3, first 2 shown]
	s_wait_loadcnt 0x3
	v_fmac_f64_e32 v[22:23], v[2:3], v[6:7]
	v_fmac_f64_e32 v[24:25], v[4:5], v[6:7]
	s_wait_loadcnt 0x2
	v_fmac_f64_e32 v[18:19], v[2:3], v[26:27]
	v_fmac_f64_e32 v[20:21], v[4:5], v[26:27]
	s_wait_loadcnt 0x1
	v_fmac_f64_e32 v[14:15], v[2:3], v[30:31]
	v_fmac_f64_e32 v[16:17], v[4:5], v[30:31]
	s_wait_loadcnt 0x0
	v_fmac_f64_e32 v[10:11], v[2:3], v[34:35]
	v_fmac_f64_e32 v[12:13], v[4:5], v[34:35]
	v_fma_f64 v[22:23], -v[4:5], v[8:9], v[22:23]
	v_fmac_f64_e32 v[24:25], v[2:3], v[8:9]
	v_fma_f64 v[18:19], -v[4:5], v[28:29], v[18:19]
	v_fmac_f64_e32 v[20:21], v[2:3], v[28:29]
	;; [unrolled: 2-line block ×4, first 2 shown]
	s_clause 0x3
	global_store_b128 v0, v[22:25], s[0:1] scale_offset
	global_store_b128 v0, v[18:21], s[0:1] offset:16 scale_offset
	global_store_b128 v0, v[14:17], s[0:1] offset:32 scale_offset
	;; [unrolled: 1-line block ×3, first 2 shown]
	s_sendmsg sendmsg(MSG_DEALLOC_VGPRS)
	s_endpgm
	.section	.rodata,"a",@progbits
	.p2align	6, 0x0
	.amdhsa_kernel _ZN9rocsparseL18bsrxmvn_4x4_kernelILj128ELj4E21rocsparse_complex_numIdEliS2_S2_S2_EEvT3_20rocsparse_direction_NS_24const_host_device_scalarIT1_EES3_PKS3_PKT2_SC_S9_PKT4_PKT5_S7_PT6_21rocsparse_index_base_b
		.amdhsa_group_segment_fixed_size 0
		.amdhsa_private_segment_fixed_size 0
		.amdhsa_kernarg_size 112
		.amdhsa_user_sgpr_count 2
		.amdhsa_user_sgpr_dispatch_ptr 0
		.amdhsa_user_sgpr_queue_ptr 0
		.amdhsa_user_sgpr_kernarg_segment_ptr 1
		.amdhsa_user_sgpr_dispatch_id 0
		.amdhsa_user_sgpr_kernarg_preload_length 0
		.amdhsa_user_sgpr_kernarg_preload_offset 0
		.amdhsa_user_sgpr_private_segment_size 0
		.amdhsa_wavefront_size32 1
		.amdhsa_uses_dynamic_stack 0
		.amdhsa_enable_private_segment 0
		.amdhsa_system_sgpr_workgroup_id_x 1
		.amdhsa_system_sgpr_workgroup_id_y 0
		.amdhsa_system_sgpr_workgroup_id_z 0
		.amdhsa_system_sgpr_workgroup_info 0
		.amdhsa_system_vgpr_workitem_id 0
		.amdhsa_next_free_vgpr 177
		.amdhsa_next_free_sgpr 14
		.amdhsa_named_barrier_count 0
		.amdhsa_reserve_vcc 1
		.amdhsa_float_round_mode_32 0
		.amdhsa_float_round_mode_16_64 0
		.amdhsa_float_denorm_mode_32 3
		.amdhsa_float_denorm_mode_16_64 3
		.amdhsa_fp16_overflow 0
		.amdhsa_memory_ordered 1
		.amdhsa_forward_progress 1
		.amdhsa_inst_pref_size 66
		.amdhsa_round_robin_scheduling 0
		.amdhsa_exception_fp_ieee_invalid_op 0
		.amdhsa_exception_fp_denorm_src 0
		.amdhsa_exception_fp_ieee_div_zero 0
		.amdhsa_exception_fp_ieee_overflow 0
		.amdhsa_exception_fp_ieee_underflow 0
		.amdhsa_exception_fp_ieee_inexact 0
		.amdhsa_exception_int_div_zero 0
	.end_amdhsa_kernel
	.section	.text._ZN9rocsparseL18bsrxmvn_4x4_kernelILj128ELj4E21rocsparse_complex_numIdEliS2_S2_S2_EEvT3_20rocsparse_direction_NS_24const_host_device_scalarIT1_EES3_PKS3_PKT2_SC_S9_PKT4_PKT5_S7_PT6_21rocsparse_index_base_b,"axG",@progbits,_ZN9rocsparseL18bsrxmvn_4x4_kernelILj128ELj4E21rocsparse_complex_numIdEliS2_S2_S2_EEvT3_20rocsparse_direction_NS_24const_host_device_scalarIT1_EES3_PKS3_PKT2_SC_S9_PKT4_PKT5_S7_PT6_21rocsparse_index_base_b,comdat
.Lfunc_end35:
	.size	_ZN9rocsparseL18bsrxmvn_4x4_kernelILj128ELj4E21rocsparse_complex_numIdEliS2_S2_S2_EEvT3_20rocsparse_direction_NS_24const_host_device_scalarIT1_EES3_PKS3_PKT2_SC_S9_PKT4_PKT5_S7_PT6_21rocsparse_index_base_b, .Lfunc_end35-_ZN9rocsparseL18bsrxmvn_4x4_kernelILj128ELj4E21rocsparse_complex_numIdEliS2_S2_S2_EEvT3_20rocsparse_direction_NS_24const_host_device_scalarIT1_EES3_PKS3_PKT2_SC_S9_PKT4_PKT5_S7_PT6_21rocsparse_index_base_b
                                        ; -- End function
	.set _ZN9rocsparseL18bsrxmvn_4x4_kernelILj128ELj4E21rocsparse_complex_numIdEliS2_S2_S2_EEvT3_20rocsparse_direction_NS_24const_host_device_scalarIT1_EES3_PKS3_PKT2_SC_S9_PKT4_PKT5_S7_PT6_21rocsparse_index_base_b.num_vgpr, 177
	.set _ZN9rocsparseL18bsrxmvn_4x4_kernelILj128ELj4E21rocsparse_complex_numIdEliS2_S2_S2_EEvT3_20rocsparse_direction_NS_24const_host_device_scalarIT1_EES3_PKS3_PKT2_SC_S9_PKT4_PKT5_S7_PT6_21rocsparse_index_base_b.num_agpr, 0
	.set _ZN9rocsparseL18bsrxmvn_4x4_kernelILj128ELj4E21rocsparse_complex_numIdEliS2_S2_S2_EEvT3_20rocsparse_direction_NS_24const_host_device_scalarIT1_EES3_PKS3_PKT2_SC_S9_PKT4_PKT5_S7_PT6_21rocsparse_index_base_b.numbered_sgpr, 14
	.set _ZN9rocsparseL18bsrxmvn_4x4_kernelILj128ELj4E21rocsparse_complex_numIdEliS2_S2_S2_EEvT3_20rocsparse_direction_NS_24const_host_device_scalarIT1_EES3_PKS3_PKT2_SC_S9_PKT4_PKT5_S7_PT6_21rocsparse_index_base_b.num_named_barrier, 0
	.set _ZN9rocsparseL18bsrxmvn_4x4_kernelILj128ELj4E21rocsparse_complex_numIdEliS2_S2_S2_EEvT3_20rocsparse_direction_NS_24const_host_device_scalarIT1_EES3_PKS3_PKT2_SC_S9_PKT4_PKT5_S7_PT6_21rocsparse_index_base_b.private_seg_size, 0
	.set _ZN9rocsparseL18bsrxmvn_4x4_kernelILj128ELj4E21rocsparse_complex_numIdEliS2_S2_S2_EEvT3_20rocsparse_direction_NS_24const_host_device_scalarIT1_EES3_PKS3_PKT2_SC_S9_PKT4_PKT5_S7_PT6_21rocsparse_index_base_b.uses_vcc, 1
	.set _ZN9rocsparseL18bsrxmvn_4x4_kernelILj128ELj4E21rocsparse_complex_numIdEliS2_S2_S2_EEvT3_20rocsparse_direction_NS_24const_host_device_scalarIT1_EES3_PKS3_PKT2_SC_S9_PKT4_PKT5_S7_PT6_21rocsparse_index_base_b.uses_flat_scratch, 0
	.set _ZN9rocsparseL18bsrxmvn_4x4_kernelILj128ELj4E21rocsparse_complex_numIdEliS2_S2_S2_EEvT3_20rocsparse_direction_NS_24const_host_device_scalarIT1_EES3_PKS3_PKT2_SC_S9_PKT4_PKT5_S7_PT6_21rocsparse_index_base_b.has_dyn_sized_stack, 0
	.set _ZN9rocsparseL18bsrxmvn_4x4_kernelILj128ELj4E21rocsparse_complex_numIdEliS2_S2_S2_EEvT3_20rocsparse_direction_NS_24const_host_device_scalarIT1_EES3_PKS3_PKT2_SC_S9_PKT4_PKT5_S7_PT6_21rocsparse_index_base_b.has_recursion, 0
	.set _ZN9rocsparseL18bsrxmvn_4x4_kernelILj128ELj4E21rocsparse_complex_numIdEliS2_S2_S2_EEvT3_20rocsparse_direction_NS_24const_host_device_scalarIT1_EES3_PKS3_PKT2_SC_S9_PKT4_PKT5_S7_PT6_21rocsparse_index_base_b.has_indirect_call, 0
	.section	.AMDGPU.csdata,"",@progbits
; Kernel info:
; codeLenInByte = 8356
; TotalNumSgprs: 16
; NumVgprs: 177
; ScratchSize: 0
; MemoryBound: 1
; FloatMode: 240
; IeeeMode: 1
; LDSByteSize: 0 bytes/workgroup (compile time only)
; SGPRBlocks: 0
; VGPRBlocks: 11
; NumSGPRsForWavesPerEU: 16
; NumVGPRsForWavesPerEU: 177
; NamedBarCnt: 0
; Occupancy: 5
; WaveLimiterHint : 1
; COMPUTE_PGM_RSRC2:SCRATCH_EN: 0
; COMPUTE_PGM_RSRC2:USER_SGPR: 2
; COMPUTE_PGM_RSRC2:TRAP_HANDLER: 0
; COMPUTE_PGM_RSRC2:TGID_X_EN: 1
; COMPUTE_PGM_RSRC2:TGID_Y_EN: 0
; COMPUTE_PGM_RSRC2:TGID_Z_EN: 0
; COMPUTE_PGM_RSRC2:TIDIG_COMP_CNT: 0
	.section	.text._ZN9rocsparseL18bsrxmvn_4x4_kernelILj128ELj8E21rocsparse_complex_numIdEliS2_S2_S2_EEvT3_20rocsparse_direction_NS_24const_host_device_scalarIT1_EES3_PKS3_PKT2_SC_S9_PKT4_PKT5_S7_PT6_21rocsparse_index_base_b,"axG",@progbits,_ZN9rocsparseL18bsrxmvn_4x4_kernelILj128ELj8E21rocsparse_complex_numIdEliS2_S2_S2_EEvT3_20rocsparse_direction_NS_24const_host_device_scalarIT1_EES3_PKS3_PKT2_SC_S9_PKT4_PKT5_S7_PT6_21rocsparse_index_base_b,comdat
	.globl	_ZN9rocsparseL18bsrxmvn_4x4_kernelILj128ELj8E21rocsparse_complex_numIdEliS2_S2_S2_EEvT3_20rocsparse_direction_NS_24const_host_device_scalarIT1_EES3_PKS3_PKT2_SC_S9_PKT4_PKT5_S7_PT6_21rocsparse_index_base_b ; -- Begin function _ZN9rocsparseL18bsrxmvn_4x4_kernelILj128ELj8E21rocsparse_complex_numIdEliS2_S2_S2_EEvT3_20rocsparse_direction_NS_24const_host_device_scalarIT1_EES3_PKS3_PKT2_SC_S9_PKT4_PKT5_S7_PT6_21rocsparse_index_base_b
	.p2align	8
	.type	_ZN9rocsparseL18bsrxmvn_4x4_kernelILj128ELj8E21rocsparse_complex_numIdEliS2_S2_S2_EEvT3_20rocsparse_direction_NS_24const_host_device_scalarIT1_EES3_PKS3_PKT2_SC_S9_PKT4_PKT5_S7_PT6_21rocsparse_index_base_b,@function
_ZN9rocsparseL18bsrxmvn_4x4_kernelILj128ELj8E21rocsparse_complex_numIdEliS2_S2_S2_EEvT3_20rocsparse_direction_NS_24const_host_device_scalarIT1_EES3_PKS3_PKT2_SC_S9_PKT4_PKT5_S7_PT6_21rocsparse_index_base_b: ; @_ZN9rocsparseL18bsrxmvn_4x4_kernelILj128ELj8E21rocsparse_complex_numIdEliS2_S2_S2_EEvT3_20rocsparse_direction_NS_24const_host_device_scalarIT1_EES3_PKS3_PKT2_SC_S9_PKT4_PKT5_S7_PT6_21rocsparse_index_base_b
; %bb.0:
	s_clause 0x1
	s_load_b64 s[12:13], s[0:1], 0x68
	s_load_b64 s[2:3], s[0:1], 0x8
	v_mov_b32_e32 v1, 0
	s_add_nc_u64 s[4:5], s[0:1], 8
	s_load_b64 s[6:7], s[0:1], 0x50
	s_wait_kmcnt 0x0
	s_bitcmp1_b32 s13, 0
	s_cselect_b32 s3, s5, s3
	s_cselect_b32 s2, s4, s2
	flat_load_b128 v[6:9], v1, s[2:3]
	s_wait_xcnt 0x0
	s_add_nc_u64 s[2:3], s[0:1], 0x50
	s_delay_alu instid0(SALU_CYCLE_1)
	s_cselect_b32 s3, s3, s7
	s_cselect_b32 s2, s2, s6
	flat_load_b128 v[2:5], v1, s[2:3]
	s_wait_loadcnt_dscnt 0x101
	v_cmp_eq_f64_e32 vcc_lo, 0, v[6:7]
	s_wait_xcnt 0x0
	v_cmp_eq_f64_e64 s2, 0, v[8:9]
	s_and_b32 s4, vcc_lo, s2
	s_mov_b32 s2, -1
	s_and_saveexec_b32 s3, s4
	s_cbranch_execz .LBB36_2
; %bb.1:
	s_wait_loadcnt_dscnt 0x0
	v_cmp_neq_f64_e32 vcc_lo, 1.0, v[2:3]
	v_cmp_neq_f64_e64 s2, 0, v[4:5]
	s_or_b32 s2, vcc_lo, s2
	s_delay_alu instid0(SALU_CYCLE_1)
	s_or_not1_b32 s2, s2, exec_lo
.LBB36_2:
	s_or_b32 exec_lo, exec_lo, s3
	s_and_saveexec_b32 s3, s2
	s_cbranch_execz .LBB36_8
; %bb.3:
	s_clause 0x1
	s_load_b64 s[4:5], s[0:1], 0x20
	s_load_b64 s[2:3], s[0:1], 0x0
	s_bfe_u32 s6, ttmp6, 0x4000c
	s_and_b32 s7, ttmp6, 15
	s_add_co_i32 s6, s6, 1
	s_getreg_b32 s8, hwreg(HW_REG_IB_STS2, 6, 4)
	s_mul_i32 s6, ttmp9, s6
	v_lshrrev_b32_e32 v1, 3, v0
	s_add_co_i32 s7, s7, s6
	s_cmp_eq_u32 s8, 0
	s_cselect_b32 s6, ttmp9, s7
	s_delay_alu instid0(VALU_DEP_1) | instid1(SALU_CYCLE_1)
	v_lshl_or_b32 v26, s6, 4, v1
	s_mov_b32 s6, 0
	s_wait_kmcnt 0x0
	s_cmp_lg_u64 s[4:5], 0
	s_cbranch_scc0 .LBB36_9
; %bb.4:
	s_load_b32 s6, s[0:1], 0x18
	s_mov_b32 s7, 0
                                        ; implicit-def: $vgpr1
	s_wait_kmcnt 0x0
	v_cmp_gt_i32_e32 vcc_lo, s6, v26
	s_mov_b32 s6, 0
	s_and_saveexec_b32 s8, vcc_lo
	s_delay_alu instid0(SALU_CYCLE_1)
	s_xor_b32 s8, exec_lo, s8
	s_cbranch_execz .LBB36_6
; %bb.5:
	global_load_b32 v1, v26, s[4:5] scale_offset
	s_mov_b32 s6, exec_lo
	s_wait_loadcnt 0x0
	v_subrev_nc_u32_e32 v1, s12, v1
.LBB36_6:
	s_or_b32 exec_lo, exec_lo, s8
	s_delay_alu instid0(SALU_CYCLE_1)
	s_and_b32 vcc_lo, exec_lo, s7
	s_cbranch_vccz .LBB36_10
.LBB36_7:
	v_cmp_gt_i32_e32 vcc_lo, s2, v26
	s_and_not1_b32 s2, s6, exec_lo
	s_and_b32 s4, vcc_lo, exec_lo
	s_delay_alu instid0(SALU_CYCLE_1) | instskip(NEXT) | instid1(SALU_CYCLE_1)
	s_or_b32 s6, s2, s4
	s_and_b32 exec_lo, exec_lo, s6
	s_cbranch_execnz .LBB36_11
.LBB36_8:
	s_sendmsg sendmsg(MSG_DEALLOC_VGPRS)
	s_endpgm
.LBB36_9:
                                        ; implicit-def: $vgpr1
	s_cbranch_execnz .LBB36_7
.LBB36_10:
	s_delay_alu instid0(VALU_DEP_1)
	v_mov_b32_e32 v26, v1
	s_and_b32 exec_lo, exec_lo, s6
	s_cbranch_execz .LBB36_8
.LBB36_11:
	s_load_b256 s[4:11], s[0:1], 0x28
	s_mov_b32 s13, 0
	v_dual_mov_b32 v1, 0 :: v_dual_bitop2_b32 v0, 7, v0 bitop3:0x40
	s_wait_kmcnt 0x0
	s_cmp_eq_u64 s[6:7], 0
	global_load_b64 v[34:35], v26, s[4:5] scale_offset
	s_cselect_b32 vcc_lo, -1, 0
	v_ashrrev_i32_e32 v27, 31, v26
	s_cmp_eq_u32 s3, 1
	s_delay_alu instid0(VALU_DEP_1) | instskip(NEXT) | instid1(VALU_DEP_1)
	v_lshlrev_b64_e32 v[10:11], 3, v[26:27]
	v_add_nc_u64_e32 v[12:13], s[4:5], v[10:11]
	v_add_nc_u64_e32 v[10:11], s[6:7], v[10:11]
	s_wait_xcnt 0x0
	s_load_b64 s[4:5], s[0:1], 0x48
	s_delay_alu instid0(VALU_DEP_2) | instskip(NEXT) | instid1(VALU_DEP_1)
	v_add_nc_u64_e32 v[12:13], 8, v[12:13]
	v_dual_cndmask_b32 v11, v11, v13 :: v_dual_cndmask_b32 v10, v10, v12
	global_load_b64 v[10:11], v[10:11], off
	s_wait_loadcnt 0x1
	v_sub_nc_u64_e64 v[12:13], v[34:35], s[12:13]
	s_delay_alu instid0(VALU_DEP_1) | instskip(NEXT) | instid1(VALU_DEP_1)
	v_add_nc_u64_e32 v[18:19], v[12:13], v[0:1]
	v_lshlrev_b64_e32 v[12:13], 8, v[18:19]
	s_delay_alu instid0(VALU_DEP_1) | instskip(SKIP_2) | instid1(VALU_DEP_1)
	v_add_nc_u64_e32 v[22:23], s[10:11], v[12:13]
	s_wait_loadcnt 0x0
	v_sub_nc_u64_e64 v[20:21], v[10:11], s[12:13]
	v_cmp_lt_i64_e64 s2, v[18:19], v[20:21]
	s_cbranch_scc1 .LBB36_23
; %bb.12:
	v_mov_b64_e32 v[10:11], 0
	v_mov_b64_e32 v[32:33], 0
	;; [unrolled: 1-line block ×8, first 2 shown]
	s_and_saveexec_b32 s3, s2
	s_cbranch_execz .LBB36_22
; %bb.13:
	v_dual_mov_b32 v11, v1 :: v_dual_bitop2_b32 v10, 8, v0 bitop3:0x54
	v_sub_nc_u64_e32 v[12:13], s[12:13], v[0:1]
	v_not_b32_e32 v15, v35
	v_not_b32_e32 v14, v34
	v_mov_b64_e32 v[30:31], 0
	v_sub_nc_u64_e64 v[10:11], v[10:11], s[12:13]
	v_mov_b64_e32 v[16:17], 0
	v_mov_b64_e32 v[28:29], 0
	v_add_nc_u64_e32 v[12:13], v[12:13], v[14:15]
	v_mov_b64_e32 v[14:15], 0
	v_mov_b64_e32 v[24:25], 0
	;; [unrolled: 1-line block ×3, first 2 shown]
	v_add_nc_u64_e32 v[10:11], v[10:11], v[34:35]
	v_mov_b64_e32 v[36:37], v[22:23]
	v_mov_b64_e32 v[38:39], v[18:19]
	s_mov_b32 s6, exec_lo
	s_delay_alu instid0(VALU_DEP_3) | instskip(NEXT) | instid1(VALU_DEP_1)
	v_max_i64 v[10:11], v[10:11], v[20:21]
	v_add_nc_u64_e32 v[40:41], v[12:13], v[10:11]
	v_mov_b64_e32 v[12:13], 0
	v_mov_b64_e32 v[10:11], 0
	s_delay_alu instid0(VALU_DEP_3) | instskip(NEXT) | instid1(VALU_DEP_1)
	v_dual_mov_b32 v45, 0 :: v_dual_bitop2_b32 v44, 24, v40 bitop3:0x40
	v_cmpx_ne_u64_e32 24, v[44:45]
	s_cbranch_execz .LBB36_17
; %bb.14:
	v_lshrrev_b32_e32 v10, 3, v40
	v_mov_b64_e32 v[32:33], 0
	v_mov_b64_e32 v[24:25], 0
	v_mov_b64_e32 v[28:29], 0
	v_mov_b64_e32 v[16:17], 0
	v_add_nc_u32_e32 v12, 1, v10
	v_mov_b64_e32 v[10:11], 0
	v_mov_b64_e32 v[30:31], 0
	;; [unrolled: 1-line block ×4, first 2 shown]
	v_and_b32_e32 v44, 3, v12
	v_mov_b64_e32 v[12:13], 0
	v_mov_b64_e32 v[36:37], v[22:23]
	v_lshl_add_u64 v[42:43], v[18:19], 2, s[8:9]
	s_mov_b32 s7, 0
	v_sub_nc_u64_e32 v[44:45], 0, v[44:45]
.LBB36_15:                              ; =>This Inner Loop Header: Depth=1
	global_load_b32 v27, v[42:43], off
	s_clause 0x6
	global_load_b128 v[46:49], v[36:37], off offset:16
	global_load_b128 v[50:53], v[36:37], off
	global_load_b128 v[54:57], v[36:37], off offset:80
	global_load_b128 v[58:61], v[36:37], off offset:64
	;; [unrolled: 1-line block ×5, first 2 shown]
	v_add_nc_u64_e32 v[44:45], 1, v[44:45]
	v_add_nc_u64_e32 v[38:39], 8, v[38:39]
	s_wait_xcnt 0x7
	v_add_nc_u64_e32 v[42:43], 32, v[42:43]
	s_delay_alu instid0(VALU_DEP_3) | instskip(SKIP_3) | instid1(VALU_DEP_1)
	v_cmp_eq_u64_e32 vcc_lo, 0, v[44:45]
	s_or_b32 s7, vcc_lo, s7
	s_wait_loadcnt 0x7
	v_subrev_nc_u32_e32 v27, s12, v27
	v_lshlrev_b32_e32 v27, 2, v27
	s_wait_kmcnt 0x0
	global_load_b128 v[74:77], v27, s[4:5] scale_offset
	global_load_b128 v[78:81], v[36:37], off offset:208
	global_load_b128 v[82:85], v27, s[4:5] offset:16 scale_offset
	s_clause 0x6
	global_load_b128 v[86:89], v[36:37], off offset:48
	global_load_b128 v[90:93], v[36:37], off offset:32
	;; [unrolled: 1-line block ×7, first 2 shown]
	global_load_b128 v[114:117], v27, s[4:5] offset:32 scale_offset
	global_load_b128 v[118:121], v[36:37], off offset:240
	global_load_b128 v[122:125], v27, s[4:5] offset:48 scale_offset
	s_wait_xcnt 0x1
	v_add_nc_u64_e32 v[36:37], 0x800, v[36:37]
	s_wait_loadcnt 0xc
	v_fmac_f64_e32 v[32:33], v[50:51], v[74:75]
	v_fmac_f64_e32 v[10:11], v[52:53], v[74:75]
	v_fmac_f64_e32 v[30:31], v[58:59], v[74:75]
	v_fmac_f64_e32 v[14:15], v[60:61], v[74:75]
	v_fmac_f64_e32 v[28:29], v[66:67], v[74:75]
	v_fmac_f64_e32 v[16:17], v[68:69], v[74:75]
	v_fmac_f64_e32 v[24:25], v[70:71], v[74:75]
	v_fmac_f64_e32 v[12:13], v[72:73], v[74:75]
	v_fma_f64 v[32:33], -v[52:53], v[76:77], v[32:33]
	v_fmac_f64_e32 v[10:11], v[50:51], v[76:77]
	v_fma_f64 v[30:31], -v[60:61], v[76:77], v[30:31]
	v_fmac_f64_e32 v[14:15], v[58:59], v[76:77]
	v_fma_f64 v[28:29], -v[68:69], v[76:77], v[28:29]
	v_fmac_f64_e32 v[16:17], v[66:67], v[76:77]
	v_fma_f64 v[24:25], -v[72:73], v[76:77], v[24:25]
	v_fmac_f64_e32 v[12:13], v[70:71], v[76:77]
	s_wait_loadcnt 0xa
	v_fmac_f64_e32 v[32:33], v[46:47], v[82:83]
	v_fmac_f64_e32 v[10:11], v[48:49], v[82:83]
	v_fmac_f64_e32 v[30:31], v[54:55], v[82:83]
	v_fmac_f64_e32 v[14:15], v[56:57], v[82:83]
	v_fmac_f64_e32 v[28:29], v[62:63], v[82:83]
	v_fmac_f64_e32 v[16:17], v[64:65], v[82:83]
	v_fmac_f64_e32 v[24:25], v[78:79], v[82:83]
	v_fmac_f64_e32 v[12:13], v[80:81], v[82:83]
	v_fma_f64 v[32:33], -v[48:49], v[84:85], v[32:33]
	v_fmac_f64_e32 v[10:11], v[46:47], v[84:85]
	v_fma_f64 v[30:31], -v[56:57], v[84:85], v[30:31]
	v_fmac_f64_e32 v[14:15], v[54:55], v[84:85]
	v_fma_f64 v[28:29], -v[64:65], v[84:85], v[28:29]
	v_fmac_f64_e32 v[16:17], v[62:63], v[84:85]
	v_fma_f64 v[24:25], -v[80:81], v[84:85], v[24:25]
	v_fmac_f64_e32 v[12:13], v[78:79], v[84:85]
	;; [unrolled: 17-line block ×4, first 2 shown]
	s_and_not1_b32 exec_lo, exec_lo, s7
	s_cbranch_execnz .LBB36_15
; %bb.16:
	s_or_b32 exec_lo, exec_lo, s7
.LBB36_17:
	s_delay_alu instid0(SALU_CYCLE_1) | instskip(NEXT) | instid1(SALU_CYCLE_1)
	s_or_b32 exec_lo, exec_lo, s6
	s_mov_b32 s6, exec_lo
	v_cmpx_lt_u64_e32 23, v[40:41]
	s_cbranch_execz .LBB36_21
; %bb.18:
	v_lshl_add_u64 v[40:41], v[38:39], 2, s[8:9]
	s_mov_b32 s7, 0
	s_delay_alu instid0(VALU_DEP_1)
	v_add_nc_u64_e32 v[40:41], 64, v[40:41]
.LBB36_19:                              ; =>This Inner Loop Header: Depth=1
	global_load_b32 v27, v[40:41], off offset:-64
	s_clause 0x15
	global_load_b128 v[42:45], v[36:37], off offset:48
	global_load_b128 v[46:49], v[36:37], off offset:32
	;; [unrolled: 1-line block ×3, first 2 shown]
	global_load_b128 v[54:57], v[36:37], off
	global_load_b128 v[58:61], v[36:37], off offset:112
	global_load_b128 v[62:65], v[36:37], off offset:96
	;; [unrolled: 1-line block ×18, first 2 shown]
	s_clause 0x2
	global_load_b32 v174, v[40:41], off offset:-32
	global_load_b32 v175, v[40:41], off
	global_load_b32 v176, v[40:41], off offset:32
	s_clause 0x7
	global_load_b128 v[130:133], v[36:37], off offset:2128
	global_load_b128 v[134:137], v[36:37], off offset:2112
	global_load_b128 v[138:141], v[36:37], off offset:2224
	global_load_b128 v[142:145], v[36:37], off offset:2208
	global_load_b128 v[146:149], v[36:37], off offset:2192
	global_load_b128 v[150:153], v[36:37], off offset:2176
	global_load_b128 v[154:157], v[36:37], off offset:2288
	global_load_b128 v[158:161], v[36:37], off offset:2272
	v_add_nc_u64_e32 v[38:39], 32, v[38:39]
	s_wait_xcnt 0x8
	v_add_nc_u64_e32 v[40:41], 0x80, v[40:41]
	s_delay_alu instid0(VALU_DEP_2) | instskip(SKIP_3) | instid1(VALU_DEP_1)
	v_cmp_ge_i64_e32 vcc_lo, v[38:39], v[20:21]
	s_or_b32 s7, vcc_lo, s7
	s_wait_loadcnt 0x21
	v_subrev_nc_u32_e32 v27, s12, v27
	v_lshlrev_b32_e32 v27, 2, v27
	s_wait_kmcnt 0x0
	s_clause 0x1
	global_load_b128 v[162:165], v27, s[4:5] scale_offset
	global_load_b128 v[166:169], v27, s[4:5] offset:16 scale_offset
	s_wait_loadcnt 0x1
	v_fmac_f64_e32 v[32:33], v[54:55], v[162:163]
	v_fmac_f64_e32 v[10:11], v[56:57], v[162:163]
	;; [unrolled: 1-line block ×8, first 2 shown]
	v_fma_f64 v[170:171], -v[56:57], v[164:165], v[32:33]
	v_fmac_f64_e32 v[10:11], v[54:55], v[164:165]
	v_fma_f64 v[172:173], -v[72:73], v[164:165], v[30:31]
	v_fmac_f64_e32 v[14:15], v[70:71], v[164:165]
	v_fma_f64 v[28:29], -v[88:89], v[164:165], v[28:29]
	v_fmac_f64_e32 v[16:17], v[86:87], v[164:165]
	v_fma_f64 v[24:25], -v[104:105], v[164:165], v[24:25]
	v_fmac_f64_e32 v[12:13], v[102:103], v[164:165]
	s_clause 0x4
	global_load_b128 v[54:57], v[36:37], off offset:2256
	global_load_b128 v[30:33], v[36:37], off offset:2240
	;; [unrolled: 1-line block ×5, first 2 shown]
	s_wait_loadcnt 0x5
	v_fmac_f64_e32 v[170:171], v[50:51], v[166:167]
	v_fmac_f64_e32 v[10:11], v[52:53], v[166:167]
	;; [unrolled: 1-line block ×8, first 2 shown]
	v_fma_f64 v[170:171], -v[52:53], v[168:169], v[170:171]
	v_fmac_f64_e32 v[10:11], v[50:51], v[168:169]
	global_load_b128 v[50:53], v[36:37], off offset:4096
	v_fma_f64 v[172:173], -v[68:69], v[168:169], v[172:173]
	v_fmac_f64_e32 v[14:15], v[66:67], v[168:169]
	global_load_b128 v[66:69], v[36:37], off offset:4208
	v_fma_f64 v[28:29], -v[84:85], v[168:169], v[28:29]
	v_fmac_f64_e32 v[16:17], v[82:83], v[168:169]
	global_load_b128 v[82:85], v[36:37], off offset:4192
	v_fma_f64 v[24:25], -v[100:101], v[168:169], v[24:25]
	v_fmac_f64_e32 v[12:13], v[98:99], v[168:169]
	s_clause 0x1
	global_load_b128 v[98:101], v27, s[4:5] offset:32 scale_offset
	global_load_b128 v[162:165], v27, s[4:5] offset:48 scale_offset
	s_wait_xcnt 0x0
	v_subrev_nc_u32_e32 v27, s12, v174
	s_delay_alu instid0(VALU_DEP_1)
	v_lshlrev_b32_e32 v27, 2, v27
	s_wait_loadcnt 0x1
	v_fmac_f64_e32 v[170:171], v[46:47], v[98:99]
	v_fmac_f64_e32 v[10:11], v[48:49], v[98:99]
	;; [unrolled: 1-line block ×8, first 2 shown]
	v_fma_f64 v[166:167], -v[48:49], v[100:101], v[170:171]
	v_fmac_f64_e32 v[10:11], v[46:47], v[100:101]
	v_fma_f64 v[168:169], -v[64:65], v[100:101], v[172:173]
	v_fmac_f64_e32 v[14:15], v[62:63], v[100:101]
	;; [unrolled: 2-line block ×4, first 2 shown]
	s_clause 0x4
	global_load_b128 v[46:49], v[36:37], off offset:4176
	global_load_b128 v[62:65], v[36:37], off offset:4160
	;; [unrolled: 1-line block ×5, first 2 shown]
	s_wait_loadcnt 0x5
	v_fmac_f64_e32 v[166:167], v[42:43], v[162:163]
	v_fmac_f64_e32 v[10:11], v[44:45], v[162:163]
	;; [unrolled: 1-line block ×8, first 2 shown]
	v_fma_f64 v[166:167], -v[44:45], v[164:165], v[166:167]
	v_fmac_f64_e32 v[10:11], v[42:43], v[164:165]
	global_load_b128 v[42:45], v[36:37], off offset:4224
	v_fma_f64 v[168:169], -v[60:61], v[164:165], v[168:169]
	v_fmac_f64_e32 v[14:15], v[58:59], v[164:165]
	global_load_b128 v[58:61], v[36:37], off offset:4336
	;; [unrolled: 3-line block ×3, first 2 shown]
	v_fma_f64 v[24:25], -v[92:93], v[164:165], v[24:25]
	v_fmac_f64_e32 v[12:13], v[90:91], v[164:165]
	s_clause 0x1
	global_load_b128 v[90:93], v27, s[4:5] scale_offset
	global_load_b128 v[162:165], v27, s[4:5] offset:16 scale_offset
	s_wait_loadcnt 0x1
	v_fmac_f64_e32 v[166:167], v[118:119], v[90:91]
	v_fmac_f64_e32 v[168:169], v[134:135], v[90:91]
	;; [unrolled: 1-line block ×8, first 2 shown]
	v_fma_f64 v[166:167], -v[120:121], v[92:93], v[166:167]
	v_fma_f64 v[168:169], -v[136:137], v[92:93], v[168:169]
	v_fmac_f64_e32 v[14:15], v[134:135], v[92:93]
	v_fmac_f64_e32 v[10:11], v[118:119], v[92:93]
	s_clause 0x1
	global_load_b128 v[118:121], v[36:37], off offset:4304
	global_load_b128 v[134:137], v[36:37], off offset:4288
	v_fma_f64 v[170:171], -v[152:153], v[92:93], v[28:29]
	v_fmac_f64_e32 v[16:17], v[150:151], v[92:93]
	global_load_b128 v[150:153], v[36:37], off offset:6160
	v_fma_f64 v[24:25], -v[32:33], v[92:93], v[24:25]
	v_fmac_f64_e32 v[12:13], v[30:31], v[92:93]
	s_clause 0x1
	global_load_b128 v[28:31], v[36:37], off offset:6144
	global_load_b128 v[90:93], v[36:37], off offset:6224
	s_wait_loadcnt 0x5
	v_fmac_f64_e32 v[166:167], v[114:115], v[162:163]
	v_fmac_f64_e32 v[168:169], v[130:131], v[162:163]
	;; [unrolled: 1-line block ×8, first 2 shown]
	v_fma_f64 v[32:33], -v[116:117], v[164:165], v[166:167]
	v_fma_f64 v[166:167], -v[132:133], v[164:165], v[168:169]
	v_fmac_f64_e32 v[14:15], v[130:131], v[164:165]
	global_load_b128 v[130:133], v27, s[4:5] offset:32 scale_offset
	v_fmac_f64_e32 v[10:11], v[114:115], v[164:165]
	global_load_b128 v[114:117], v[36:37], off offset:6208
	v_fma_f64 v[168:169], -v[148:149], v[164:165], v[170:171]
	v_fmac_f64_e32 v[16:17], v[146:147], v[164:165]
	global_load_b128 v[146:149], v27, s[4:5] offset:48 scale_offset
	s_wait_xcnt 0x0
	v_subrev_nc_u32_e32 v27, s12, v175
	v_fma_f64 v[24:25], -v[56:57], v[164:165], v[24:25]
	v_fmac_f64_e32 v[12:13], v[54:55], v[164:165]
	global_load_b128 v[54:57], v[36:37], off offset:6288
	v_lshlrev_b32_e32 v27, 2, v27
	global_load_b128 v[162:165], v27, s[4:5] scale_offset
	s_wait_loadcnt 0x4
	v_fmac_f64_e32 v[32:33], v[110:111], v[130:131]
	v_fmac_f64_e32 v[10:11], v[112:113], v[130:131]
	;; [unrolled: 1-line block ×8, first 2 shown]
	v_fma_f64 v[32:33], -v[112:113], v[132:133], v[32:33]
	v_fmac_f64_e32 v[10:11], v[110:111], v[132:133]
	global_load_b128 v[110:113], v27, s[4:5] offset:16 scale_offset
	v_fma_f64 v[168:169], -v[144:145], v[132:133], v[168:169]
	v_fmac_f64_e32 v[16:17], v[142:143], v[132:133]
	global_load_b128 v[142:145], v27, s[4:5] offset:32 scale_offset
	v_fma_f64 v[166:167], -v[128:129], v[132:133], v[166:167]
	v_fmac_f64_e32 v[14:15], v[126:127], v[132:133]
	global_load_b128 v[126:129], v[36:37], off offset:6272
	v_fma_f64 v[24:25], -v[160:161], v[132:133], v[24:25]
	v_fmac_f64_e32 v[12:13], v[158:159], v[132:133]
	global_load_b128 v[130:133], v[36:37], off offset:6352
	global_load_b128 v[158:161], v27, s[4:5] offset:48 scale_offset
	s_wait_xcnt 0x0
	v_subrev_nc_u32_e32 v27, s12, v176
	s_delay_alu instid0(VALU_DEP_1)
	v_lshlrev_b32_e32 v27, 2, v27
	s_wait_loadcnt 0x7
	v_fmac_f64_e32 v[32:33], v[106:107], v[146:147]
	v_fmac_f64_e32 v[10:11], v[108:109], v[146:147]
	v_fmac_f64_e32 v[168:169], v[138:139], v[146:147]
	v_fmac_f64_e32 v[16:17], v[140:141], v[146:147]
	v_fmac_f64_e32 v[166:167], v[122:123], v[146:147]
	v_fmac_f64_e32 v[14:15], v[124:125], v[146:147]
	v_fmac_f64_e32 v[24:25], v[154:155], v[146:147]
	v_fmac_f64_e32 v[12:13], v[156:157], v[146:147]
	v_fma_f64 v[32:33], -v[108:109], v[148:149], v[32:33]
	v_fmac_f64_e32 v[10:11], v[106:107], v[148:149]
	global_load_b128 v[106:109], v[36:37], off offset:6336
	v_fma_f64 v[168:169], -v[140:141], v[148:149], v[168:169]
	v_fmac_f64_e32 v[16:17], v[138:139], v[148:149]
	global_load_b128 v[138:141], v[36:37], off offset:6192
	v_fma_f64 v[166:167], -v[124:125], v[148:149], v[166:167]
	v_fmac_f64_e32 v[14:15], v[122:123], v[148:149]
	global_load_b128 v[122:125], v27, s[4:5] scale_offset
	v_fma_f64 v[24:25], -v[156:157], v[148:149], v[24:25]
	v_fmac_f64_e32 v[12:13], v[154:155], v[148:149]
	global_load_b128 v[146:149], v[36:37], off offset:6176
	global_load_b128 v[154:157], v27, s[4:5] offset:16 scale_offset
	s_wait_loadcnt 0xa
	v_fmac_f64_e32 v[32:33], v[50:51], v[162:163]
	v_fmac_f64_e32 v[10:11], v[52:53], v[162:163]
	;; [unrolled: 1-line block ×8, first 2 shown]
	v_fma_f64 v[32:33], -v[52:53], v[164:165], v[32:33]
	v_fmac_f64_e32 v[10:11], v[50:51], v[164:165]
	global_load_b128 v[50:53], v[36:37], off offset:6256
	v_fma_f64 v[168:169], -v[44:45], v[164:165], v[168:169]
	v_fmac_f64_e32 v[16:17], v[42:43], v[164:165]
	global_load_b128 v[42:45], v[36:37], off offset:6320
	;; [unrolled: 3-line block ×3, first 2 shown]
	v_fma_f64 v[24:25], -v[136:137], v[164:165], v[24:25]
	v_fmac_f64_e32 v[12:13], v[134:135], v[164:165]
	s_clause 0x1
	global_load_b128 v[134:137], v[36:37], off offset:6304
	global_load_b128 v[162:165], v[36:37], off offset:6368
	s_wait_loadcnt 0xe
	v_fmac_f64_e32 v[32:33], v[102:103], v[110:111]
	v_fmac_f64_e32 v[10:11], v[104:105], v[110:111]
	;; [unrolled: 1-line block ×8, first 2 shown]
	v_fma_f64 v[32:33], -v[104:105], v[112:113], v[32:33]
	v_fmac_f64_e32 v[10:11], v[102:103], v[112:113]
	global_load_b128 v[102:105], v27, s[4:5] offset:32 scale_offset
	v_fma_f64 v[110:111], -v[48:49], v[112:113], v[166:167]
	v_fmac_f64_e32 v[14:15], v[46:47], v[112:113]
	v_fma_f64 v[166:167], -v[100:101], v[112:113], v[168:169]
	v_fmac_f64_e32 v[16:17], v[98:99], v[112:113]
	v_fma_f64 v[24:25], -v[120:121], v[112:113], v[24:25]
	v_fmac_f64_e32 v[12:13], v[118:119], v[112:113]
	global_load_b128 v[46:49], v[36:37], off offset:6384
	global_load_b128 v[98:101], v27, s[4:5] offset:48 scale_offset
	s_wait_xcnt 0x1
	v_add_nc_u64_e32 v[36:37], 0x2000, v[36:37]
	s_wait_loadcnt 0x10
	v_fmac_f64_e32 v[32:33], v[86:87], v[142:143]
	v_fmac_f64_e32 v[10:11], v[88:89], v[142:143]
	v_fmac_f64_e32 v[110:111], v[82:83], v[142:143]
	v_fmac_f64_e32 v[14:15], v[84:85], v[142:143]
	v_fmac_f64_e32 v[166:167], v[94:95], v[142:143]
	v_fmac_f64_e32 v[16:17], v[96:97], v[142:143]
	v_fmac_f64_e32 v[24:25], v[74:75], v[142:143]
	v_fmac_f64_e32 v[12:13], v[76:77], v[142:143]
	v_fma_f64 v[32:33], -v[88:89], v[144:145], v[32:33]
	v_fmac_f64_e32 v[10:11], v[86:87], v[144:145]
	v_fma_f64 v[84:85], -v[84:85], v[144:145], v[110:111]
	v_fmac_f64_e32 v[14:15], v[82:83], v[144:145]
	v_fma_f64 v[82:83], -v[96:97], v[144:145], v[166:167]
	v_fmac_f64_e32 v[16:17], v[94:95], v[144:145]
	v_fma_f64 v[24:25], -v[76:77], v[144:145], v[24:25]
	v_fmac_f64_e32 v[12:13], v[74:75], v[144:145]
	s_wait_loadcnt 0xd
	v_fmac_f64_e32 v[32:33], v[70:71], v[158:159]
	v_fmac_f64_e32 v[10:11], v[72:73], v[158:159]
	v_fmac_f64_e32 v[84:85], v[66:67], v[158:159]
	v_fmac_f64_e32 v[14:15], v[68:69], v[158:159]
	v_fmac_f64_e32 v[82:83], v[78:79], v[158:159]
	v_fmac_f64_e32 v[16:17], v[80:81], v[158:159]
	v_fmac_f64_e32 v[24:25], v[58:59], v[158:159]
	v_fmac_f64_e32 v[12:13], v[60:61], v[158:159]
	v_fma_f64 v[32:33], -v[72:73], v[160:161], v[32:33]
	v_fmac_f64_e32 v[10:11], v[70:71], v[160:161]
	v_fma_f64 v[68:69], -v[68:69], v[160:161], v[84:85]
	v_fmac_f64_e32 v[14:15], v[66:67], v[160:161]
	v_fma_f64 v[66:67], -v[80:81], v[160:161], v[82:83]
	v_fmac_f64_e32 v[16:17], v[78:79], v[160:161]
	v_fma_f64 v[24:25], -v[60:61], v[160:161], v[24:25]
	v_fmac_f64_e32 v[12:13], v[58:59], v[160:161]
	;; [unrolled: 17-line block ×6, first 2 shown]
	s_and_not1_b32 exec_lo, exec_lo, s7
	s_cbranch_execnz .LBB36_19
; %bb.20:
	s_or_b32 exec_lo, exec_lo, s7
.LBB36_21:
	s_delay_alu instid0(SALU_CYCLE_1)
	s_or_b32 exec_lo, exec_lo, s6
.LBB36_22:
	s_delay_alu instid0(SALU_CYCLE_1)
	s_or_b32 exec_lo, exec_lo, s3
	s_cbranch_execz .LBB36_24
	s_branch .LBB36_35
.LBB36_23:
                                        ; implicit-def: $vgpr10_vgpr11
                                        ; implicit-def: $vgpr32_vgpr33
                                        ; implicit-def: $vgpr24_vgpr25
                                        ; implicit-def: $vgpr12_vgpr13
                                        ; implicit-def: $vgpr28_vgpr29
                                        ; implicit-def: $vgpr16_vgpr17
                                        ; implicit-def: $vgpr30_vgpr31
                                        ; implicit-def: $vgpr14_vgpr15
.LBB36_24:
	v_mov_b64_e32 v[10:11], 0
	v_mov_b64_e32 v[32:33], 0
	;; [unrolled: 1-line block ×8, first 2 shown]
	s_and_saveexec_b32 s3, s2
	s_cbranch_execz .LBB36_34
; %bb.25:
	v_dual_mov_b32 v11, v1 :: v_dual_bitop2_b32 v10, 8, v0 bitop3:0x54
	v_sub_nc_u64_e32 v[12:13], s[12:13], v[0:1]
	v_not_b32_e32 v15, v35
	v_not_b32_e32 v14, v34
	v_mov_b64_e32 v[30:31], 0
	v_sub_nc_u64_e64 v[10:11], v[10:11], s[12:13]
	v_mov_b64_e32 v[16:17], 0
	v_mov_b64_e32 v[28:29], 0
	v_add_nc_u64_e32 v[12:13], v[12:13], v[14:15]
	v_mov_b64_e32 v[14:15], 0
	v_mov_b64_e32 v[24:25], 0
	;; [unrolled: 1-line block ×3, first 2 shown]
	v_add_nc_u64_e32 v[10:11], v[10:11], v[34:35]
	s_mov_b32 s2, exec_lo
	s_delay_alu instid0(VALU_DEP_1) | instskip(NEXT) | instid1(VALU_DEP_1)
	v_max_i64 v[10:11], v[10:11], v[20:21]
	v_add_nc_u64_e32 v[34:35], v[12:13], v[10:11]
	v_mov_b64_e32 v[12:13], 0
	v_mov_b64_e32 v[10:11], 0
	s_delay_alu instid0(VALU_DEP_3) | instskip(NEXT) | instid1(VALU_DEP_1)
	v_dual_mov_b32 v37, 0 :: v_dual_bitop2_b32 v36, 24, v34 bitop3:0x40
	v_cmpx_ne_u64_e32 24, v[36:37]
	s_cbranch_execz .LBB36_29
; %bb.26:
	v_lshrrev_b32_e32 v1, 3, v34
	v_mov_b64_e32 v[10:11], 0
	v_mov_b64_e32 v[32:33], 0
	;; [unrolled: 1-line block ×4, first 2 shown]
	v_add_nc_u32_e32 v1, 1, v1
	v_mov_b64_e32 v[28:29], 0
	v_mov_b64_e32 v[16:17], 0
	;; [unrolled: 1-line block ×4, first 2 shown]
	v_and_b32_e32 v36, 3, v1
	v_lshl_add_u64 v[38:39], v[18:19], 2, s[8:9]
	s_mov_b32 s6, 0
	s_delay_alu instid0(VALU_DEP_2)
	v_sub_nc_u64_e32 v[36:37], 0, v[36:37]
.LBB36_27:                              ; =>This Inner Loop Header: Depth=1
	global_load_b32 v1, v[38:39], off
	s_clause 0x3
	global_load_b128 v[40:43], v[22:23], off offset:48
	global_load_b128 v[44:47], v[22:23], off offset:32
	;; [unrolled: 1-line block ×3, first 2 shown]
	global_load_b128 v[52:55], v[22:23], off
	v_add_nc_u64_e32 v[36:37], 1, v[36:37]
	v_add_nc_u64_e32 v[18:19], 8, v[18:19]
	s_wait_xcnt 0x4
	v_add_nc_u64_e32 v[38:39], 32, v[38:39]
	s_delay_alu instid0(VALU_DEP_3) | instskip(SKIP_3) | instid1(VALU_DEP_1)
	v_cmp_eq_u64_e32 vcc_lo, 0, v[36:37]
	s_or_b32 s6, vcc_lo, s6
	s_wait_loadcnt 0x4
	v_subrev_nc_u32_e32 v1, s12, v1
	v_lshlrev_b32_e32 v1, 2, v1
	s_wait_kmcnt 0x0
	global_load_b128 v[56:59], v1, s[4:5] scale_offset
	s_clause 0x3
	global_load_b128 v[60:63], v[22:23], off offset:64
	global_load_b128 v[64:67], v[22:23], off offset:80
	;; [unrolled: 1-line block ×4, first 2 shown]
	global_load_b128 v[76:79], v1, s[4:5] offset:16 scale_offset
	s_clause 0x3
	global_load_b128 v[80:83], v[22:23], off offset:176
	global_load_b128 v[84:87], v[22:23], off offset:160
	;; [unrolled: 1-line block ×4, first 2 shown]
	s_clause 0x1
	global_load_b128 v[96:99], v1, s[4:5] offset:32 scale_offset
	global_load_b128 v[100:103], v1, s[4:5] offset:48 scale_offset
	s_clause 0x3
	global_load_b128 v[104:107], v[22:23], off offset:192
	global_load_b128 v[108:111], v[22:23], off offset:208
	;; [unrolled: 1-line block ×3, first 2 shown]
	; meta instruction
	global_load_b128 v[116:119], v[22:23], off offset:240
	s_wait_xcnt 0x0
	v_add_nc_u64_e32 v[22:23], 0x800, v[22:23]
	s_wait_loadcnt 0xf
	v_fmac_f64_e32 v[32:33], v[52:53], v[56:57]
	v_fmac_f64_e32 v[10:11], v[54:55], v[56:57]
	v_fmac_f64_e32 v[30:31], v[48:49], v[56:57]
	v_fmac_f64_e32 v[14:15], v[50:51], v[56:57]
	v_fmac_f64_e32 v[28:29], v[44:45], v[56:57]
	v_fmac_f64_e32 v[16:17], v[46:47], v[56:57]
	v_fmac_f64_e32 v[24:25], v[40:41], v[56:57]
	v_fmac_f64_e32 v[12:13], v[42:43], v[56:57]
	v_fma_f64 v[32:33], -v[54:55], v[58:59], v[32:33]
	v_fmac_f64_e32 v[10:11], v[52:53], v[58:59]
	v_fma_f64 v[30:31], -v[50:51], v[58:59], v[30:31]
	v_fmac_f64_e32 v[14:15], v[48:49], v[58:59]
	v_fma_f64 v[28:29], -v[46:47], v[58:59], v[28:29]
	v_fmac_f64_e32 v[16:17], v[44:45], v[58:59]
	v_fma_f64 v[24:25], -v[42:43], v[58:59], v[24:25]
	v_fmac_f64_e32 v[12:13], v[40:41], v[58:59]
	s_wait_loadcnt 0xa
	v_fmac_f64_e32 v[32:33], v[60:61], v[76:77]
	v_fmac_f64_e32 v[10:11], v[62:63], v[76:77]
	v_fmac_f64_e32 v[30:31], v[64:65], v[76:77]
	v_fmac_f64_e32 v[14:15], v[66:67], v[76:77]
	v_fmac_f64_e32 v[28:29], v[68:69], v[76:77]
	v_fmac_f64_e32 v[16:17], v[70:71], v[76:77]
	v_fmac_f64_e32 v[24:25], v[72:73], v[76:77]
	v_fmac_f64_e32 v[12:13], v[74:75], v[76:77]
	v_fma_f64 v[32:33], -v[62:63], v[78:79], v[32:33]
	v_fmac_f64_e32 v[10:11], v[60:61], v[78:79]
	v_fma_f64 v[30:31], -v[66:67], v[78:79], v[30:31]
	v_fmac_f64_e32 v[14:15], v[64:65], v[78:79]
	v_fma_f64 v[28:29], -v[70:71], v[78:79], v[28:29]
	v_fmac_f64_e32 v[16:17], v[68:69], v[78:79]
	v_fma_f64 v[24:25], -v[74:75], v[78:79], v[24:25]
	v_fmac_f64_e32 v[12:13], v[72:73], v[78:79]
	;; [unrolled: 17-line block ×3, first 2 shown]
	s_wait_loadcnt 0x3
	v_fmac_f64_e32 v[32:33], v[104:105], v[100:101]
	v_fmac_f64_e32 v[10:11], v[106:107], v[100:101]
	s_wait_loadcnt 0x2
	v_fmac_f64_e32 v[30:31], v[108:109], v[100:101]
	v_fmac_f64_e32 v[14:15], v[110:111], v[100:101]
	;; [unrolled: 3-line block ×4, first 2 shown]
	v_fma_f64 v[32:33], -v[106:107], v[102:103], v[32:33]
	v_fmac_f64_e32 v[10:11], v[104:105], v[102:103]
	v_fma_f64 v[30:31], -v[110:111], v[102:103], v[30:31]
	v_fmac_f64_e32 v[14:15], v[108:109], v[102:103]
	;; [unrolled: 2-line block ×4, first 2 shown]
	s_and_not1_b32 exec_lo, exec_lo, s6
	s_cbranch_execnz .LBB36_27
; %bb.28:
	s_or_b32 exec_lo, exec_lo, s6
.LBB36_29:
	s_delay_alu instid0(SALU_CYCLE_1) | instskip(NEXT) | instid1(SALU_CYCLE_1)
	s_or_b32 exec_lo, exec_lo, s2
	s_mov_b32 s2, exec_lo
	v_cmpx_lt_u64_e32 23, v[34:35]
	s_cbranch_execz .LBB36_33
; %bb.30:
	v_lshl_add_u64 v[34:35], v[18:19], 2, s[8:9]
	s_mov_b32 s6, 0
	s_delay_alu instid0(VALU_DEP_1)
	v_add_nc_u64_e32 v[34:35], 64, v[34:35]
.LBB36_31:                              ; =>This Inner Loop Header: Depth=1
	global_load_b32 v1, v[34:35], off offset:-64
	s_clause 0x11
	global_load_b128 v[36:39], v[22:23], off offset:48
	global_load_b128 v[40:43], v[22:23], off offset:32
	;; [unrolled: 1-line block ×3, first 2 shown]
	global_load_b128 v[48:51], v[22:23], off
	global_load_b128 v[52:55], v[22:23], off offset:112
	global_load_b128 v[56:59], v[22:23], off offset:96
	;; [unrolled: 1-line block ×14, first 2 shown]
	s_clause 0x2
	global_load_b32 v27, v[34:35], off offset:-32
	global_load_b32 v152, v[34:35], off
	global_load_b32 v153, v[34:35], off offset:32
	s_clause 0x7
	global_load_b128 v[108:111], v[22:23], off offset:2064
	global_load_b128 v[112:115], v[22:23], off offset:2048
	;; [unrolled: 1-line block ×8, first 2 shown]
	v_add_nc_u64_e32 v[18:19], 32, v[18:19]
	s_wait_xcnt 0x8
	v_add_nc_u64_e32 v[34:35], 0x80, v[34:35]
	s_delay_alu instid0(VALU_DEP_2) | instskip(SKIP_3) | instid1(VALU_DEP_1)
	v_cmp_ge_i64_e32 vcc_lo, v[18:19], v[20:21]
	s_or_b32 s6, vcc_lo, s6
	s_wait_loadcnt 0x1d
	v_subrev_nc_u32_e32 v1, s12, v1
	v_lshlrev_b32_e32 v1, 2, v1
	s_wait_kmcnt 0x0
	s_clause 0x1
	global_load_b128 v[140:143], v1, s[4:5] scale_offset
	global_load_b128 v[144:147], v1, s[4:5] offset:16 scale_offset
	s_wait_loadcnt 0x1
	v_fmac_f64_e32 v[32:33], v[48:49], v[140:141]
	v_fmac_f64_e32 v[10:11], v[50:51], v[140:141]
	;; [unrolled: 1-line block ×8, first 2 shown]
	v_fma_f64 v[148:149], -v[50:51], v[142:143], v[32:33]
	v_fmac_f64_e32 v[10:11], v[48:49], v[142:143]
	v_fma_f64 v[150:151], -v[46:47], v[142:143], v[30:31]
	v_fmac_f64_e32 v[14:15], v[44:45], v[142:143]
	v_fma_f64 v[28:29], -v[42:43], v[142:143], v[28:29]
	v_fmac_f64_e32 v[16:17], v[40:41], v[142:143]
	v_fma_f64 v[24:25], -v[38:39], v[142:143], v[24:25]
	v_fmac_f64_e32 v[12:13], v[36:37], v[142:143]
	s_clause 0x4
	global_load_b128 v[48:51], v[22:23], off offset:2192
	global_load_b128 v[30:33], v[22:23], off offset:2176
	global_load_b128 v[40:43], v[22:23], off offset:2288
	global_load_b128 v[36:39], v[22:23], off offset:2272
	global_load_b128 v[44:47], v[22:23], off offset:2256
	s_wait_loadcnt 0x5
	v_fmac_f64_e32 v[148:149], v[64:65], v[144:145]
	v_fmac_f64_e32 v[10:11], v[66:67], v[144:145]
	;; [unrolled: 1-line block ×8, first 2 shown]
	v_fma_f64 v[148:149], -v[66:67], v[146:147], v[148:149]
	v_fmac_f64_e32 v[10:11], v[64:65], v[146:147]
	global_load_b128 v[64:67], v[22:23], off offset:2240
	v_fma_f64 v[150:151], -v[62:63], v[146:147], v[150:151]
	v_fmac_f64_e32 v[14:15], v[60:61], v[146:147]
	global_load_b128 v[60:63], v[22:23], off offset:4144
	;; [unrolled: 3-line block ×3, first 2 shown]
	v_fma_f64 v[24:25], -v[54:55], v[146:147], v[24:25]
	v_fmac_f64_e32 v[12:13], v[52:53], v[146:147]
	s_clause 0x1
	global_load_b128 v[52:55], v1, s[4:5] offset:32 scale_offset
	global_load_b128 v[140:143], v1, s[4:5] offset:48 scale_offset
	s_wait_xcnt 0x0
	v_subrev_nc_u32_e32 v1, s12, v27
	v_subrev_nc_u32_e32 v27, s12, v153
	s_delay_alu instid0(VALU_DEP_1)
	v_dual_lshlrev_b32 v1, 2, v1 :: v_dual_lshlrev_b32 v27, 2, v27
	s_wait_loadcnt 0x1
	v_fmac_f64_e32 v[148:149], v[80:81], v[52:53]
	v_fmac_f64_e32 v[10:11], v[82:83], v[52:53]
	;; [unrolled: 1-line block ×8, first 2 shown]
	v_fma_f64 v[144:145], -v[82:83], v[54:55], v[148:149]
	v_fmac_f64_e32 v[10:11], v[80:81], v[54:55]
	v_fma_f64 v[146:147], -v[78:79], v[54:55], v[150:151]
	v_fmac_f64_e32 v[14:15], v[76:77], v[54:55]
	;; [unrolled: 2-line block ×4, first 2 shown]
	s_clause 0x4
	global_load_b128 v[80:83], v[22:23], off offset:4112
	global_load_b128 v[76:79], v[22:23], off offset:4096
	global_load_b128 v[72:75], v[22:23], off offset:4208
	global_load_b128 v[52:55], v[22:23], off offset:4192
	global_load_b128 v[68:71], v[22:23], off offset:4176
	s_wait_loadcnt 0x5
	v_fmac_f64_e32 v[144:145], v[96:97], v[140:141]
	v_fmac_f64_e32 v[10:11], v[98:99], v[140:141]
	;; [unrolled: 1-line block ×8, first 2 shown]
	v_fma_f64 v[144:145], -v[98:99], v[142:143], v[144:145]
	v_fmac_f64_e32 v[10:11], v[96:97], v[142:143]
	global_load_b128 v[96:99], v[22:23], off offset:4160
	v_fma_f64 v[146:147], -v[94:95], v[142:143], v[146:147]
	v_fmac_f64_e32 v[14:15], v[92:93], v[142:143]
	global_load_b128 v[92:95], v[22:23], off offset:4272
	;; [unrolled: 3-line block ×3, first 2 shown]
	v_fma_f64 v[24:25], -v[86:87], v[142:143], v[24:25]
	v_fmac_f64_e32 v[12:13], v[84:85], v[142:143]
	s_clause 0x1
	global_load_b128 v[84:87], v1, s[4:5] scale_offset
	global_load_b128 v[140:143], v1, s[4:5] offset:16 scale_offset
	s_wait_loadcnt 0x1
	v_fmac_f64_e32 v[144:145], v[112:113], v[84:85]
	v_fmac_f64_e32 v[10:11], v[114:115], v[84:85]
	;; [unrolled: 1-line block ×8, first 2 shown]
	v_fma_f64 v[144:145], -v[114:115], v[86:87], v[144:145]
	v_fmac_f64_e32 v[10:11], v[112:113], v[86:87]
	v_fma_f64 v[146:147], -v[110:111], v[86:87], v[146:147]
	v_fmac_f64_e32 v[14:15], v[108:109], v[86:87]
	;; [unrolled: 2-line block ×4, first 2 shown]
	s_clause 0x4
	global_load_b128 v[112:115], v[22:23], off offset:4240
	global_load_b128 v[108:111], v[22:23], off offset:4224
	;; [unrolled: 1-line block ×5, first 2 shown]
	s_wait_loadcnt 0x5
	v_fmac_f64_e32 v[144:145], v[128:129], v[140:141]
	v_fmac_f64_e32 v[10:11], v[130:131], v[140:141]
	;; [unrolled: 1-line block ×8, first 2 shown]
	v_fma_f64 v[144:145], -v[130:131], v[142:143], v[144:145]
	v_fmac_f64_e32 v[10:11], v[128:129], v[142:143]
	global_load_b128 v[128:131], v[22:23], off offset:4288
	v_fma_f64 v[146:147], -v[126:127], v[142:143], v[146:147]
	v_fmac_f64_e32 v[14:15], v[124:125], v[142:143]
	global_load_b128 v[124:127], v[22:23], off offset:6192
	;; [unrolled: 3-line block ×3, first 2 shown]
	v_fma_f64 v[24:25], -v[118:119], v[142:143], v[24:25]
	v_fmac_f64_e32 v[12:13], v[116:117], v[142:143]
	s_clause 0x1
	global_load_b128 v[116:119], v1, s[4:5] offset:32 scale_offset
	global_load_b128 v[140:143], v1, s[4:5] offset:48 scale_offset
	s_wait_xcnt 0x0
	v_subrev_nc_u32_e32 v1, s12, v152
	s_delay_alu instid0(VALU_DEP_1)
	v_lshlrev_b32_e32 v1, 2, v1
	s_wait_loadcnt 0x1
	v_fmac_f64_e32 v[144:145], v[30:31], v[116:117]
	v_fmac_f64_e32 v[10:11], v[32:33], v[116:117]
	;; [unrolled: 1-line block ×8, first 2 shown]
	v_fma_f64 v[32:33], -v[32:33], v[118:119], v[144:145]
	v_fmac_f64_e32 v[10:11], v[30:31], v[118:119]
	global_load_b128 v[28:31], v[22:23], off offset:6160
	v_fma_f64 v[144:145], -v[50:51], v[118:119], v[146:147]
	v_fmac_f64_e32 v[14:15], v[48:49], v[118:119]
	global_load_b128 v[48:51], v[22:23], off offset:6144
	;; [unrolled: 3-line block ×3, first 2 shown]
	v_fma_f64 v[24:25], -v[134:135], v[118:119], v[24:25]
	v_fmac_f64_e32 v[12:13], v[132:133], v[118:119]
	s_clause 0x1
	global_load_b128 v[116:119], v[22:23], off offset:6240
	global_load_b128 v[132:135], v[22:23], off offset:6224
	s_wait_loadcnt 0x5
	v_fmac_f64_e32 v[32:33], v[64:65], v[140:141]
	v_fmac_f64_e32 v[10:11], v[66:67], v[140:141]
	v_fmac_f64_e32 v[144:145], v[44:45], v[140:141]
	v_fmac_f64_e32 v[14:15], v[46:47], v[140:141]
	v_fmac_f64_e32 v[146:147], v[36:37], v[140:141]
	v_fmac_f64_e32 v[16:17], v[38:39], v[140:141]
	v_fmac_f64_e32 v[24:25], v[40:41], v[140:141]
	v_fmac_f64_e32 v[12:13], v[42:43], v[140:141]
	v_fma_f64 v[32:33], -v[66:67], v[142:143], v[32:33]
	v_fmac_f64_e32 v[10:11], v[64:65], v[142:143]
	global_load_b128 v[64:67], v1, s[4:5] scale_offset
	v_fma_f64 v[144:145], -v[46:47], v[142:143], v[144:145]
	v_fmac_f64_e32 v[14:15], v[44:45], v[142:143]
	global_load_b128 v[44:47], v1, s[4:5] offset:16 scale_offset
	v_fma_f64 v[146:147], -v[38:39], v[142:143], v[146:147]
	v_fmac_f64_e32 v[16:17], v[36:37], v[142:143]
	global_load_b128 v[36:39], v1, s[4:5] offset:32 scale_offset
	;; [unrolled: 3-line block ×3, first 2 shown]
	global_load_b128 v[40:43], v[22:23], off offset:6208
	s_wait_loadcnt 0x4
	v_fmac_f64_e32 v[32:33], v[76:77], v[64:65]
	v_fmac_f64_e32 v[10:11], v[78:79], v[64:65]
	;; [unrolled: 1-line block ×8, first 2 shown]
	v_fma_f64 v[32:33], -v[78:79], v[66:67], v[32:33]
	v_fmac_f64_e32 v[10:11], v[76:77], v[66:67]
	global_load_b128 v[76:79], v27, s[4:5] offset:16 scale_offset
	v_fma_f64 v[144:145], -v[82:83], v[66:67], v[144:145]
	v_fmac_f64_e32 v[14:15], v[80:81], v[66:67]
	global_load_b128 v[80:83], v27, s[4:5] scale_offset
	v_fma_f64 v[148:149], -v[58:59], v[66:67], v[146:147]
	v_fmac_f64_e32 v[16:17], v[56:57], v[66:67]
	v_fma_f64 v[24:25], -v[62:63], v[66:67], v[24:25]
	v_fmac_f64_e32 v[12:13], v[60:61], v[66:67]
	s_clause 0x2
	global_load_b128 v[56:59], v[22:23], off offset:6320
	global_load_b128 v[60:63], v[22:23], off offset:6304
	;; [unrolled: 1-line block ×3, first 2 shown]
	s_wait_loadcnt 0x8
	v_fmac_f64_e32 v[32:33], v[96:97], v[44:45]
	v_fmac_f64_e32 v[10:11], v[98:99], v[44:45]
	v_fmac_f64_e32 v[144:145], v[68:69], v[44:45]
	v_fmac_f64_e32 v[14:15], v[70:71], v[44:45]
	v_fmac_f64_e32 v[148:149], v[52:53], v[44:45]
	v_fmac_f64_e32 v[16:17], v[54:55], v[44:45]
	v_fmac_f64_e32 v[24:25], v[72:73], v[44:45]
	v_fmac_f64_e32 v[12:13], v[74:75], v[44:45]
	v_fma_f64 v[32:33], -v[98:99], v[46:47], v[32:33]
	v_fmac_f64_e32 v[10:11], v[96:97], v[46:47]
	global_load_b128 v[96:99], v[22:23], off offset:6272
	v_fma_f64 v[150:151], -v[70:71], v[46:47], v[144:145]
	v_fmac_f64_e32 v[14:15], v[68:69], v[46:47]
	s_clause 0x1
	global_load_b128 v[68:71], v27, s[4:5] offset:48 scale_offset
	global_load_b128 v[144:147], v27, s[4:5] offset:32 scale_offset
	v_fma_f64 v[148:149], -v[54:55], v[46:47], v[148:149]
	v_fmac_f64_e32 v[16:17], v[52:53], v[46:47]
	v_fma_f64 v[24:25], -v[74:75], v[46:47], v[24:25]
	v_fmac_f64_e32 v[12:13], v[72:73], v[46:47]
	s_clause 0x2
	global_load_b128 v[52:55], v[22:23], off offset:6368
	global_load_b128 v[44:47], v[22:23], off offset:6352
	;; [unrolled: 1-line block ×3, first 2 shown]
	s_wait_loadcnt 0xd
	v_fmac_f64_e32 v[32:33], v[108:109], v[36:37]
	v_fmac_f64_e32 v[10:11], v[110:111], v[36:37]
	;; [unrolled: 1-line block ×8, first 2 shown]
	v_fma_f64 v[32:33], -v[110:111], v[38:39], v[32:33]
	v_fmac_f64_e32 v[10:11], v[108:109], v[38:39]
	global_load_b128 v[108:111], v[22:23], off offset:6384
	v_fma_f64 v[36:37], -v[114:115], v[38:39], v[150:151]
	v_fmac_f64_e32 v[14:15], v[112:113], v[38:39]
	s_wait_xcnt 0x0
	v_add_nc_u64_e32 v[22:23], 0x2000, v[22:23]
	v_fma_f64 v[90:91], -v[90:91], v[38:39], v[148:149]
	v_fmac_f64_e32 v[16:17], v[88:89], v[38:39]
	v_fma_f64 v[24:25], -v[94:95], v[38:39], v[24:25]
	v_fmac_f64_e32 v[12:13], v[92:93], v[38:39]
	s_wait_loadcnt 0xd
	v_fmac_f64_e32 v[32:33], v[128:129], v[140:141]
	v_fmac_f64_e32 v[10:11], v[130:131], v[140:141]
	;; [unrolled: 1-line block ×8, first 2 shown]
	v_fma_f64 v[32:33], -v[130:131], v[142:143], v[32:33]
	v_fmac_f64_e32 v[10:11], v[128:129], v[142:143]
	v_fma_f64 v[36:37], -v[102:103], v[142:143], v[36:37]
	v_fmac_f64_e32 v[14:15], v[100:101], v[142:143]
	;; [unrolled: 2-line block ×4, first 2 shown]
	s_wait_loadcnt 0xa
	v_fmac_f64_e32 v[32:33], v[48:49], v[80:81]
	v_fmac_f64_e32 v[10:11], v[50:51], v[80:81]
	;; [unrolled: 1-line block ×8, first 2 shown]
	v_fma_f64 v[32:33], -v[50:51], v[82:83], v[32:33]
	v_fmac_f64_e32 v[10:11], v[48:49], v[82:83]
	v_fma_f64 v[30:31], -v[30:31], v[82:83], v[36:37]
	v_fmac_f64_e32 v[14:15], v[28:29], v[82:83]
	;; [unrolled: 2-line block ×4, first 2 shown]
	v_fmac_f64_e32 v[32:33], v[40:41], v[76:77]
	v_fmac_f64_e32 v[10:11], v[42:43], v[76:77]
	;; [unrolled: 1-line block ×8, first 2 shown]
	v_fma_f64 v[32:33], -v[42:43], v[78:79], v[32:33]
	v_fmac_f64_e32 v[10:11], v[40:41], v[78:79]
	v_fma_f64 v[30:31], -v[134:135], v[78:79], v[30:31]
	v_fmac_f64_e32 v[14:15], v[132:133], v[78:79]
	;; [unrolled: 2-line block ×4, first 2 shown]
	s_wait_loadcnt 0x4
	v_fmac_f64_e32 v[32:33], v[96:97], v[144:145]
	v_fmac_f64_e32 v[10:11], v[98:99], v[144:145]
	;; [unrolled: 1-line block ×8, first 2 shown]
	v_fma_f64 v[32:33], -v[98:99], v[146:147], v[32:33]
	v_fmac_f64_e32 v[10:11], v[96:97], v[146:147]
	v_fma_f64 v[30:31], -v[66:67], v[146:147], v[30:31]
	v_fmac_f64_e32 v[14:15], v[64:65], v[146:147]
	v_fma_f64 v[28:29], -v[62:63], v[146:147], v[28:29]
	v_fmac_f64_e32 v[16:17], v[60:61], v[146:147]
	v_fma_f64 v[24:25], -v[58:59], v[146:147], v[24:25]
	v_fmac_f64_e32 v[12:13], v[56:57], v[146:147]
	s_wait_loadcnt 0x1
	v_fmac_f64_e32 v[32:33], v[72:73], v[68:69]
	v_fmac_f64_e32 v[10:11], v[74:75], v[68:69]
	;; [unrolled: 1-line block ×6, first 2 shown]
	s_wait_loadcnt 0x0
	v_fmac_f64_e32 v[24:25], v[108:109], v[68:69]
	v_fmac_f64_e32 v[12:13], v[110:111], v[68:69]
	v_fma_f64 v[32:33], -v[74:75], v[70:71], v[32:33]
	v_fmac_f64_e32 v[10:11], v[72:73], v[70:71]
	v_fma_f64 v[30:31], -v[46:47], v[70:71], v[30:31]
	v_fmac_f64_e32 v[14:15], v[44:45], v[70:71]
	v_fma_f64 v[28:29], -v[54:55], v[70:71], v[28:29]
	v_fmac_f64_e32 v[16:17], v[52:53], v[70:71]
	v_fma_f64 v[24:25], -v[110:111], v[70:71], v[24:25]
	v_fmac_f64_e32 v[12:13], v[108:109], v[70:71]
	s_and_not1_b32 exec_lo, exec_lo, s6
	s_cbranch_execnz .LBB36_31
; %bb.32:
	s_or_b32 exec_lo, exec_lo, s6
.LBB36_33:
	s_delay_alu instid0(SALU_CYCLE_1)
	s_or_b32 exec_lo, exec_lo, s2
.LBB36_34:
	s_delay_alu instid0(SALU_CYCLE_1)
	s_or_b32 exec_lo, exec_lo, s3
.LBB36_35:
	v_mbcnt_lo_u32_b32 v1, -1, 0
	s_delay_alu instid0(VALU_DEP_1) | instskip(NEXT) | instid1(VALU_DEP_1)
	v_xor_b32_e32 v18, 4, v1
	v_cmp_gt_i32_e32 vcc_lo, 32, v18
	v_cndmask_b32_e32 v18, v1, v18, vcc_lo
	s_delay_alu instid0(VALU_DEP_1)
	v_lshlrev_b32_e32 v27, 2, v18
	ds_bpermute_b32 v36, v27, v28
	ds_bpermute_b32 v37, v27, v29
	s_wait_dscnt 0x0
	v_add_f64_e32 v[28:29], v[28:29], v[36:37]
	ds_bpermute_b32 v20, v27, v10
	ds_bpermute_b32 v21, v27, v11
	;; [unrolled: 1-line block ×14, first 2 shown]
	s_wait_dscnt 0xc
	v_add_f64_e32 v[20:21], v[10:11], v[20:21]
	s_wait_dscnt 0xa
	v_dual_add_f64 v[22:23], v[30:31], v[22:23] :: v_dual_bitop2_b32 v10, 2, v1 bitop3:0x14
	s_wait_dscnt 0x8
	v_add_f64_e32 v[18:19], v[32:33], v[18:19]
	s_delay_alu instid0(VALU_DEP_2)
	v_cmp_gt_i32_e32 vcc_lo, 32, v10
	s_wait_dscnt 0x6
	v_add_f64_e32 v[14:15], v[14:15], v[34:35]
	s_wait_dscnt 0x2
	v_add_f64_e32 v[34:35], v[12:13], v[42:43]
	v_cndmask_b32_e32 v10, v1, v10, vcc_lo
	s_delay_alu instid0(VALU_DEP_1)
	v_dual_add_f64 v[32:33], v[24:25], v[40:41] :: v_dual_lshlrev_b32 v27, 2, v10
	ds_bpermute_b32 v12, v27, v20
	ds_bpermute_b32 v13, v27, v21
	;; [unrolled: 1-line block ×10, first 2 shown]
	s_wait_dscnt 0x8
	v_add_f64_e32 v[30:31], v[20:21], v[12:13]
	s_wait_dscnt 0x6
	v_add_f64_e32 v[12:13], v[22:23], v[24:25]
	v_xor_b32_e32 v22, 1, v1
	ds_bpermute_b32 v36, v27, v14
	ds_bpermute_b32 v37, v27, v15
	s_wait_dscnt 0x6
	v_add_f64_e32 v[10:11], v[18:19], v[10:11]
	v_cmp_gt_i32_e32 vcc_lo, 32, v22
	s_wait_dscnt 0x4
	v_dual_add_f64 v[18:19], v[34:35], v[44:45] :: v_dual_cndmask_b32 v1, v1, v22, vcc_lo
	v_add_f64_e32 v[16:17], v[16:17], v[38:39]
	ds_bpermute_b32 v38, v27, v28
	ds_bpermute_b32 v39, v27, v29
	v_cmp_eq_u32_e32 vcc_lo, 7, v0
	v_lshlrev_b32_e32 v1, 2, v1
	s_wait_dscnt 0x2
	v_add_f64_e32 v[24:25], v[14:15], v[36:37]
	s_wait_dscnt 0x0
	v_add_f64_e32 v[14:15], v[28:29], v[38:39]
	ds_bpermute_b32 v28, v1, v12
	ds_bpermute_b32 v22, v1, v10
	;; [unrolled: 1-line block ×8, first 2 shown]
	s_wait_dscnt 0x0
	v_add_f64_e32 v[20:21], v[16:17], v[40:41]
	v_add_f64_e32 v[16:17], v[32:33], v[42:43]
	ds_bpermute_b32 v42, v1, v30
	ds_bpermute_b32 v43, v1, v31
	;; [unrolled: 1-line block ×10, first 2 shown]
	s_and_b32 exec_lo, exec_lo, vcc_lo
	s_cbranch_execz .LBB36_8
; %bb.36:
	s_wait_dscnt 0x8
	v_add_f64_e32 v[0:1], v[30:31], v[42:43]
	s_wait_dscnt 0x6
	v_add_f64_e32 v[30:31], v[24:25], v[40:41]
	s_wait_dscnt 0x2
	v_add_f64_e32 v[38:39], v[20:21], v[38:39]
	v_add_f64_e32 v[36:37], v[18:19], v[36:37]
	v_add_f64_e32 v[40:41], v[10:11], v[22:23]
	;; [unrolled: 1-line block ×4, first 2 shown]
	s_wait_dscnt 0x0
	v_add_f64_e32 v[34:35], v[16:17], v[34:35]
	v_cmp_eq_f64_e32 vcc_lo, 0, v[2:3]
	v_cmp_eq_f64_e64 s2, 0, v[4:5]
	s_load_b64 s[0:1], s[0:1], 0x60
	v_mul_f64_e64 v[22:23], v[0:1], -v[8:9]
	v_mul_f64_e32 v[24:25], v[6:7], v[0:1]
	v_mul_f64_e64 v[14:15], v[38:39], -v[8:9]
	v_mul_f64_e32 v[16:17], v[6:7], v[38:39]
	v_mul_f64_e64 v[10:11], v[36:37], -v[8:9]
	v_dual_mul_f64 v[12:13], v[6:7], v[36:37] :: v_dual_lshlrev_b32 v0, 2, v26
	v_mul_f64_e64 v[18:19], v[30:31], -v[8:9]
	v_mul_f64_e32 v[20:21], v[6:7], v[30:31]
	s_and_b32 s2, vcc_lo, s2
	v_fmac_f64_e32 v[22:23], v[6:7], v[40:41]
	v_fmac_f64_e32 v[24:25], v[8:9], v[40:41]
	;; [unrolled: 1-line block ×8, first 2 shown]
	s_and_saveexec_b32 s3, s2
	s_delay_alu instid0(SALU_CYCLE_1)
	s_xor_b32 s2, exec_lo, s3
	s_cbranch_execz .LBB36_38
; %bb.37:
	s_wait_kmcnt 0x0
	s_clause 0x3
	global_store_b128 v0, v[22:25], s[0:1] scale_offset
	global_store_b128 v0, v[18:21], s[0:1] offset:16 scale_offset
	global_store_b128 v0, v[14:17], s[0:1] offset:32 scale_offset
	;; [unrolled: 1-line block ×3, first 2 shown]
                                        ; implicit-def: $vgpr4_vgpr5
                                        ; implicit-def: $vgpr22_vgpr23
                                        ; implicit-def: $vgpr0
                                        ; implicit-def: $vgpr18_vgpr19
                                        ; implicit-def: $vgpr14_vgpr15
                                        ; implicit-def: $vgpr10_vgpr11
.LBB36_38:
	s_wait_xcnt 0x0
	s_and_not1_saveexec_b32 s2, s2
	s_cbranch_execz .LBB36_8
; %bb.39:
	s_wait_kmcnt 0x0
	s_clause 0x3
	global_load_b128 v[6:9], v0, s[0:1] scale_offset
	global_load_b128 v[26:29], v0, s[0:1] offset:16 scale_offset
	global_load_b128 v[30:33], v0, s[0:1] offset:32 scale_offset
	;; [unrolled: 1-line block ×3, first 2 shown]
	s_wait_loadcnt 0x3
	v_fmac_f64_e32 v[22:23], v[2:3], v[6:7]
	v_fmac_f64_e32 v[24:25], v[4:5], v[6:7]
	s_wait_loadcnt 0x2
	v_fmac_f64_e32 v[18:19], v[2:3], v[26:27]
	v_fmac_f64_e32 v[20:21], v[4:5], v[26:27]
	;; [unrolled: 3-line block ×4, first 2 shown]
	v_fma_f64 v[22:23], -v[4:5], v[8:9], v[22:23]
	v_fmac_f64_e32 v[24:25], v[2:3], v[8:9]
	v_fma_f64 v[18:19], -v[4:5], v[28:29], v[18:19]
	v_fmac_f64_e32 v[20:21], v[2:3], v[28:29]
	;; [unrolled: 2-line block ×4, first 2 shown]
	s_clause 0x3
	global_store_b128 v0, v[22:25], s[0:1] scale_offset
	global_store_b128 v0, v[18:21], s[0:1] offset:16 scale_offset
	global_store_b128 v0, v[14:17], s[0:1] offset:32 scale_offset
	global_store_b128 v0, v[10:13], s[0:1] offset:48 scale_offset
	s_sendmsg sendmsg(MSG_DEALLOC_VGPRS)
	s_endpgm
	.section	.rodata,"a",@progbits
	.p2align	6, 0x0
	.amdhsa_kernel _ZN9rocsparseL18bsrxmvn_4x4_kernelILj128ELj8E21rocsparse_complex_numIdEliS2_S2_S2_EEvT3_20rocsparse_direction_NS_24const_host_device_scalarIT1_EES3_PKS3_PKT2_SC_S9_PKT4_PKT5_S7_PT6_21rocsparse_index_base_b
		.amdhsa_group_segment_fixed_size 0
		.amdhsa_private_segment_fixed_size 0
		.amdhsa_kernarg_size 112
		.amdhsa_user_sgpr_count 2
		.amdhsa_user_sgpr_dispatch_ptr 0
		.amdhsa_user_sgpr_queue_ptr 0
		.amdhsa_user_sgpr_kernarg_segment_ptr 1
		.amdhsa_user_sgpr_dispatch_id 0
		.amdhsa_user_sgpr_kernarg_preload_length 0
		.amdhsa_user_sgpr_kernarg_preload_offset 0
		.amdhsa_user_sgpr_private_segment_size 0
		.amdhsa_wavefront_size32 1
		.amdhsa_uses_dynamic_stack 0
		.amdhsa_enable_private_segment 0
		.amdhsa_system_sgpr_workgroup_id_x 1
		.amdhsa_system_sgpr_workgroup_id_y 0
		.amdhsa_system_sgpr_workgroup_id_z 0
		.amdhsa_system_sgpr_workgroup_info 0
		.amdhsa_system_vgpr_workitem_id 0
		.amdhsa_next_free_vgpr 177
		.amdhsa_next_free_sgpr 14
		.amdhsa_named_barrier_count 0
		.amdhsa_reserve_vcc 1
		.amdhsa_float_round_mode_32 0
		.amdhsa_float_round_mode_16_64 0
		.amdhsa_float_denorm_mode_32 3
		.amdhsa_float_denorm_mode_16_64 3
		.amdhsa_fp16_overflow 0
		.amdhsa_memory_ordered 1
		.amdhsa_forward_progress 1
		.amdhsa_inst_pref_size 67
		.amdhsa_round_robin_scheduling 0
		.amdhsa_exception_fp_ieee_invalid_op 0
		.amdhsa_exception_fp_denorm_src 0
		.amdhsa_exception_fp_ieee_div_zero 0
		.amdhsa_exception_fp_ieee_overflow 0
		.amdhsa_exception_fp_ieee_underflow 0
		.amdhsa_exception_fp_ieee_inexact 0
		.amdhsa_exception_int_div_zero 0
	.end_amdhsa_kernel
	.section	.text._ZN9rocsparseL18bsrxmvn_4x4_kernelILj128ELj8E21rocsparse_complex_numIdEliS2_S2_S2_EEvT3_20rocsparse_direction_NS_24const_host_device_scalarIT1_EES3_PKS3_PKT2_SC_S9_PKT4_PKT5_S7_PT6_21rocsparse_index_base_b,"axG",@progbits,_ZN9rocsparseL18bsrxmvn_4x4_kernelILj128ELj8E21rocsparse_complex_numIdEliS2_S2_S2_EEvT3_20rocsparse_direction_NS_24const_host_device_scalarIT1_EES3_PKS3_PKT2_SC_S9_PKT4_PKT5_S7_PT6_21rocsparse_index_base_b,comdat
.Lfunc_end36:
	.size	_ZN9rocsparseL18bsrxmvn_4x4_kernelILj128ELj8E21rocsparse_complex_numIdEliS2_S2_S2_EEvT3_20rocsparse_direction_NS_24const_host_device_scalarIT1_EES3_PKS3_PKT2_SC_S9_PKT4_PKT5_S7_PT6_21rocsparse_index_base_b, .Lfunc_end36-_ZN9rocsparseL18bsrxmvn_4x4_kernelILj128ELj8E21rocsparse_complex_numIdEliS2_S2_S2_EEvT3_20rocsparse_direction_NS_24const_host_device_scalarIT1_EES3_PKS3_PKT2_SC_S9_PKT4_PKT5_S7_PT6_21rocsparse_index_base_b
                                        ; -- End function
	.set _ZN9rocsparseL18bsrxmvn_4x4_kernelILj128ELj8E21rocsparse_complex_numIdEliS2_S2_S2_EEvT3_20rocsparse_direction_NS_24const_host_device_scalarIT1_EES3_PKS3_PKT2_SC_S9_PKT4_PKT5_S7_PT6_21rocsparse_index_base_b.num_vgpr, 177
	.set _ZN9rocsparseL18bsrxmvn_4x4_kernelILj128ELj8E21rocsparse_complex_numIdEliS2_S2_S2_EEvT3_20rocsparse_direction_NS_24const_host_device_scalarIT1_EES3_PKS3_PKT2_SC_S9_PKT4_PKT5_S7_PT6_21rocsparse_index_base_b.num_agpr, 0
	.set _ZN9rocsparseL18bsrxmvn_4x4_kernelILj128ELj8E21rocsparse_complex_numIdEliS2_S2_S2_EEvT3_20rocsparse_direction_NS_24const_host_device_scalarIT1_EES3_PKS3_PKT2_SC_S9_PKT4_PKT5_S7_PT6_21rocsparse_index_base_b.numbered_sgpr, 14
	.set _ZN9rocsparseL18bsrxmvn_4x4_kernelILj128ELj8E21rocsparse_complex_numIdEliS2_S2_S2_EEvT3_20rocsparse_direction_NS_24const_host_device_scalarIT1_EES3_PKS3_PKT2_SC_S9_PKT4_PKT5_S7_PT6_21rocsparse_index_base_b.num_named_barrier, 0
	.set _ZN9rocsparseL18bsrxmvn_4x4_kernelILj128ELj8E21rocsparse_complex_numIdEliS2_S2_S2_EEvT3_20rocsparse_direction_NS_24const_host_device_scalarIT1_EES3_PKS3_PKT2_SC_S9_PKT4_PKT5_S7_PT6_21rocsparse_index_base_b.private_seg_size, 0
	.set _ZN9rocsparseL18bsrxmvn_4x4_kernelILj128ELj8E21rocsparse_complex_numIdEliS2_S2_S2_EEvT3_20rocsparse_direction_NS_24const_host_device_scalarIT1_EES3_PKS3_PKT2_SC_S9_PKT4_PKT5_S7_PT6_21rocsparse_index_base_b.uses_vcc, 1
	.set _ZN9rocsparseL18bsrxmvn_4x4_kernelILj128ELj8E21rocsparse_complex_numIdEliS2_S2_S2_EEvT3_20rocsparse_direction_NS_24const_host_device_scalarIT1_EES3_PKS3_PKT2_SC_S9_PKT4_PKT5_S7_PT6_21rocsparse_index_base_b.uses_flat_scratch, 0
	.set _ZN9rocsparseL18bsrxmvn_4x4_kernelILj128ELj8E21rocsparse_complex_numIdEliS2_S2_S2_EEvT3_20rocsparse_direction_NS_24const_host_device_scalarIT1_EES3_PKS3_PKT2_SC_S9_PKT4_PKT5_S7_PT6_21rocsparse_index_base_b.has_dyn_sized_stack, 0
	.set _ZN9rocsparseL18bsrxmvn_4x4_kernelILj128ELj8E21rocsparse_complex_numIdEliS2_S2_S2_EEvT3_20rocsparse_direction_NS_24const_host_device_scalarIT1_EES3_PKS3_PKT2_SC_S9_PKT4_PKT5_S7_PT6_21rocsparse_index_base_b.has_recursion, 0
	.set _ZN9rocsparseL18bsrxmvn_4x4_kernelILj128ELj8E21rocsparse_complex_numIdEliS2_S2_S2_EEvT3_20rocsparse_direction_NS_24const_host_device_scalarIT1_EES3_PKS3_PKT2_SC_S9_PKT4_PKT5_S7_PT6_21rocsparse_index_base_b.has_indirect_call, 0
	.section	.AMDGPU.csdata,"",@progbits
; Kernel info:
; codeLenInByte = 8572
; TotalNumSgprs: 16
; NumVgprs: 177
; ScratchSize: 0
; MemoryBound: 1
; FloatMode: 240
; IeeeMode: 1
; LDSByteSize: 0 bytes/workgroup (compile time only)
; SGPRBlocks: 0
; VGPRBlocks: 11
; NumSGPRsForWavesPerEU: 16
; NumVGPRsForWavesPerEU: 177
; NamedBarCnt: 0
; Occupancy: 5
; WaveLimiterHint : 1
; COMPUTE_PGM_RSRC2:SCRATCH_EN: 0
; COMPUTE_PGM_RSRC2:USER_SGPR: 2
; COMPUTE_PGM_RSRC2:TRAP_HANDLER: 0
; COMPUTE_PGM_RSRC2:TGID_X_EN: 1
; COMPUTE_PGM_RSRC2:TGID_Y_EN: 0
; COMPUTE_PGM_RSRC2:TGID_Z_EN: 0
; COMPUTE_PGM_RSRC2:TIDIG_COMP_CNT: 0
	.section	.text._ZN9rocsparseL18bsrxmvn_4x4_kernelILj128ELj16E21rocsparse_complex_numIdEliS2_S2_S2_EEvT3_20rocsparse_direction_NS_24const_host_device_scalarIT1_EES3_PKS3_PKT2_SC_S9_PKT4_PKT5_S7_PT6_21rocsparse_index_base_b,"axG",@progbits,_ZN9rocsparseL18bsrxmvn_4x4_kernelILj128ELj16E21rocsparse_complex_numIdEliS2_S2_S2_EEvT3_20rocsparse_direction_NS_24const_host_device_scalarIT1_EES3_PKS3_PKT2_SC_S9_PKT4_PKT5_S7_PT6_21rocsparse_index_base_b,comdat
	.globl	_ZN9rocsparseL18bsrxmvn_4x4_kernelILj128ELj16E21rocsparse_complex_numIdEliS2_S2_S2_EEvT3_20rocsparse_direction_NS_24const_host_device_scalarIT1_EES3_PKS3_PKT2_SC_S9_PKT4_PKT5_S7_PT6_21rocsparse_index_base_b ; -- Begin function _ZN9rocsparseL18bsrxmvn_4x4_kernelILj128ELj16E21rocsparse_complex_numIdEliS2_S2_S2_EEvT3_20rocsparse_direction_NS_24const_host_device_scalarIT1_EES3_PKS3_PKT2_SC_S9_PKT4_PKT5_S7_PT6_21rocsparse_index_base_b
	.p2align	8
	.type	_ZN9rocsparseL18bsrxmvn_4x4_kernelILj128ELj16E21rocsparse_complex_numIdEliS2_S2_S2_EEvT3_20rocsparse_direction_NS_24const_host_device_scalarIT1_EES3_PKS3_PKT2_SC_S9_PKT4_PKT5_S7_PT6_21rocsparse_index_base_b,@function
_ZN9rocsparseL18bsrxmvn_4x4_kernelILj128ELj16E21rocsparse_complex_numIdEliS2_S2_S2_EEvT3_20rocsparse_direction_NS_24const_host_device_scalarIT1_EES3_PKS3_PKT2_SC_S9_PKT4_PKT5_S7_PT6_21rocsparse_index_base_b: ; @_ZN9rocsparseL18bsrxmvn_4x4_kernelILj128ELj16E21rocsparse_complex_numIdEliS2_S2_S2_EEvT3_20rocsparse_direction_NS_24const_host_device_scalarIT1_EES3_PKS3_PKT2_SC_S9_PKT4_PKT5_S7_PT6_21rocsparse_index_base_b
; %bb.0:
	s_clause 0x1
	s_load_b64 s[12:13], s[0:1], 0x68
	s_load_b64 s[2:3], s[0:1], 0x8
	v_mov_b32_e32 v1, 0
	s_add_nc_u64 s[4:5], s[0:1], 8
	s_load_b64 s[6:7], s[0:1], 0x50
	s_wait_kmcnt 0x0
	s_bitcmp1_b32 s13, 0
	s_cselect_b32 s3, s5, s3
	s_cselect_b32 s2, s4, s2
	flat_load_b128 v[6:9], v1, s[2:3]
	s_wait_xcnt 0x0
	s_add_nc_u64 s[2:3], s[0:1], 0x50
	s_delay_alu instid0(SALU_CYCLE_1)
	s_cselect_b32 s3, s3, s7
	s_cselect_b32 s2, s2, s6
	flat_load_b128 v[2:5], v1, s[2:3]
	s_wait_loadcnt_dscnt 0x101
	v_cmp_eq_f64_e32 vcc_lo, 0, v[6:7]
	s_wait_xcnt 0x0
	v_cmp_eq_f64_e64 s2, 0, v[8:9]
	s_and_b32 s4, vcc_lo, s2
	s_mov_b32 s2, -1
	s_and_saveexec_b32 s3, s4
	s_cbranch_execz .LBB37_2
; %bb.1:
	s_wait_loadcnt_dscnt 0x0
	v_cmp_neq_f64_e32 vcc_lo, 1.0, v[2:3]
	v_cmp_neq_f64_e64 s2, 0, v[4:5]
	s_or_b32 s2, vcc_lo, s2
	s_delay_alu instid0(SALU_CYCLE_1)
	s_or_not1_b32 s2, s2, exec_lo
.LBB37_2:
	s_or_b32 exec_lo, exec_lo, s3
	s_and_saveexec_b32 s3, s2
	s_cbranch_execz .LBB37_8
; %bb.3:
	s_clause 0x1
	s_load_b64 s[4:5], s[0:1], 0x20
	s_load_b64 s[2:3], s[0:1], 0x0
	s_bfe_u32 s6, ttmp6, 0x4000c
	s_and_b32 s7, ttmp6, 15
	s_add_co_i32 s6, s6, 1
	s_getreg_b32 s8, hwreg(HW_REG_IB_STS2, 6, 4)
	s_mul_i32 s6, ttmp9, s6
	v_lshrrev_b32_e32 v1, 4, v0
	s_add_co_i32 s7, s7, s6
	s_cmp_eq_u32 s8, 0
	s_cselect_b32 s6, ttmp9, s7
	s_delay_alu instid0(VALU_DEP_1) | instid1(SALU_CYCLE_1)
	v_lshl_or_b32 v26, s6, 3, v1
	s_mov_b32 s6, 0
	s_wait_kmcnt 0x0
	s_cmp_lg_u64 s[4:5], 0
	s_cbranch_scc0 .LBB37_9
; %bb.4:
	s_load_b32 s6, s[0:1], 0x18
	s_mov_b32 s7, 0
                                        ; implicit-def: $vgpr1
	s_wait_kmcnt 0x0
	v_cmp_gt_i32_e32 vcc_lo, s6, v26
	s_mov_b32 s6, 0
	s_and_saveexec_b32 s8, vcc_lo
	s_delay_alu instid0(SALU_CYCLE_1)
	s_xor_b32 s8, exec_lo, s8
	s_cbranch_execz .LBB37_6
; %bb.5:
	global_load_b32 v1, v26, s[4:5] scale_offset
	s_mov_b32 s6, exec_lo
	s_wait_loadcnt 0x0
	v_subrev_nc_u32_e32 v1, s12, v1
.LBB37_6:
	s_or_b32 exec_lo, exec_lo, s8
	s_delay_alu instid0(SALU_CYCLE_1)
	s_and_b32 vcc_lo, exec_lo, s7
	s_cbranch_vccz .LBB37_10
.LBB37_7:
	v_cmp_gt_i32_e32 vcc_lo, s2, v26
	s_and_not1_b32 s2, s6, exec_lo
	s_and_b32 s4, vcc_lo, exec_lo
	s_delay_alu instid0(SALU_CYCLE_1) | instskip(NEXT) | instid1(SALU_CYCLE_1)
	s_or_b32 s6, s2, s4
	s_and_b32 exec_lo, exec_lo, s6
	s_cbranch_execnz .LBB37_11
.LBB37_8:
	s_sendmsg sendmsg(MSG_DEALLOC_VGPRS)
	s_endpgm
.LBB37_9:
                                        ; implicit-def: $vgpr1
	s_cbranch_execnz .LBB37_7
.LBB37_10:
	s_delay_alu instid0(VALU_DEP_1)
	v_mov_b32_e32 v26, v1
	s_and_b32 exec_lo, exec_lo, s6
	s_cbranch_execz .LBB37_8
.LBB37_11:
	s_load_b256 s[4:11], s[0:1], 0x28
	s_mov_b32 s13, 0
	v_dual_mov_b32 v1, 0 :: v_dual_bitop2_b32 v0, 15, v0 bitop3:0x40
	s_wait_kmcnt 0x0
	s_cmp_eq_u64 s[6:7], 0
	global_load_b64 v[34:35], v26, s[4:5] scale_offset
	s_cselect_b32 vcc_lo, -1, 0
	v_ashrrev_i32_e32 v27, 31, v26
	s_cmp_eq_u32 s3, 1
	s_delay_alu instid0(VALU_DEP_1) | instskip(NEXT) | instid1(VALU_DEP_1)
	v_lshlrev_b64_e32 v[10:11], 3, v[26:27]
	v_add_nc_u64_e32 v[12:13], s[4:5], v[10:11]
	v_add_nc_u64_e32 v[10:11], s[6:7], v[10:11]
	s_wait_xcnt 0x0
	s_load_b64 s[4:5], s[0:1], 0x48
	s_delay_alu instid0(VALU_DEP_2) | instskip(NEXT) | instid1(VALU_DEP_1)
	v_add_nc_u64_e32 v[12:13], 8, v[12:13]
	v_dual_cndmask_b32 v11, v11, v13 :: v_dual_cndmask_b32 v10, v10, v12
	global_load_b64 v[10:11], v[10:11], off
	s_wait_loadcnt 0x1
	v_sub_nc_u64_e64 v[12:13], v[34:35], s[12:13]
	s_delay_alu instid0(VALU_DEP_1) | instskip(NEXT) | instid1(VALU_DEP_1)
	v_add_nc_u64_e32 v[18:19], v[12:13], v[0:1]
	v_lshlrev_b64_e32 v[12:13], 8, v[18:19]
	s_delay_alu instid0(VALU_DEP_1) | instskip(SKIP_2) | instid1(VALU_DEP_1)
	v_add_nc_u64_e32 v[22:23], s[10:11], v[12:13]
	s_wait_loadcnt 0x0
	v_sub_nc_u64_e64 v[20:21], v[10:11], s[12:13]
	v_cmp_lt_i64_e64 s2, v[18:19], v[20:21]
	s_cbranch_scc1 .LBB37_23
; %bb.12:
	v_mov_b64_e32 v[10:11], 0
	v_mov_b64_e32 v[32:33], 0
	;; [unrolled: 1-line block ×8, first 2 shown]
	s_and_saveexec_b32 s3, s2
	s_cbranch_execz .LBB37_22
; %bb.13:
	v_dual_mov_b32 v11, v1 :: v_dual_bitop2_b32 v10, 16, v0 bitop3:0x54
	v_sub_nc_u64_e32 v[12:13], s[12:13], v[0:1]
	v_not_b32_e32 v15, v35
	v_not_b32_e32 v14, v34
	v_mov_b64_e32 v[30:31], 0
	v_sub_nc_u64_e64 v[10:11], v[10:11], s[12:13]
	v_mov_b64_e32 v[16:17], 0
	v_mov_b64_e32 v[28:29], 0
	v_add_nc_u64_e32 v[12:13], v[12:13], v[14:15]
	v_mov_b64_e32 v[14:15], 0
	v_mov_b64_e32 v[24:25], 0
	;; [unrolled: 1-line block ×3, first 2 shown]
	v_add_nc_u64_e32 v[10:11], v[10:11], v[34:35]
	v_mov_b64_e32 v[36:37], v[22:23]
	v_mov_b64_e32 v[38:39], v[18:19]
	s_mov_b32 s6, exec_lo
	s_delay_alu instid0(VALU_DEP_3) | instskip(NEXT) | instid1(VALU_DEP_1)
	v_max_i64 v[10:11], v[10:11], v[20:21]
	v_add_nc_u64_e32 v[40:41], v[12:13], v[10:11]
	v_mov_b64_e32 v[12:13], 0
	v_mov_b64_e32 v[10:11], 0
	s_delay_alu instid0(VALU_DEP_3) | instskip(NEXT) | instid1(VALU_DEP_1)
	v_dual_mov_b32 v45, 0 :: v_dual_bitop2_b32 v44, 48, v40 bitop3:0x40
	v_cmpx_ne_u64_e32 48, v[44:45]
	s_cbranch_execz .LBB37_17
; %bb.14:
	v_lshrrev_b32_e32 v10, 4, v40
	v_mov_b64_e32 v[32:33], 0
	v_mov_b64_e32 v[24:25], 0
	;; [unrolled: 1-line block ×4, first 2 shown]
	v_add_nc_u32_e32 v12, 1, v10
	v_mov_b64_e32 v[10:11], 0
	v_mov_b64_e32 v[30:31], 0
	;; [unrolled: 1-line block ×4, first 2 shown]
	v_and_b32_e32 v44, 3, v12
	v_mov_b64_e32 v[12:13], 0
	v_mov_b64_e32 v[36:37], v[22:23]
	v_lshl_add_u64 v[42:43], v[18:19], 2, s[8:9]
	s_mov_b32 s7, 0
	v_sub_nc_u64_e32 v[44:45], 0, v[44:45]
.LBB37_15:                              ; =>This Inner Loop Header: Depth=1
	global_load_b32 v27, v[42:43], off
	s_clause 0x6
	global_load_b128 v[46:49], v[36:37], off offset:16
	global_load_b128 v[50:53], v[36:37], off
	global_load_b128 v[54:57], v[36:37], off offset:80
	global_load_b128 v[58:61], v[36:37], off offset:64
	;; [unrolled: 1-line block ×5, first 2 shown]
	v_add_nc_u64_e32 v[44:45], 1, v[44:45]
	v_add_nc_u64_e32 v[38:39], 16, v[38:39]
	s_wait_xcnt 0x7
	v_add_nc_u64_e32 v[42:43], 64, v[42:43]
	s_delay_alu instid0(VALU_DEP_3) | instskip(SKIP_3) | instid1(VALU_DEP_1)
	v_cmp_eq_u64_e32 vcc_lo, 0, v[44:45]
	s_or_b32 s7, vcc_lo, s7
	s_wait_loadcnt 0x7
	v_subrev_nc_u32_e32 v27, s12, v27
	v_lshlrev_b32_e32 v27, 2, v27
	s_wait_kmcnt 0x0
	global_load_b128 v[74:77], v27, s[4:5] scale_offset
	global_load_b128 v[78:81], v[36:37], off offset:208
	global_load_b128 v[82:85], v27, s[4:5] offset:16 scale_offset
	s_clause 0x6
	global_load_b128 v[86:89], v[36:37], off offset:48
	global_load_b128 v[90:93], v[36:37], off offset:32
	;; [unrolled: 1-line block ×7, first 2 shown]
	global_load_b128 v[114:117], v27, s[4:5] offset:32 scale_offset
	global_load_b128 v[118:121], v[36:37], off offset:240
	global_load_b128 v[122:125], v27, s[4:5] offset:48 scale_offset
	s_wait_xcnt 0x1
	v_add_nc_u64_e32 v[36:37], 0x1000, v[36:37]
	s_wait_loadcnt 0xc
	v_fmac_f64_e32 v[32:33], v[50:51], v[74:75]
	v_fmac_f64_e32 v[10:11], v[52:53], v[74:75]
	v_fmac_f64_e32 v[30:31], v[58:59], v[74:75]
	v_fmac_f64_e32 v[14:15], v[60:61], v[74:75]
	v_fmac_f64_e32 v[28:29], v[66:67], v[74:75]
	v_fmac_f64_e32 v[16:17], v[68:69], v[74:75]
	v_fmac_f64_e32 v[24:25], v[70:71], v[74:75]
	v_fmac_f64_e32 v[12:13], v[72:73], v[74:75]
	v_fma_f64 v[32:33], -v[52:53], v[76:77], v[32:33]
	v_fmac_f64_e32 v[10:11], v[50:51], v[76:77]
	v_fma_f64 v[30:31], -v[60:61], v[76:77], v[30:31]
	v_fmac_f64_e32 v[14:15], v[58:59], v[76:77]
	v_fma_f64 v[28:29], -v[68:69], v[76:77], v[28:29]
	v_fmac_f64_e32 v[16:17], v[66:67], v[76:77]
	v_fma_f64 v[24:25], -v[72:73], v[76:77], v[24:25]
	v_fmac_f64_e32 v[12:13], v[70:71], v[76:77]
	s_wait_loadcnt 0xa
	v_fmac_f64_e32 v[32:33], v[46:47], v[82:83]
	v_fmac_f64_e32 v[10:11], v[48:49], v[82:83]
	v_fmac_f64_e32 v[30:31], v[54:55], v[82:83]
	v_fmac_f64_e32 v[14:15], v[56:57], v[82:83]
	v_fmac_f64_e32 v[28:29], v[62:63], v[82:83]
	v_fmac_f64_e32 v[16:17], v[64:65], v[82:83]
	v_fmac_f64_e32 v[24:25], v[78:79], v[82:83]
	v_fmac_f64_e32 v[12:13], v[80:81], v[82:83]
	v_fma_f64 v[32:33], -v[48:49], v[84:85], v[32:33]
	v_fmac_f64_e32 v[10:11], v[46:47], v[84:85]
	v_fma_f64 v[30:31], -v[56:57], v[84:85], v[30:31]
	v_fmac_f64_e32 v[14:15], v[54:55], v[84:85]
	v_fma_f64 v[28:29], -v[64:65], v[84:85], v[28:29]
	v_fmac_f64_e32 v[16:17], v[62:63], v[84:85]
	v_fma_f64 v[24:25], -v[80:81], v[84:85], v[24:25]
	v_fmac_f64_e32 v[12:13], v[78:79], v[84:85]
	;; [unrolled: 17-line block ×4, first 2 shown]
	s_and_not1_b32 exec_lo, exec_lo, s7
	s_cbranch_execnz .LBB37_15
; %bb.16:
	s_or_b32 exec_lo, exec_lo, s7
.LBB37_17:
	s_delay_alu instid0(SALU_CYCLE_1) | instskip(NEXT) | instid1(SALU_CYCLE_1)
	s_or_b32 exec_lo, exec_lo, s6
	s_mov_b32 s6, exec_lo
	v_cmpx_lt_u64_e32 47, v[40:41]
	s_cbranch_execz .LBB37_21
; %bb.18:
	v_lshl_add_u64 v[40:41], v[38:39], 2, s[8:9]
	s_mov_b32 s7, 0
	s_delay_alu instid0(VALU_DEP_1)
	v_add_nc_u64_e32 v[40:41], 0x80, v[40:41]
.LBB37_19:                              ; =>This Inner Loop Header: Depth=1
	global_load_b32 v27, v[40:41], off offset:-128
	s_clause 0x15
	global_load_b128 v[42:45], v[36:37], off offset:48
	global_load_b128 v[46:49], v[36:37], off offset:32
	;; [unrolled: 1-line block ×3, first 2 shown]
	global_load_b128 v[54:57], v[36:37], off
	global_load_b128 v[58:61], v[36:37], off offset:112
	global_load_b128 v[62:65], v[36:37], off offset:96
	;; [unrolled: 1-line block ×18, first 2 shown]
	s_clause 0x2
	global_load_b32 v174, v[40:41], off offset:-64
	global_load_b32 v175, v[40:41], off
	global_load_b32 v176, v[40:41], off offset:64
	s_clause 0x7
	global_load_b128 v[130:133], v[36:37], off offset:4176
	global_load_b128 v[134:137], v[36:37], off offset:4160
	;; [unrolled: 1-line block ×8, first 2 shown]
	v_add_nc_u64_e32 v[38:39], 64, v[38:39]
	s_wait_xcnt 0x8
	v_add_nc_u64_e32 v[40:41], 0x100, v[40:41]
	s_delay_alu instid0(VALU_DEP_2) | instskip(SKIP_3) | instid1(VALU_DEP_1)
	v_cmp_ge_i64_e32 vcc_lo, v[38:39], v[20:21]
	s_or_b32 s7, vcc_lo, s7
	s_wait_loadcnt 0x21
	v_subrev_nc_u32_e32 v27, s12, v27
	v_lshlrev_b32_e32 v27, 2, v27
	s_wait_kmcnt 0x0
	s_clause 0x1
	global_load_b128 v[162:165], v27, s[4:5] scale_offset
	global_load_b128 v[166:169], v27, s[4:5] offset:16 scale_offset
	s_wait_loadcnt 0x1
	v_fmac_f64_e32 v[32:33], v[54:55], v[162:163]
	v_fmac_f64_e32 v[10:11], v[56:57], v[162:163]
	;; [unrolled: 1-line block ×8, first 2 shown]
	v_fma_f64 v[170:171], -v[56:57], v[164:165], v[32:33]
	v_fmac_f64_e32 v[10:11], v[54:55], v[164:165]
	v_fma_f64 v[172:173], -v[72:73], v[164:165], v[30:31]
	v_fmac_f64_e32 v[14:15], v[70:71], v[164:165]
	;; [unrolled: 2-line block ×4, first 2 shown]
	s_clause 0x4
	global_load_b128 v[54:57], v[36:37], off offset:4304
	global_load_b128 v[30:33], v[36:37], off offset:4288
	;; [unrolled: 1-line block ×5, first 2 shown]
	s_wait_loadcnt 0x5
	v_fmac_f64_e32 v[170:171], v[50:51], v[166:167]
	v_fmac_f64_e32 v[10:11], v[52:53], v[166:167]
	;; [unrolled: 1-line block ×8, first 2 shown]
	v_fma_f64 v[170:171], -v[52:53], v[168:169], v[170:171]
	v_fmac_f64_e32 v[10:11], v[50:51], v[168:169]
	global_load_b128 v[50:53], v[36:37], off offset:8192
	v_fma_f64 v[172:173], -v[68:69], v[168:169], v[172:173]
	v_fmac_f64_e32 v[14:15], v[66:67], v[168:169]
	global_load_b128 v[66:69], v[36:37], off offset:8304
	;; [unrolled: 3-line block ×3, first 2 shown]
	v_fma_f64 v[24:25], -v[100:101], v[168:169], v[24:25]
	v_fmac_f64_e32 v[12:13], v[98:99], v[168:169]
	s_clause 0x1
	global_load_b128 v[98:101], v27, s[4:5] offset:32 scale_offset
	global_load_b128 v[162:165], v27, s[4:5] offset:48 scale_offset
	s_wait_xcnt 0x0
	v_subrev_nc_u32_e32 v27, s12, v174
	s_delay_alu instid0(VALU_DEP_1)
	v_lshlrev_b32_e32 v27, 2, v27
	s_wait_loadcnt 0x1
	v_fmac_f64_e32 v[170:171], v[46:47], v[98:99]
	v_fmac_f64_e32 v[10:11], v[48:49], v[98:99]
	;; [unrolled: 1-line block ×8, first 2 shown]
	v_fma_f64 v[166:167], -v[48:49], v[100:101], v[170:171]
	v_fmac_f64_e32 v[10:11], v[46:47], v[100:101]
	v_fma_f64 v[168:169], -v[64:65], v[100:101], v[172:173]
	v_fmac_f64_e32 v[14:15], v[62:63], v[100:101]
	;; [unrolled: 2-line block ×4, first 2 shown]
	s_clause 0x4
	global_load_b128 v[46:49], v[36:37], off offset:8272
	global_load_b128 v[62:65], v[36:37], off offset:8256
	;; [unrolled: 1-line block ×5, first 2 shown]
	s_wait_loadcnt 0x5
	v_fmac_f64_e32 v[166:167], v[42:43], v[162:163]
	v_fmac_f64_e32 v[10:11], v[44:45], v[162:163]
	;; [unrolled: 1-line block ×8, first 2 shown]
	v_fma_f64 v[166:167], -v[44:45], v[164:165], v[166:167]
	v_fmac_f64_e32 v[10:11], v[42:43], v[164:165]
	global_load_b128 v[42:45], v[36:37], off offset:8320
	v_fma_f64 v[168:169], -v[60:61], v[164:165], v[168:169]
	v_fmac_f64_e32 v[14:15], v[58:59], v[164:165]
	global_load_b128 v[58:61], v[36:37], off offset:8432
	;; [unrolled: 3-line block ×3, first 2 shown]
	v_fma_f64 v[24:25], -v[92:93], v[164:165], v[24:25]
	v_fmac_f64_e32 v[12:13], v[90:91], v[164:165]
	s_clause 0x1
	global_load_b128 v[90:93], v27, s[4:5] scale_offset
	global_load_b128 v[162:165], v27, s[4:5] offset:16 scale_offset
	s_wait_loadcnt 0x1
	v_fmac_f64_e32 v[166:167], v[118:119], v[90:91]
	v_fmac_f64_e32 v[168:169], v[134:135], v[90:91]
	;; [unrolled: 1-line block ×8, first 2 shown]
	v_fma_f64 v[166:167], -v[120:121], v[92:93], v[166:167]
	v_fma_f64 v[168:169], -v[136:137], v[92:93], v[168:169]
	v_fmac_f64_e32 v[14:15], v[134:135], v[92:93]
	v_fmac_f64_e32 v[10:11], v[118:119], v[92:93]
	s_clause 0x1
	global_load_b128 v[118:121], v[36:37], off offset:8400
	global_load_b128 v[134:137], v[36:37], off offset:8384
	v_fma_f64 v[170:171], -v[152:153], v[92:93], v[28:29]
	v_fmac_f64_e32 v[16:17], v[150:151], v[92:93]
	global_load_b128 v[150:153], v[36:37], off offset:12304
	v_fma_f64 v[24:25], -v[32:33], v[92:93], v[24:25]
	v_fmac_f64_e32 v[12:13], v[30:31], v[92:93]
	s_clause 0x1
	global_load_b128 v[28:31], v[36:37], off offset:12288
	global_load_b128 v[90:93], v[36:37], off offset:12368
	s_wait_loadcnt 0x5
	v_fmac_f64_e32 v[166:167], v[114:115], v[162:163]
	v_fmac_f64_e32 v[168:169], v[130:131], v[162:163]
	;; [unrolled: 1-line block ×8, first 2 shown]
	v_fma_f64 v[32:33], -v[116:117], v[164:165], v[166:167]
	v_fma_f64 v[166:167], -v[132:133], v[164:165], v[168:169]
	v_fmac_f64_e32 v[14:15], v[130:131], v[164:165]
	global_load_b128 v[130:133], v27, s[4:5] offset:32 scale_offset
	v_fmac_f64_e32 v[10:11], v[114:115], v[164:165]
	global_load_b128 v[114:117], v[36:37], off offset:12352
	v_fma_f64 v[168:169], -v[148:149], v[164:165], v[170:171]
	v_fmac_f64_e32 v[16:17], v[146:147], v[164:165]
	global_load_b128 v[146:149], v27, s[4:5] offset:48 scale_offset
	s_wait_xcnt 0x0
	v_subrev_nc_u32_e32 v27, s12, v175
	v_fma_f64 v[24:25], -v[56:57], v[164:165], v[24:25]
	v_fmac_f64_e32 v[12:13], v[54:55], v[164:165]
	global_load_b128 v[54:57], v[36:37], off offset:12432
	v_lshlrev_b32_e32 v27, 2, v27
	global_load_b128 v[162:165], v27, s[4:5] scale_offset
	s_wait_loadcnt 0x4
	v_fmac_f64_e32 v[32:33], v[110:111], v[130:131]
	v_fmac_f64_e32 v[10:11], v[112:113], v[130:131]
	;; [unrolled: 1-line block ×8, first 2 shown]
	v_fma_f64 v[32:33], -v[112:113], v[132:133], v[32:33]
	v_fmac_f64_e32 v[10:11], v[110:111], v[132:133]
	global_load_b128 v[110:113], v27, s[4:5] offset:16 scale_offset
	v_fma_f64 v[168:169], -v[144:145], v[132:133], v[168:169]
	v_fmac_f64_e32 v[16:17], v[142:143], v[132:133]
	global_load_b128 v[142:145], v27, s[4:5] offset:32 scale_offset
	v_fma_f64 v[166:167], -v[128:129], v[132:133], v[166:167]
	v_fmac_f64_e32 v[14:15], v[126:127], v[132:133]
	global_load_b128 v[126:129], v[36:37], off offset:12416
	v_fma_f64 v[24:25], -v[160:161], v[132:133], v[24:25]
	v_fmac_f64_e32 v[12:13], v[158:159], v[132:133]
	global_load_b128 v[130:133], v[36:37], off offset:12496
	global_load_b128 v[158:161], v27, s[4:5] offset:48 scale_offset
	s_wait_xcnt 0x0
	v_subrev_nc_u32_e32 v27, s12, v176
	s_delay_alu instid0(VALU_DEP_1)
	v_lshlrev_b32_e32 v27, 2, v27
	s_wait_loadcnt 0x7
	v_fmac_f64_e32 v[32:33], v[106:107], v[146:147]
	v_fmac_f64_e32 v[10:11], v[108:109], v[146:147]
	;; [unrolled: 1-line block ×8, first 2 shown]
	v_fma_f64 v[32:33], -v[108:109], v[148:149], v[32:33]
	v_fmac_f64_e32 v[10:11], v[106:107], v[148:149]
	global_load_b128 v[106:109], v[36:37], off offset:12480
	v_fma_f64 v[168:169], -v[140:141], v[148:149], v[168:169]
	v_fmac_f64_e32 v[16:17], v[138:139], v[148:149]
	global_load_b128 v[138:141], v[36:37], off offset:12336
	v_fma_f64 v[166:167], -v[124:125], v[148:149], v[166:167]
	v_fmac_f64_e32 v[14:15], v[122:123], v[148:149]
	global_load_b128 v[122:125], v27, s[4:5] scale_offset
	v_fma_f64 v[24:25], -v[156:157], v[148:149], v[24:25]
	v_fmac_f64_e32 v[12:13], v[154:155], v[148:149]
	global_load_b128 v[146:149], v[36:37], off offset:12320
	global_load_b128 v[154:157], v27, s[4:5] offset:16 scale_offset
	s_wait_loadcnt 0xa
	v_fmac_f64_e32 v[32:33], v[50:51], v[162:163]
	v_fmac_f64_e32 v[10:11], v[52:53], v[162:163]
	;; [unrolled: 1-line block ×8, first 2 shown]
	v_fma_f64 v[32:33], -v[52:53], v[164:165], v[32:33]
	v_fmac_f64_e32 v[10:11], v[50:51], v[164:165]
	global_load_b128 v[50:53], v[36:37], off offset:12400
	v_fma_f64 v[168:169], -v[44:45], v[164:165], v[168:169]
	v_fmac_f64_e32 v[16:17], v[42:43], v[164:165]
	global_load_b128 v[42:45], v[36:37], off offset:12464
	;; [unrolled: 3-line block ×3, first 2 shown]
	v_fma_f64 v[24:25], -v[136:137], v[164:165], v[24:25]
	v_fmac_f64_e32 v[12:13], v[134:135], v[164:165]
	s_clause 0x1
	global_load_b128 v[134:137], v[36:37], off offset:12448
	global_load_b128 v[162:165], v[36:37], off offset:12512
	s_wait_loadcnt 0xe
	v_fmac_f64_e32 v[32:33], v[102:103], v[110:111]
	v_fmac_f64_e32 v[10:11], v[104:105], v[110:111]
	;; [unrolled: 1-line block ×8, first 2 shown]
	v_fma_f64 v[32:33], -v[104:105], v[112:113], v[32:33]
	v_fmac_f64_e32 v[10:11], v[102:103], v[112:113]
	global_load_b128 v[102:105], v27, s[4:5] offset:32 scale_offset
	v_fma_f64 v[110:111], -v[48:49], v[112:113], v[166:167]
	v_fmac_f64_e32 v[14:15], v[46:47], v[112:113]
	v_fma_f64 v[166:167], -v[100:101], v[112:113], v[168:169]
	v_fmac_f64_e32 v[16:17], v[98:99], v[112:113]
	;; [unrolled: 2-line block ×3, first 2 shown]
	global_load_b128 v[46:49], v[36:37], off offset:12528
	global_load_b128 v[98:101], v27, s[4:5] offset:48 scale_offset
	s_wait_xcnt 0x1
	v_add_nc_u64_e32 v[36:37], 0x4000, v[36:37]
	s_wait_loadcnt 0x10
	v_fmac_f64_e32 v[32:33], v[86:87], v[142:143]
	v_fmac_f64_e32 v[10:11], v[88:89], v[142:143]
	v_fmac_f64_e32 v[110:111], v[82:83], v[142:143]
	v_fmac_f64_e32 v[14:15], v[84:85], v[142:143]
	v_fmac_f64_e32 v[166:167], v[94:95], v[142:143]
	v_fmac_f64_e32 v[16:17], v[96:97], v[142:143]
	v_fmac_f64_e32 v[24:25], v[74:75], v[142:143]
	v_fmac_f64_e32 v[12:13], v[76:77], v[142:143]
	v_fma_f64 v[32:33], -v[88:89], v[144:145], v[32:33]
	v_fmac_f64_e32 v[10:11], v[86:87], v[144:145]
	v_fma_f64 v[84:85], -v[84:85], v[144:145], v[110:111]
	v_fmac_f64_e32 v[14:15], v[82:83], v[144:145]
	v_fma_f64 v[82:83], -v[96:97], v[144:145], v[166:167]
	v_fmac_f64_e32 v[16:17], v[94:95], v[144:145]
	v_fma_f64 v[24:25], -v[76:77], v[144:145], v[24:25]
	v_fmac_f64_e32 v[12:13], v[74:75], v[144:145]
	s_wait_loadcnt 0xd
	v_fmac_f64_e32 v[32:33], v[70:71], v[158:159]
	v_fmac_f64_e32 v[10:11], v[72:73], v[158:159]
	v_fmac_f64_e32 v[84:85], v[66:67], v[158:159]
	v_fmac_f64_e32 v[14:15], v[68:69], v[158:159]
	v_fmac_f64_e32 v[82:83], v[78:79], v[158:159]
	v_fmac_f64_e32 v[16:17], v[80:81], v[158:159]
	v_fmac_f64_e32 v[24:25], v[58:59], v[158:159]
	v_fmac_f64_e32 v[12:13], v[60:61], v[158:159]
	v_fma_f64 v[32:33], -v[72:73], v[160:161], v[32:33]
	v_fmac_f64_e32 v[10:11], v[70:71], v[160:161]
	v_fma_f64 v[68:69], -v[68:69], v[160:161], v[84:85]
	v_fmac_f64_e32 v[14:15], v[66:67], v[160:161]
	v_fma_f64 v[66:67], -v[80:81], v[160:161], v[82:83]
	v_fmac_f64_e32 v[16:17], v[78:79], v[160:161]
	v_fma_f64 v[24:25], -v[60:61], v[160:161], v[24:25]
	v_fmac_f64_e32 v[12:13], v[58:59], v[160:161]
	;; [unrolled: 17-line block ×6, first 2 shown]
	s_and_not1_b32 exec_lo, exec_lo, s7
	s_cbranch_execnz .LBB37_19
; %bb.20:
	s_or_b32 exec_lo, exec_lo, s7
.LBB37_21:
	s_delay_alu instid0(SALU_CYCLE_1)
	s_or_b32 exec_lo, exec_lo, s6
.LBB37_22:
	s_delay_alu instid0(SALU_CYCLE_1)
	s_or_b32 exec_lo, exec_lo, s3
	s_cbranch_execz .LBB37_24
	s_branch .LBB37_35
.LBB37_23:
                                        ; implicit-def: $vgpr10_vgpr11
                                        ; implicit-def: $vgpr32_vgpr33
                                        ; implicit-def: $vgpr24_vgpr25
                                        ; implicit-def: $vgpr12_vgpr13
                                        ; implicit-def: $vgpr28_vgpr29
                                        ; implicit-def: $vgpr16_vgpr17
                                        ; implicit-def: $vgpr30_vgpr31
                                        ; implicit-def: $vgpr14_vgpr15
.LBB37_24:
	v_mov_b64_e32 v[10:11], 0
	v_mov_b64_e32 v[32:33], 0
	;; [unrolled: 1-line block ×8, first 2 shown]
	s_and_saveexec_b32 s3, s2
	s_cbranch_execz .LBB37_34
; %bb.25:
	v_dual_mov_b32 v11, v1 :: v_dual_bitop2_b32 v10, 16, v0 bitop3:0x54
	v_sub_nc_u64_e32 v[12:13], s[12:13], v[0:1]
	v_not_b32_e32 v15, v35
	v_not_b32_e32 v14, v34
	v_mov_b64_e32 v[30:31], 0
	v_sub_nc_u64_e64 v[10:11], v[10:11], s[12:13]
	v_mov_b64_e32 v[16:17], 0
	v_mov_b64_e32 v[28:29], 0
	v_add_nc_u64_e32 v[12:13], v[12:13], v[14:15]
	v_mov_b64_e32 v[14:15], 0
	v_mov_b64_e32 v[24:25], 0
	;; [unrolled: 1-line block ×3, first 2 shown]
	v_add_nc_u64_e32 v[10:11], v[10:11], v[34:35]
	s_mov_b32 s2, exec_lo
	s_delay_alu instid0(VALU_DEP_1) | instskip(NEXT) | instid1(VALU_DEP_1)
	v_max_i64 v[10:11], v[10:11], v[20:21]
	v_add_nc_u64_e32 v[34:35], v[12:13], v[10:11]
	v_mov_b64_e32 v[12:13], 0
	v_mov_b64_e32 v[10:11], 0
	s_delay_alu instid0(VALU_DEP_3) | instskip(NEXT) | instid1(VALU_DEP_1)
	v_dual_mov_b32 v37, 0 :: v_dual_bitop2_b32 v36, 48, v34 bitop3:0x40
	v_cmpx_ne_u64_e32 48, v[36:37]
	s_cbranch_execz .LBB37_29
; %bb.26:
	v_lshrrev_b32_e32 v1, 4, v34
	v_mov_b64_e32 v[10:11], 0
	v_mov_b64_e32 v[32:33], 0
	;; [unrolled: 1-line block ×4, first 2 shown]
	v_add_nc_u32_e32 v1, 1, v1
	v_mov_b64_e32 v[28:29], 0
	v_mov_b64_e32 v[16:17], 0
	;; [unrolled: 1-line block ×4, first 2 shown]
	v_and_b32_e32 v36, 3, v1
	v_lshl_add_u64 v[38:39], v[18:19], 2, s[8:9]
	s_mov_b32 s6, 0
	s_delay_alu instid0(VALU_DEP_2)
	v_sub_nc_u64_e32 v[36:37], 0, v[36:37]
.LBB37_27:                              ; =>This Inner Loop Header: Depth=1
	global_load_b32 v1, v[38:39], off
	s_clause 0x3
	global_load_b128 v[40:43], v[22:23], off offset:48
	global_load_b128 v[44:47], v[22:23], off offset:32
	;; [unrolled: 1-line block ×3, first 2 shown]
	global_load_b128 v[52:55], v[22:23], off
	v_add_nc_u64_e32 v[36:37], 1, v[36:37]
	v_add_nc_u64_e32 v[18:19], 16, v[18:19]
	s_wait_xcnt 0x4
	v_add_nc_u64_e32 v[38:39], 64, v[38:39]
	s_delay_alu instid0(VALU_DEP_3) | instskip(SKIP_3) | instid1(VALU_DEP_1)
	v_cmp_eq_u64_e32 vcc_lo, 0, v[36:37]
	s_or_b32 s6, vcc_lo, s6
	s_wait_loadcnt 0x4
	v_subrev_nc_u32_e32 v1, s12, v1
	v_lshlrev_b32_e32 v1, 2, v1
	s_wait_kmcnt 0x0
	global_load_b128 v[56:59], v1, s[4:5] scale_offset
	s_clause 0x3
	global_load_b128 v[60:63], v[22:23], off offset:64
	global_load_b128 v[64:67], v[22:23], off offset:80
	;; [unrolled: 1-line block ×4, first 2 shown]
	global_load_b128 v[76:79], v1, s[4:5] offset:16 scale_offset
	s_clause 0x3
	global_load_b128 v[80:83], v[22:23], off offset:176
	global_load_b128 v[84:87], v[22:23], off offset:160
	;; [unrolled: 1-line block ×4, first 2 shown]
	s_clause 0x1
	global_load_b128 v[96:99], v1, s[4:5] offset:32 scale_offset
	global_load_b128 v[100:103], v1, s[4:5] offset:48 scale_offset
	s_clause 0x3
	global_load_b128 v[104:107], v[22:23], off offset:192
	global_load_b128 v[108:111], v[22:23], off offset:208
	;; [unrolled: 1-line block ×3, first 2 shown]
	; meta instruction
	global_load_b128 v[116:119], v[22:23], off offset:240
	s_wait_xcnt 0x0
	v_add_nc_u64_e32 v[22:23], 0x1000, v[22:23]
	s_wait_loadcnt 0xf
	v_fmac_f64_e32 v[32:33], v[52:53], v[56:57]
	v_fmac_f64_e32 v[10:11], v[54:55], v[56:57]
	v_fmac_f64_e32 v[30:31], v[48:49], v[56:57]
	v_fmac_f64_e32 v[14:15], v[50:51], v[56:57]
	v_fmac_f64_e32 v[28:29], v[44:45], v[56:57]
	v_fmac_f64_e32 v[16:17], v[46:47], v[56:57]
	v_fmac_f64_e32 v[24:25], v[40:41], v[56:57]
	v_fmac_f64_e32 v[12:13], v[42:43], v[56:57]
	v_fma_f64 v[32:33], -v[54:55], v[58:59], v[32:33]
	v_fmac_f64_e32 v[10:11], v[52:53], v[58:59]
	v_fma_f64 v[30:31], -v[50:51], v[58:59], v[30:31]
	v_fmac_f64_e32 v[14:15], v[48:49], v[58:59]
	v_fma_f64 v[28:29], -v[46:47], v[58:59], v[28:29]
	v_fmac_f64_e32 v[16:17], v[44:45], v[58:59]
	v_fma_f64 v[24:25], -v[42:43], v[58:59], v[24:25]
	v_fmac_f64_e32 v[12:13], v[40:41], v[58:59]
	s_wait_loadcnt 0xa
	v_fmac_f64_e32 v[32:33], v[60:61], v[76:77]
	v_fmac_f64_e32 v[10:11], v[62:63], v[76:77]
	v_fmac_f64_e32 v[30:31], v[64:65], v[76:77]
	v_fmac_f64_e32 v[14:15], v[66:67], v[76:77]
	v_fmac_f64_e32 v[28:29], v[68:69], v[76:77]
	v_fmac_f64_e32 v[16:17], v[70:71], v[76:77]
	v_fmac_f64_e32 v[24:25], v[72:73], v[76:77]
	v_fmac_f64_e32 v[12:13], v[74:75], v[76:77]
	v_fma_f64 v[32:33], -v[62:63], v[78:79], v[32:33]
	v_fmac_f64_e32 v[10:11], v[60:61], v[78:79]
	v_fma_f64 v[30:31], -v[66:67], v[78:79], v[30:31]
	v_fmac_f64_e32 v[14:15], v[64:65], v[78:79]
	v_fma_f64 v[28:29], -v[70:71], v[78:79], v[28:29]
	v_fmac_f64_e32 v[16:17], v[68:69], v[78:79]
	v_fma_f64 v[24:25], -v[74:75], v[78:79], v[24:25]
	v_fmac_f64_e32 v[12:13], v[72:73], v[78:79]
	;; [unrolled: 17-line block ×3, first 2 shown]
	s_wait_loadcnt 0x3
	v_fmac_f64_e32 v[32:33], v[104:105], v[100:101]
	v_fmac_f64_e32 v[10:11], v[106:107], v[100:101]
	s_wait_loadcnt 0x2
	v_fmac_f64_e32 v[30:31], v[108:109], v[100:101]
	v_fmac_f64_e32 v[14:15], v[110:111], v[100:101]
	;; [unrolled: 3-line block ×4, first 2 shown]
	v_fma_f64 v[32:33], -v[106:107], v[102:103], v[32:33]
	v_fmac_f64_e32 v[10:11], v[104:105], v[102:103]
	v_fma_f64 v[30:31], -v[110:111], v[102:103], v[30:31]
	v_fmac_f64_e32 v[14:15], v[108:109], v[102:103]
	;; [unrolled: 2-line block ×4, first 2 shown]
	s_and_not1_b32 exec_lo, exec_lo, s6
	s_cbranch_execnz .LBB37_27
; %bb.28:
	s_or_b32 exec_lo, exec_lo, s6
.LBB37_29:
	s_delay_alu instid0(SALU_CYCLE_1) | instskip(NEXT) | instid1(SALU_CYCLE_1)
	s_or_b32 exec_lo, exec_lo, s2
	s_mov_b32 s2, exec_lo
	v_cmpx_lt_u64_e32 47, v[34:35]
	s_cbranch_execz .LBB37_33
; %bb.30:
	v_lshl_add_u64 v[34:35], v[18:19], 2, s[8:9]
	s_mov_b32 s6, 0
	s_delay_alu instid0(VALU_DEP_1)
	v_add_nc_u64_e32 v[34:35], 0x80, v[34:35]
.LBB37_31:                              ; =>This Inner Loop Header: Depth=1
	global_load_b32 v1, v[34:35], off offset:-128
	s_clause 0x11
	global_load_b128 v[36:39], v[22:23], off offset:48
	global_load_b128 v[40:43], v[22:23], off offset:32
	;; [unrolled: 1-line block ×3, first 2 shown]
	global_load_b128 v[48:51], v[22:23], off
	global_load_b128 v[52:55], v[22:23], off offset:112
	global_load_b128 v[56:59], v[22:23], off offset:96
	;; [unrolled: 1-line block ×14, first 2 shown]
	s_clause 0x2
	global_load_b32 v27, v[34:35], off offset:-64
	global_load_b32 v152, v[34:35], off
	global_load_b32 v153, v[34:35], off offset:64
	s_clause 0x7
	global_load_b128 v[108:111], v[22:23], off offset:4112
	global_load_b128 v[112:115], v[22:23], off offset:4096
	;; [unrolled: 1-line block ×8, first 2 shown]
	v_add_nc_u64_e32 v[18:19], 64, v[18:19]
	s_wait_xcnt 0x8
	v_add_nc_u64_e32 v[34:35], 0x100, v[34:35]
	s_delay_alu instid0(VALU_DEP_2) | instskip(SKIP_3) | instid1(VALU_DEP_1)
	v_cmp_ge_i64_e32 vcc_lo, v[18:19], v[20:21]
	s_or_b32 s6, vcc_lo, s6
	s_wait_loadcnt 0x1d
	v_subrev_nc_u32_e32 v1, s12, v1
	v_lshlrev_b32_e32 v1, 2, v1
	s_wait_kmcnt 0x0
	s_clause 0x1
	global_load_b128 v[140:143], v1, s[4:5] scale_offset
	global_load_b128 v[144:147], v1, s[4:5] offset:16 scale_offset
	s_wait_loadcnt 0x1
	v_fmac_f64_e32 v[32:33], v[48:49], v[140:141]
	v_fmac_f64_e32 v[10:11], v[50:51], v[140:141]
	;; [unrolled: 1-line block ×8, first 2 shown]
	v_fma_f64 v[148:149], -v[50:51], v[142:143], v[32:33]
	v_fmac_f64_e32 v[10:11], v[48:49], v[142:143]
	v_fma_f64 v[150:151], -v[46:47], v[142:143], v[30:31]
	v_fmac_f64_e32 v[14:15], v[44:45], v[142:143]
	;; [unrolled: 2-line block ×4, first 2 shown]
	s_clause 0x4
	global_load_b128 v[48:51], v[22:23], off offset:4240
	global_load_b128 v[30:33], v[22:23], off offset:4224
	;; [unrolled: 1-line block ×5, first 2 shown]
	s_wait_loadcnt 0x5
	v_fmac_f64_e32 v[148:149], v[64:65], v[144:145]
	v_fmac_f64_e32 v[10:11], v[66:67], v[144:145]
	;; [unrolled: 1-line block ×8, first 2 shown]
	v_fma_f64 v[148:149], -v[66:67], v[146:147], v[148:149]
	v_fmac_f64_e32 v[10:11], v[64:65], v[146:147]
	global_load_b128 v[64:67], v[22:23], off offset:4288
	v_fma_f64 v[150:151], -v[62:63], v[146:147], v[150:151]
	v_fmac_f64_e32 v[14:15], v[60:61], v[146:147]
	global_load_b128 v[60:63], v[22:23], off offset:8240
	;; [unrolled: 3-line block ×3, first 2 shown]
	v_fma_f64 v[24:25], -v[54:55], v[146:147], v[24:25]
	v_fmac_f64_e32 v[12:13], v[52:53], v[146:147]
	s_clause 0x1
	global_load_b128 v[52:55], v1, s[4:5] offset:32 scale_offset
	global_load_b128 v[140:143], v1, s[4:5] offset:48 scale_offset
	s_wait_xcnt 0x0
	v_subrev_nc_u32_e32 v1, s12, v27
	v_subrev_nc_u32_e32 v27, s12, v153
	s_delay_alu instid0(VALU_DEP_1)
	v_dual_lshlrev_b32 v1, 2, v1 :: v_dual_lshlrev_b32 v27, 2, v27
	s_wait_loadcnt 0x1
	v_fmac_f64_e32 v[148:149], v[80:81], v[52:53]
	v_fmac_f64_e32 v[10:11], v[82:83], v[52:53]
	;; [unrolled: 1-line block ×8, first 2 shown]
	v_fma_f64 v[144:145], -v[82:83], v[54:55], v[148:149]
	v_fmac_f64_e32 v[10:11], v[80:81], v[54:55]
	v_fma_f64 v[146:147], -v[78:79], v[54:55], v[150:151]
	v_fmac_f64_e32 v[14:15], v[76:77], v[54:55]
	;; [unrolled: 2-line block ×4, first 2 shown]
	s_clause 0x4
	global_load_b128 v[80:83], v[22:23], off offset:8208
	global_load_b128 v[76:79], v[22:23], off offset:8192
	;; [unrolled: 1-line block ×5, first 2 shown]
	s_wait_loadcnt 0x5
	v_fmac_f64_e32 v[144:145], v[96:97], v[140:141]
	v_fmac_f64_e32 v[10:11], v[98:99], v[140:141]
	;; [unrolled: 1-line block ×8, first 2 shown]
	v_fma_f64 v[144:145], -v[98:99], v[142:143], v[144:145]
	v_fmac_f64_e32 v[10:11], v[96:97], v[142:143]
	global_load_b128 v[96:99], v[22:23], off offset:8256
	v_fma_f64 v[146:147], -v[94:95], v[142:143], v[146:147]
	v_fmac_f64_e32 v[14:15], v[92:93], v[142:143]
	global_load_b128 v[92:95], v[22:23], off offset:8368
	;; [unrolled: 3-line block ×3, first 2 shown]
	v_fma_f64 v[24:25], -v[86:87], v[142:143], v[24:25]
	v_fmac_f64_e32 v[12:13], v[84:85], v[142:143]
	s_clause 0x1
	global_load_b128 v[84:87], v1, s[4:5] scale_offset
	global_load_b128 v[140:143], v1, s[4:5] offset:16 scale_offset
	s_wait_loadcnt 0x1
	v_fmac_f64_e32 v[144:145], v[112:113], v[84:85]
	v_fmac_f64_e32 v[10:11], v[114:115], v[84:85]
	;; [unrolled: 1-line block ×8, first 2 shown]
	v_fma_f64 v[144:145], -v[114:115], v[86:87], v[144:145]
	v_fmac_f64_e32 v[10:11], v[112:113], v[86:87]
	v_fma_f64 v[146:147], -v[110:111], v[86:87], v[146:147]
	v_fmac_f64_e32 v[14:15], v[108:109], v[86:87]
	v_fma_f64 v[28:29], -v[106:107], v[86:87], v[28:29]
	v_fmac_f64_e32 v[16:17], v[104:105], v[86:87]
	v_fma_f64 v[24:25], -v[102:103], v[86:87], v[24:25]
	v_fmac_f64_e32 v[12:13], v[100:101], v[86:87]
	s_clause 0x4
	global_load_b128 v[112:115], v[22:23], off offset:8336
	global_load_b128 v[108:111], v[22:23], off offset:8320
	;; [unrolled: 1-line block ×5, first 2 shown]
	s_wait_loadcnt 0x5
	v_fmac_f64_e32 v[144:145], v[128:129], v[140:141]
	v_fmac_f64_e32 v[10:11], v[130:131], v[140:141]
	;; [unrolled: 1-line block ×8, first 2 shown]
	v_fma_f64 v[144:145], -v[130:131], v[142:143], v[144:145]
	v_fmac_f64_e32 v[10:11], v[128:129], v[142:143]
	global_load_b128 v[128:131], v[22:23], off offset:8384
	v_fma_f64 v[146:147], -v[126:127], v[142:143], v[146:147]
	v_fmac_f64_e32 v[14:15], v[124:125], v[142:143]
	global_load_b128 v[124:127], v[22:23], off offset:12336
	;; [unrolled: 3-line block ×3, first 2 shown]
	v_fma_f64 v[24:25], -v[118:119], v[142:143], v[24:25]
	v_fmac_f64_e32 v[12:13], v[116:117], v[142:143]
	s_clause 0x1
	global_load_b128 v[116:119], v1, s[4:5] offset:32 scale_offset
	global_load_b128 v[140:143], v1, s[4:5] offset:48 scale_offset
	s_wait_xcnt 0x0
	v_subrev_nc_u32_e32 v1, s12, v152
	s_delay_alu instid0(VALU_DEP_1)
	v_lshlrev_b32_e32 v1, 2, v1
	s_wait_loadcnt 0x1
	v_fmac_f64_e32 v[144:145], v[30:31], v[116:117]
	v_fmac_f64_e32 v[10:11], v[32:33], v[116:117]
	;; [unrolled: 1-line block ×8, first 2 shown]
	v_fma_f64 v[32:33], -v[32:33], v[118:119], v[144:145]
	v_fmac_f64_e32 v[10:11], v[30:31], v[118:119]
	global_load_b128 v[28:31], v[22:23], off offset:12304
	v_fma_f64 v[144:145], -v[50:51], v[118:119], v[146:147]
	v_fmac_f64_e32 v[14:15], v[48:49], v[118:119]
	global_load_b128 v[48:51], v[22:23], off offset:12288
	v_fma_f64 v[146:147], -v[138:139], v[118:119], v[148:149]
	v_fmac_f64_e32 v[16:17], v[136:137], v[118:119]
	global_load_b128 v[136:139], v[22:23], off offset:12400
	v_fma_f64 v[24:25], -v[134:135], v[118:119], v[24:25]
	v_fmac_f64_e32 v[12:13], v[132:133], v[118:119]
	s_clause 0x1
	global_load_b128 v[116:119], v[22:23], off offset:12384
	global_load_b128 v[132:135], v[22:23], off offset:12368
	s_wait_loadcnt 0x5
	v_fmac_f64_e32 v[32:33], v[64:65], v[140:141]
	v_fmac_f64_e32 v[10:11], v[66:67], v[140:141]
	v_fmac_f64_e32 v[144:145], v[44:45], v[140:141]
	v_fmac_f64_e32 v[14:15], v[46:47], v[140:141]
	v_fmac_f64_e32 v[146:147], v[36:37], v[140:141]
	v_fmac_f64_e32 v[16:17], v[38:39], v[140:141]
	v_fmac_f64_e32 v[24:25], v[40:41], v[140:141]
	v_fmac_f64_e32 v[12:13], v[42:43], v[140:141]
	v_fma_f64 v[32:33], -v[66:67], v[142:143], v[32:33]
	v_fmac_f64_e32 v[10:11], v[64:65], v[142:143]
	global_load_b128 v[64:67], v1, s[4:5] scale_offset
	v_fma_f64 v[144:145], -v[46:47], v[142:143], v[144:145]
	v_fmac_f64_e32 v[14:15], v[44:45], v[142:143]
	global_load_b128 v[44:47], v1, s[4:5] offset:16 scale_offset
	v_fma_f64 v[146:147], -v[38:39], v[142:143], v[146:147]
	v_fmac_f64_e32 v[16:17], v[36:37], v[142:143]
	global_load_b128 v[36:39], v1, s[4:5] offset:32 scale_offset
	;; [unrolled: 3-line block ×3, first 2 shown]
	global_load_b128 v[40:43], v[22:23], off offset:12352
	s_wait_loadcnt 0x4
	v_fmac_f64_e32 v[32:33], v[76:77], v[64:65]
	v_fmac_f64_e32 v[10:11], v[78:79], v[64:65]
	;; [unrolled: 1-line block ×8, first 2 shown]
	v_fma_f64 v[32:33], -v[78:79], v[66:67], v[32:33]
	v_fmac_f64_e32 v[10:11], v[76:77], v[66:67]
	global_load_b128 v[76:79], v27, s[4:5] offset:16 scale_offset
	v_fma_f64 v[144:145], -v[82:83], v[66:67], v[144:145]
	v_fmac_f64_e32 v[14:15], v[80:81], v[66:67]
	global_load_b128 v[80:83], v27, s[4:5] scale_offset
	v_fma_f64 v[148:149], -v[58:59], v[66:67], v[146:147]
	v_fmac_f64_e32 v[16:17], v[56:57], v[66:67]
	v_fma_f64 v[24:25], -v[62:63], v[66:67], v[24:25]
	v_fmac_f64_e32 v[12:13], v[60:61], v[66:67]
	s_clause 0x2
	global_load_b128 v[56:59], v[22:23], off offset:12464
	global_load_b128 v[60:63], v[22:23], off offset:12448
	;; [unrolled: 1-line block ×3, first 2 shown]
	s_wait_loadcnt 0x8
	v_fmac_f64_e32 v[32:33], v[96:97], v[44:45]
	v_fmac_f64_e32 v[10:11], v[98:99], v[44:45]
	;; [unrolled: 1-line block ×8, first 2 shown]
	v_fma_f64 v[32:33], -v[98:99], v[46:47], v[32:33]
	v_fmac_f64_e32 v[10:11], v[96:97], v[46:47]
	global_load_b128 v[96:99], v[22:23], off offset:12416
	v_fma_f64 v[150:151], -v[70:71], v[46:47], v[144:145]
	v_fmac_f64_e32 v[14:15], v[68:69], v[46:47]
	s_clause 0x1
	global_load_b128 v[68:71], v27, s[4:5] offset:48 scale_offset
	global_load_b128 v[144:147], v27, s[4:5] offset:32 scale_offset
	v_fma_f64 v[148:149], -v[54:55], v[46:47], v[148:149]
	v_fmac_f64_e32 v[16:17], v[52:53], v[46:47]
	v_fma_f64 v[24:25], -v[74:75], v[46:47], v[24:25]
	v_fmac_f64_e32 v[12:13], v[72:73], v[46:47]
	s_clause 0x2
	global_load_b128 v[52:55], v[22:23], off offset:12512
	global_load_b128 v[44:47], v[22:23], off offset:12496
	;; [unrolled: 1-line block ×3, first 2 shown]
	s_wait_loadcnt 0xd
	v_fmac_f64_e32 v[32:33], v[108:109], v[36:37]
	v_fmac_f64_e32 v[10:11], v[110:111], v[36:37]
	;; [unrolled: 1-line block ×8, first 2 shown]
	v_fma_f64 v[32:33], -v[110:111], v[38:39], v[32:33]
	v_fmac_f64_e32 v[10:11], v[108:109], v[38:39]
	global_load_b128 v[108:111], v[22:23], off offset:12528
	v_fma_f64 v[36:37], -v[114:115], v[38:39], v[150:151]
	v_fmac_f64_e32 v[14:15], v[112:113], v[38:39]
	s_wait_xcnt 0x0
	v_add_nc_u64_e32 v[22:23], 0x4000, v[22:23]
	v_fma_f64 v[90:91], -v[90:91], v[38:39], v[148:149]
	v_fmac_f64_e32 v[16:17], v[88:89], v[38:39]
	v_fma_f64 v[24:25], -v[94:95], v[38:39], v[24:25]
	v_fmac_f64_e32 v[12:13], v[92:93], v[38:39]
	s_wait_loadcnt 0xd
	v_fmac_f64_e32 v[32:33], v[128:129], v[140:141]
	v_fmac_f64_e32 v[10:11], v[130:131], v[140:141]
	;; [unrolled: 1-line block ×8, first 2 shown]
	v_fma_f64 v[32:33], -v[130:131], v[142:143], v[32:33]
	v_fmac_f64_e32 v[10:11], v[128:129], v[142:143]
	v_fma_f64 v[36:37], -v[102:103], v[142:143], v[36:37]
	v_fmac_f64_e32 v[14:15], v[100:101], v[142:143]
	;; [unrolled: 2-line block ×4, first 2 shown]
	s_wait_loadcnt 0xa
	v_fmac_f64_e32 v[32:33], v[48:49], v[80:81]
	v_fmac_f64_e32 v[10:11], v[50:51], v[80:81]
	;; [unrolled: 1-line block ×8, first 2 shown]
	v_fma_f64 v[32:33], -v[50:51], v[82:83], v[32:33]
	v_fmac_f64_e32 v[10:11], v[48:49], v[82:83]
	v_fma_f64 v[30:31], -v[30:31], v[82:83], v[36:37]
	v_fmac_f64_e32 v[14:15], v[28:29], v[82:83]
	;; [unrolled: 2-line block ×4, first 2 shown]
	v_fmac_f64_e32 v[32:33], v[40:41], v[76:77]
	v_fmac_f64_e32 v[10:11], v[42:43], v[76:77]
	;; [unrolled: 1-line block ×8, first 2 shown]
	v_fma_f64 v[32:33], -v[42:43], v[78:79], v[32:33]
	v_fmac_f64_e32 v[10:11], v[40:41], v[78:79]
	v_fma_f64 v[30:31], -v[134:135], v[78:79], v[30:31]
	v_fmac_f64_e32 v[14:15], v[132:133], v[78:79]
	;; [unrolled: 2-line block ×4, first 2 shown]
	s_wait_loadcnt 0x4
	v_fmac_f64_e32 v[32:33], v[96:97], v[144:145]
	v_fmac_f64_e32 v[10:11], v[98:99], v[144:145]
	;; [unrolled: 1-line block ×8, first 2 shown]
	v_fma_f64 v[32:33], -v[98:99], v[146:147], v[32:33]
	v_fmac_f64_e32 v[10:11], v[96:97], v[146:147]
	v_fma_f64 v[30:31], -v[66:67], v[146:147], v[30:31]
	v_fmac_f64_e32 v[14:15], v[64:65], v[146:147]
	;; [unrolled: 2-line block ×4, first 2 shown]
	s_wait_loadcnt 0x1
	v_fmac_f64_e32 v[32:33], v[72:73], v[68:69]
	v_fmac_f64_e32 v[10:11], v[74:75], v[68:69]
	v_fmac_f64_e32 v[30:31], v[44:45], v[68:69]
	v_fmac_f64_e32 v[14:15], v[46:47], v[68:69]
	v_fmac_f64_e32 v[28:29], v[52:53], v[68:69]
	v_fmac_f64_e32 v[16:17], v[54:55], v[68:69]
	s_wait_loadcnt 0x0
	v_fmac_f64_e32 v[24:25], v[108:109], v[68:69]
	v_fmac_f64_e32 v[12:13], v[110:111], v[68:69]
	v_fma_f64 v[32:33], -v[74:75], v[70:71], v[32:33]
	v_fmac_f64_e32 v[10:11], v[72:73], v[70:71]
	v_fma_f64 v[30:31], -v[46:47], v[70:71], v[30:31]
	;; [unrolled: 2-line block ×4, first 2 shown]
	v_fmac_f64_e32 v[12:13], v[108:109], v[70:71]
	s_and_not1_b32 exec_lo, exec_lo, s6
	s_cbranch_execnz .LBB37_31
; %bb.32:
	s_or_b32 exec_lo, exec_lo, s6
.LBB37_33:
	s_delay_alu instid0(SALU_CYCLE_1)
	s_or_b32 exec_lo, exec_lo, s2
.LBB37_34:
	s_delay_alu instid0(SALU_CYCLE_1)
	s_or_b32 exec_lo, exec_lo, s3
.LBB37_35:
	v_mbcnt_lo_u32_b32 v1, -1, 0
	s_delay_alu instid0(VALU_DEP_1) | instskip(NEXT) | instid1(VALU_DEP_1)
	v_xor_b32_e32 v18, 8, v1
	v_cmp_gt_i32_e32 vcc_lo, 32, v18
	v_cndmask_b32_e32 v18, v1, v18, vcc_lo
	s_delay_alu instid0(VALU_DEP_1)
	v_lshlrev_b32_e32 v27, 2, v18
	ds_bpermute_b32 v20, v27, v10
	ds_bpermute_b32 v21, v27, v11
	;; [unrolled: 1-line block ×6, first 2 shown]
	s_wait_dscnt 0x4
	v_add_f64_e32 v[10:11], v[10:11], v[20:21]
	s_wait_dscnt 0x2
	v_add_f64_e32 v[20:21], v[30:31], v[22:23]
	;; [unrolled: 2-line block ×3, first 2 shown]
	ds_bpermute_b32 v18, v27, v32
	ds_bpermute_b32 v19, v27, v33
	;; [unrolled: 1-line block ×10, first 2 shown]
	v_xor_b32_e32 v27, 4, v1
	s_delay_alu instid0(VALU_DEP_1)
	v_cmp_gt_i32_e32 vcc_lo, 32, v27
	s_wait_dscnt 0x8
	v_add_f64_e32 v[18:19], v[32:33], v[18:19]
	v_cndmask_b32_e32 v27, v1, v27, vcc_lo
	s_wait_dscnt 0x6
	v_add_f64_e32 v[14:15], v[14:15], v[34:35]
	s_wait_dscnt 0x4
	v_add_f64_e32 v[16:17], v[16:17], v[38:39]
	s_wait_dscnt 0x2
	v_dual_add_f64 v[24:25], v[24:25], v[40:41] :: v_dual_lshlrev_b32 v27, 2, v27
	s_wait_dscnt 0x0
	v_add_f64_e32 v[12:13], v[12:13], v[42:43]
	ds_bpermute_b32 v30, v27, v10
	ds_bpermute_b32 v31, v27, v11
	;; [unrolled: 1-line block ×14, first 2 shown]
	s_wait_dscnt 0x6
	v_add_f64_e32 v[18:19], v[18:19], v[28:29]
	v_dual_add_f64 v[28:29], v[10:11], v[30:31] :: v_dual_bitop2_b32 v10, 2, v1 bitop3:0x14
	ds_bpermute_b32 v34, v27, v14
	ds_bpermute_b32 v35, v27, v15
	s_wait_dscnt 0x6
	v_add_f64_e32 v[16:17], v[16:17], v[38:39]
	v_cmp_gt_i32_e32 vcc_lo, 32, v10
	v_dual_add_f64 v[22:23], v[22:23], v[36:37] :: v_dual_cndmask_b32 v10, v1, v10, vcc_lo
	v_add_f64_e32 v[20:21], v[20:21], v[32:33]
	s_wait_dscnt 0x4
	s_delay_alu instid0(VALU_DEP_2)
	v_dual_add_f64 v[32:33], v[24:25], v[40:41] :: v_dual_lshlrev_b32 v27, 2, v10
	s_wait_dscnt 0x0
	v_add_f64_e32 v[14:15], v[14:15], v[34:35]
	v_add_f64_e32 v[34:35], v[12:13], v[42:43]
	ds_bpermute_b32 v10, v27, v18
	ds_bpermute_b32 v11, v27, v19
	;; [unrolled: 1-line block ×12, first 2 shown]
	s_wait_dscnt 0xa
	v_add_f64_e32 v[10:11], v[18:19], v[10:11]
	s_wait_dscnt 0x8
	v_add_f64_e32 v[30:31], v[28:29], v[12:13]
	ds_bpermute_b32 v36, v27, v14
	ds_bpermute_b32 v37, v27, v15
	;; [unrolled: 1-line block ×4, first 2 shown]
	s_wait_dscnt 0x6
	v_add_f64_e32 v[12:13], v[20:21], v[24:25]
	v_add_f64_e32 v[20:21], v[16:17], v[40:41]
	s_wait_dscnt 0x4
	v_add_f64_e32 v[16:17], v[32:33], v[42:43]
	s_wait_dscnt 0x2
	v_add_f64_e32 v[24:25], v[14:15], v[36:37]
	v_add_f64_e32 v[14:15], v[22:23], v[38:39]
	s_wait_dscnt 0x0
	v_add_f64_e32 v[18:19], v[34:35], v[44:45]
	v_xor_b32_e32 v22, 1, v1
	s_delay_alu instid0(VALU_DEP_1) | instskip(SKIP_2) | instid1(VALU_DEP_2)
	v_cmp_gt_i32_e32 vcc_lo, 32, v22
	v_cndmask_b32_e32 v1, v1, v22, vcc_lo
	v_cmp_eq_u32_e32 vcc_lo, 15, v0
	v_lshlrev_b32_e32 v1, 2, v1
	ds_bpermute_b32 v22, v1, v10
	ds_bpermute_b32 v23, v1, v11
	;; [unrolled: 1-line block ×16, first 2 shown]
	s_and_b32 exec_lo, exec_lo, vcc_lo
	s_cbranch_execz .LBB37_8
; %bb.36:
	s_wait_dscnt 0xc
	v_add_f64_e32 v[0:1], v[30:31], v[42:43]
	s_wait_dscnt 0x5
	v_add_f64_e32 v[30:31], v[24:25], v[40:41]
	v_add_f64_e32 v[38:39], v[20:21], v[38:39]
	s_wait_dscnt 0x0
	v_add_f64_e32 v[36:37], v[18:19], v[36:37]
	v_add_f64_e32 v[40:41], v[10:11], v[22:23]
	;; [unrolled: 1-line block ×5, first 2 shown]
	v_cmp_eq_f64_e32 vcc_lo, 0, v[2:3]
	v_cmp_eq_f64_e64 s2, 0, v[4:5]
	s_load_b64 s[0:1], s[0:1], 0x60
	v_mul_f64_e64 v[22:23], v[0:1], -v[8:9]
	v_mul_f64_e32 v[24:25], v[6:7], v[0:1]
	v_mul_f64_e64 v[14:15], v[38:39], -v[8:9]
	v_mul_f64_e32 v[16:17], v[6:7], v[38:39]
	v_mul_f64_e64 v[10:11], v[36:37], -v[8:9]
	v_dual_mul_f64 v[12:13], v[6:7], v[36:37] :: v_dual_lshlrev_b32 v0, 2, v26
	v_mul_f64_e64 v[18:19], v[30:31], -v[8:9]
	v_mul_f64_e32 v[20:21], v[6:7], v[30:31]
	s_and_b32 s2, vcc_lo, s2
	v_fmac_f64_e32 v[22:23], v[6:7], v[40:41]
	v_fmac_f64_e32 v[24:25], v[8:9], v[40:41]
	;; [unrolled: 1-line block ×8, first 2 shown]
	s_and_saveexec_b32 s3, s2
	s_delay_alu instid0(SALU_CYCLE_1)
	s_xor_b32 s2, exec_lo, s3
	s_cbranch_execz .LBB37_38
; %bb.37:
	s_wait_kmcnt 0x0
	s_clause 0x3
	global_store_b128 v0, v[22:25], s[0:1] scale_offset
	global_store_b128 v0, v[18:21], s[0:1] offset:16 scale_offset
	global_store_b128 v0, v[14:17], s[0:1] offset:32 scale_offset
	;; [unrolled: 1-line block ×3, first 2 shown]
                                        ; implicit-def: $vgpr4_vgpr5
                                        ; implicit-def: $vgpr22_vgpr23
                                        ; implicit-def: $vgpr0
                                        ; implicit-def: $vgpr18_vgpr19
                                        ; implicit-def: $vgpr14_vgpr15
                                        ; implicit-def: $vgpr10_vgpr11
.LBB37_38:
	s_wait_xcnt 0x0
	s_and_not1_saveexec_b32 s2, s2
	s_cbranch_execz .LBB37_8
; %bb.39:
	s_wait_kmcnt 0x0
	s_clause 0x3
	global_load_b128 v[6:9], v0, s[0:1] scale_offset
	global_load_b128 v[26:29], v0, s[0:1] offset:16 scale_offset
	global_load_b128 v[30:33], v0, s[0:1] offset:32 scale_offset
	;; [unrolled: 1-line block ×3, first 2 shown]
	s_wait_loadcnt 0x3
	v_fmac_f64_e32 v[22:23], v[2:3], v[6:7]
	v_fmac_f64_e32 v[24:25], v[4:5], v[6:7]
	s_wait_loadcnt 0x2
	v_fmac_f64_e32 v[18:19], v[2:3], v[26:27]
	v_fmac_f64_e32 v[20:21], v[4:5], v[26:27]
	;; [unrolled: 3-line block ×4, first 2 shown]
	v_fma_f64 v[22:23], -v[4:5], v[8:9], v[22:23]
	v_fmac_f64_e32 v[24:25], v[2:3], v[8:9]
	v_fma_f64 v[18:19], -v[4:5], v[28:29], v[18:19]
	v_fmac_f64_e32 v[20:21], v[2:3], v[28:29]
	v_fma_f64 v[14:15], -v[4:5], v[32:33], v[14:15]
	v_fmac_f64_e32 v[16:17], v[2:3], v[32:33]
	v_fma_f64 v[10:11], -v[4:5], v[36:37], v[10:11]
	v_fmac_f64_e32 v[12:13], v[2:3], v[36:37]
	s_clause 0x3
	global_store_b128 v0, v[22:25], s[0:1] scale_offset
	global_store_b128 v0, v[18:21], s[0:1] offset:16 scale_offset
	global_store_b128 v0, v[14:17], s[0:1] offset:32 scale_offset
	;; [unrolled: 1-line block ×3, first 2 shown]
	s_sendmsg sendmsg(MSG_DEALLOC_VGPRS)
	s_endpgm
	.section	.rodata,"a",@progbits
	.p2align	6, 0x0
	.amdhsa_kernel _ZN9rocsparseL18bsrxmvn_4x4_kernelILj128ELj16E21rocsparse_complex_numIdEliS2_S2_S2_EEvT3_20rocsparse_direction_NS_24const_host_device_scalarIT1_EES3_PKS3_PKT2_SC_S9_PKT4_PKT5_S7_PT6_21rocsparse_index_base_b
		.amdhsa_group_segment_fixed_size 0
		.amdhsa_private_segment_fixed_size 0
		.amdhsa_kernarg_size 112
		.amdhsa_user_sgpr_count 2
		.amdhsa_user_sgpr_dispatch_ptr 0
		.amdhsa_user_sgpr_queue_ptr 0
		.amdhsa_user_sgpr_kernarg_segment_ptr 1
		.amdhsa_user_sgpr_dispatch_id 0
		.amdhsa_user_sgpr_kernarg_preload_length 0
		.amdhsa_user_sgpr_kernarg_preload_offset 0
		.amdhsa_user_sgpr_private_segment_size 0
		.amdhsa_wavefront_size32 1
		.amdhsa_uses_dynamic_stack 0
		.amdhsa_enable_private_segment 0
		.amdhsa_system_sgpr_workgroup_id_x 1
		.amdhsa_system_sgpr_workgroup_id_y 0
		.amdhsa_system_sgpr_workgroup_id_z 0
		.amdhsa_system_sgpr_workgroup_info 0
		.amdhsa_system_vgpr_workitem_id 0
		.amdhsa_next_free_vgpr 177
		.amdhsa_next_free_sgpr 14
		.amdhsa_named_barrier_count 0
		.amdhsa_reserve_vcc 1
		.amdhsa_float_round_mode_32 0
		.amdhsa_float_round_mode_16_64 0
		.amdhsa_float_denorm_mode_32 3
		.amdhsa_float_denorm_mode_16_64 3
		.amdhsa_fp16_overflow 0
		.amdhsa_memory_ordered 1
		.amdhsa_forward_progress 1
		.amdhsa_inst_pref_size 69
		.amdhsa_round_robin_scheduling 0
		.amdhsa_exception_fp_ieee_invalid_op 0
		.amdhsa_exception_fp_denorm_src 0
		.amdhsa_exception_fp_ieee_div_zero 0
		.amdhsa_exception_fp_ieee_overflow 0
		.amdhsa_exception_fp_ieee_underflow 0
		.amdhsa_exception_fp_ieee_inexact 0
		.amdhsa_exception_int_div_zero 0
	.end_amdhsa_kernel
	.section	.text._ZN9rocsparseL18bsrxmvn_4x4_kernelILj128ELj16E21rocsparse_complex_numIdEliS2_S2_S2_EEvT3_20rocsparse_direction_NS_24const_host_device_scalarIT1_EES3_PKS3_PKT2_SC_S9_PKT4_PKT5_S7_PT6_21rocsparse_index_base_b,"axG",@progbits,_ZN9rocsparseL18bsrxmvn_4x4_kernelILj128ELj16E21rocsparse_complex_numIdEliS2_S2_S2_EEvT3_20rocsparse_direction_NS_24const_host_device_scalarIT1_EES3_PKS3_PKT2_SC_S9_PKT4_PKT5_S7_PT6_21rocsparse_index_base_b,comdat
.Lfunc_end37:
	.size	_ZN9rocsparseL18bsrxmvn_4x4_kernelILj128ELj16E21rocsparse_complex_numIdEliS2_S2_S2_EEvT3_20rocsparse_direction_NS_24const_host_device_scalarIT1_EES3_PKS3_PKT2_SC_S9_PKT4_PKT5_S7_PT6_21rocsparse_index_base_b, .Lfunc_end37-_ZN9rocsparseL18bsrxmvn_4x4_kernelILj128ELj16E21rocsparse_complex_numIdEliS2_S2_S2_EEvT3_20rocsparse_direction_NS_24const_host_device_scalarIT1_EES3_PKS3_PKT2_SC_S9_PKT4_PKT5_S7_PT6_21rocsparse_index_base_b
                                        ; -- End function
	.set _ZN9rocsparseL18bsrxmvn_4x4_kernelILj128ELj16E21rocsparse_complex_numIdEliS2_S2_S2_EEvT3_20rocsparse_direction_NS_24const_host_device_scalarIT1_EES3_PKS3_PKT2_SC_S9_PKT4_PKT5_S7_PT6_21rocsparse_index_base_b.num_vgpr, 177
	.set _ZN9rocsparseL18bsrxmvn_4x4_kernelILj128ELj16E21rocsparse_complex_numIdEliS2_S2_S2_EEvT3_20rocsparse_direction_NS_24const_host_device_scalarIT1_EES3_PKS3_PKT2_SC_S9_PKT4_PKT5_S7_PT6_21rocsparse_index_base_b.num_agpr, 0
	.set _ZN9rocsparseL18bsrxmvn_4x4_kernelILj128ELj16E21rocsparse_complex_numIdEliS2_S2_S2_EEvT3_20rocsparse_direction_NS_24const_host_device_scalarIT1_EES3_PKS3_PKT2_SC_S9_PKT4_PKT5_S7_PT6_21rocsparse_index_base_b.numbered_sgpr, 14
	.set _ZN9rocsparseL18bsrxmvn_4x4_kernelILj128ELj16E21rocsparse_complex_numIdEliS2_S2_S2_EEvT3_20rocsparse_direction_NS_24const_host_device_scalarIT1_EES3_PKS3_PKT2_SC_S9_PKT4_PKT5_S7_PT6_21rocsparse_index_base_b.num_named_barrier, 0
	.set _ZN9rocsparseL18bsrxmvn_4x4_kernelILj128ELj16E21rocsparse_complex_numIdEliS2_S2_S2_EEvT3_20rocsparse_direction_NS_24const_host_device_scalarIT1_EES3_PKS3_PKT2_SC_S9_PKT4_PKT5_S7_PT6_21rocsparse_index_base_b.private_seg_size, 0
	.set _ZN9rocsparseL18bsrxmvn_4x4_kernelILj128ELj16E21rocsparse_complex_numIdEliS2_S2_S2_EEvT3_20rocsparse_direction_NS_24const_host_device_scalarIT1_EES3_PKS3_PKT2_SC_S9_PKT4_PKT5_S7_PT6_21rocsparse_index_base_b.uses_vcc, 1
	.set _ZN9rocsparseL18bsrxmvn_4x4_kernelILj128ELj16E21rocsparse_complex_numIdEliS2_S2_S2_EEvT3_20rocsparse_direction_NS_24const_host_device_scalarIT1_EES3_PKS3_PKT2_SC_S9_PKT4_PKT5_S7_PT6_21rocsparse_index_base_b.uses_flat_scratch, 0
	.set _ZN9rocsparseL18bsrxmvn_4x4_kernelILj128ELj16E21rocsparse_complex_numIdEliS2_S2_S2_EEvT3_20rocsparse_direction_NS_24const_host_device_scalarIT1_EES3_PKS3_PKT2_SC_S9_PKT4_PKT5_S7_PT6_21rocsparse_index_base_b.has_dyn_sized_stack, 0
	.set _ZN9rocsparseL18bsrxmvn_4x4_kernelILj128ELj16E21rocsparse_complex_numIdEliS2_S2_S2_EEvT3_20rocsparse_direction_NS_24const_host_device_scalarIT1_EES3_PKS3_PKT2_SC_S9_PKT4_PKT5_S7_PT6_21rocsparse_index_base_b.has_recursion, 0
	.set _ZN9rocsparseL18bsrxmvn_4x4_kernelILj128ELj16E21rocsparse_complex_numIdEliS2_S2_S2_EEvT3_20rocsparse_direction_NS_24const_host_device_scalarIT1_EES3_PKS3_PKT2_SC_S9_PKT4_PKT5_S7_PT6_21rocsparse_index_base_b.has_indirect_call, 0
	.section	.AMDGPU.csdata,"",@progbits
; Kernel info:
; codeLenInByte = 8780
; TotalNumSgprs: 16
; NumVgprs: 177
; ScratchSize: 0
; MemoryBound: 1
; FloatMode: 240
; IeeeMode: 1
; LDSByteSize: 0 bytes/workgroup (compile time only)
; SGPRBlocks: 0
; VGPRBlocks: 11
; NumSGPRsForWavesPerEU: 16
; NumVGPRsForWavesPerEU: 177
; NamedBarCnt: 0
; Occupancy: 5
; WaveLimiterHint : 1
; COMPUTE_PGM_RSRC2:SCRATCH_EN: 0
; COMPUTE_PGM_RSRC2:USER_SGPR: 2
; COMPUTE_PGM_RSRC2:TRAP_HANDLER: 0
; COMPUTE_PGM_RSRC2:TGID_X_EN: 1
; COMPUTE_PGM_RSRC2:TGID_Y_EN: 0
; COMPUTE_PGM_RSRC2:TGID_Z_EN: 0
; COMPUTE_PGM_RSRC2:TIDIG_COMP_CNT: 0
	.section	.text._ZN9rocsparseL18bsrxmvn_4x4_kernelILj128ELj32E21rocsparse_complex_numIdEliS2_S2_S2_EEvT3_20rocsparse_direction_NS_24const_host_device_scalarIT1_EES3_PKS3_PKT2_SC_S9_PKT4_PKT5_S7_PT6_21rocsparse_index_base_b,"axG",@progbits,_ZN9rocsparseL18bsrxmvn_4x4_kernelILj128ELj32E21rocsparse_complex_numIdEliS2_S2_S2_EEvT3_20rocsparse_direction_NS_24const_host_device_scalarIT1_EES3_PKS3_PKT2_SC_S9_PKT4_PKT5_S7_PT6_21rocsparse_index_base_b,comdat
	.globl	_ZN9rocsparseL18bsrxmvn_4x4_kernelILj128ELj32E21rocsparse_complex_numIdEliS2_S2_S2_EEvT3_20rocsparse_direction_NS_24const_host_device_scalarIT1_EES3_PKS3_PKT2_SC_S9_PKT4_PKT5_S7_PT6_21rocsparse_index_base_b ; -- Begin function _ZN9rocsparseL18bsrxmvn_4x4_kernelILj128ELj32E21rocsparse_complex_numIdEliS2_S2_S2_EEvT3_20rocsparse_direction_NS_24const_host_device_scalarIT1_EES3_PKS3_PKT2_SC_S9_PKT4_PKT5_S7_PT6_21rocsparse_index_base_b
	.p2align	8
	.type	_ZN9rocsparseL18bsrxmvn_4x4_kernelILj128ELj32E21rocsparse_complex_numIdEliS2_S2_S2_EEvT3_20rocsparse_direction_NS_24const_host_device_scalarIT1_EES3_PKS3_PKT2_SC_S9_PKT4_PKT5_S7_PT6_21rocsparse_index_base_b,@function
_ZN9rocsparseL18bsrxmvn_4x4_kernelILj128ELj32E21rocsparse_complex_numIdEliS2_S2_S2_EEvT3_20rocsparse_direction_NS_24const_host_device_scalarIT1_EES3_PKS3_PKT2_SC_S9_PKT4_PKT5_S7_PT6_21rocsparse_index_base_b: ; @_ZN9rocsparseL18bsrxmvn_4x4_kernelILj128ELj32E21rocsparse_complex_numIdEliS2_S2_S2_EEvT3_20rocsparse_direction_NS_24const_host_device_scalarIT1_EES3_PKS3_PKT2_SC_S9_PKT4_PKT5_S7_PT6_21rocsparse_index_base_b
; %bb.0:
	s_clause 0x1
	s_load_b64 s[12:13], s[0:1], 0x68
	s_load_b64 s[2:3], s[0:1], 0x8
	v_mov_b32_e32 v1, 0
	s_add_nc_u64 s[4:5], s[0:1], 8
	s_load_b64 s[6:7], s[0:1], 0x50
	s_wait_kmcnt 0x0
	s_bitcmp1_b32 s13, 0
	s_cselect_b32 s3, s5, s3
	s_cselect_b32 s2, s4, s2
	flat_load_b128 v[6:9], v1, s[2:3]
	s_wait_xcnt 0x0
	s_add_nc_u64 s[2:3], s[0:1], 0x50
	s_delay_alu instid0(SALU_CYCLE_1)
	s_cselect_b32 s3, s3, s7
	s_cselect_b32 s2, s2, s6
	flat_load_b128 v[2:5], v1, s[2:3]
	s_wait_loadcnt_dscnt 0x101
	v_cmp_eq_f64_e32 vcc_lo, 0, v[6:7]
	s_wait_xcnt 0x0
	v_cmp_eq_f64_e64 s2, 0, v[8:9]
	s_and_b32 s4, vcc_lo, s2
	s_mov_b32 s2, -1
	s_and_saveexec_b32 s3, s4
	s_cbranch_execz .LBB38_2
; %bb.1:
	s_wait_loadcnt_dscnt 0x0
	v_cmp_neq_f64_e32 vcc_lo, 1.0, v[2:3]
	v_cmp_neq_f64_e64 s2, 0, v[4:5]
	s_or_b32 s2, vcc_lo, s2
	s_delay_alu instid0(SALU_CYCLE_1)
	s_or_not1_b32 s2, s2, exec_lo
.LBB38_2:
	s_or_b32 exec_lo, exec_lo, s3
	s_and_saveexec_b32 s3, s2
	s_cbranch_execz .LBB38_8
; %bb.3:
	s_clause 0x1
	s_load_b64 s[4:5], s[0:1], 0x20
	s_load_b64 s[2:3], s[0:1], 0x0
	s_bfe_u32 s6, ttmp6, 0x4000c
	s_and_b32 s7, ttmp6, 15
	s_add_co_i32 s6, s6, 1
	s_getreg_b32 s8, hwreg(HW_REG_IB_STS2, 6, 4)
	s_mul_i32 s6, ttmp9, s6
	v_lshrrev_b32_e32 v1, 5, v0
	s_add_co_i32 s7, s7, s6
	s_cmp_eq_u32 s8, 0
	s_cselect_b32 s6, ttmp9, s7
	s_delay_alu instid0(VALU_DEP_1) | instid1(SALU_CYCLE_1)
	v_lshl_or_b32 v26, s6, 2, v1
	s_mov_b32 s6, 0
	s_wait_kmcnt 0x0
	s_cmp_lg_u64 s[4:5], 0
	s_cbranch_scc0 .LBB38_9
; %bb.4:
	s_load_b32 s6, s[0:1], 0x18
	s_mov_b32 s7, 0
                                        ; implicit-def: $vgpr1
	s_wait_kmcnt 0x0
	v_cmp_gt_i32_e32 vcc_lo, s6, v26
	s_mov_b32 s6, 0
	s_and_saveexec_b32 s8, vcc_lo
	s_delay_alu instid0(SALU_CYCLE_1)
	s_xor_b32 s8, exec_lo, s8
	s_cbranch_execz .LBB38_6
; %bb.5:
	global_load_b32 v1, v26, s[4:5] scale_offset
	s_mov_b32 s6, exec_lo
	s_wait_loadcnt 0x0
	v_subrev_nc_u32_e32 v1, s12, v1
.LBB38_6:
	s_or_b32 exec_lo, exec_lo, s8
	s_delay_alu instid0(SALU_CYCLE_1)
	s_and_b32 vcc_lo, exec_lo, s7
	s_cbranch_vccz .LBB38_10
.LBB38_7:
	v_cmp_gt_i32_e32 vcc_lo, s2, v26
	s_and_not1_b32 s2, s6, exec_lo
	s_and_b32 s4, vcc_lo, exec_lo
	s_delay_alu instid0(SALU_CYCLE_1) | instskip(NEXT) | instid1(SALU_CYCLE_1)
	s_or_b32 s6, s2, s4
	s_and_b32 exec_lo, exec_lo, s6
	s_cbranch_execnz .LBB38_11
.LBB38_8:
	s_sendmsg sendmsg(MSG_DEALLOC_VGPRS)
	s_endpgm
.LBB38_9:
                                        ; implicit-def: $vgpr1
	s_cbranch_execnz .LBB38_7
.LBB38_10:
	s_delay_alu instid0(VALU_DEP_1)
	v_mov_b32_e32 v26, v1
	s_and_b32 exec_lo, exec_lo, s6
	s_cbranch_execz .LBB38_8
.LBB38_11:
	s_load_b256 s[4:11], s[0:1], 0x28
	s_mov_b32 s13, 0
	v_dual_mov_b32 v1, 0 :: v_dual_bitop2_b32 v0, 31, v0 bitop3:0x40
	s_wait_kmcnt 0x0
	s_cmp_eq_u64 s[6:7], 0
	global_load_b64 v[34:35], v26, s[4:5] scale_offset
	s_cselect_b32 vcc_lo, -1, 0
	v_ashrrev_i32_e32 v27, 31, v26
	s_cmp_eq_u32 s3, 1
	s_delay_alu instid0(VALU_DEP_1) | instskip(NEXT) | instid1(VALU_DEP_1)
	v_lshlrev_b64_e32 v[10:11], 3, v[26:27]
	v_add_nc_u64_e32 v[12:13], s[4:5], v[10:11]
	v_add_nc_u64_e32 v[10:11], s[6:7], v[10:11]
	s_wait_xcnt 0x0
	s_load_b64 s[4:5], s[0:1], 0x48
	s_delay_alu instid0(VALU_DEP_2) | instskip(NEXT) | instid1(VALU_DEP_1)
	v_add_nc_u64_e32 v[12:13], 8, v[12:13]
	v_dual_cndmask_b32 v11, v11, v13 :: v_dual_cndmask_b32 v10, v10, v12
	global_load_b64 v[10:11], v[10:11], off
	s_wait_loadcnt 0x1
	v_sub_nc_u64_e64 v[12:13], v[34:35], s[12:13]
	s_delay_alu instid0(VALU_DEP_1) | instskip(NEXT) | instid1(VALU_DEP_1)
	v_add_nc_u64_e32 v[18:19], v[12:13], v[0:1]
	v_lshlrev_b64_e32 v[12:13], 8, v[18:19]
	s_delay_alu instid0(VALU_DEP_1) | instskip(SKIP_2) | instid1(VALU_DEP_1)
	v_add_nc_u64_e32 v[22:23], s[10:11], v[12:13]
	s_wait_loadcnt 0x0
	v_sub_nc_u64_e64 v[20:21], v[10:11], s[12:13]
	v_cmp_lt_i64_e64 s2, v[18:19], v[20:21]
	s_cbranch_scc1 .LBB38_23
; %bb.12:
	v_mov_b64_e32 v[10:11], 0
	v_mov_b64_e32 v[32:33], 0
	;; [unrolled: 1-line block ×8, first 2 shown]
	s_and_saveexec_b32 s3, s2
	s_cbranch_execz .LBB38_22
; %bb.13:
	v_dual_mov_b32 v11, v1 :: v_dual_bitop2_b32 v10, 32, v0 bitop3:0x54
	v_sub_nc_u64_e32 v[12:13], s[12:13], v[0:1]
	v_not_b32_e32 v15, v35
	v_not_b32_e32 v14, v34
	v_mov_b64_e32 v[30:31], 0
	v_sub_nc_u64_e64 v[10:11], v[10:11], s[12:13]
	v_mov_b64_e32 v[16:17], 0
	v_mov_b64_e32 v[28:29], 0
	v_add_nc_u64_e32 v[12:13], v[12:13], v[14:15]
	v_mov_b64_e32 v[14:15], 0
	v_mov_b64_e32 v[24:25], 0
	;; [unrolled: 1-line block ×3, first 2 shown]
	v_add_nc_u64_e32 v[10:11], v[10:11], v[34:35]
	v_mov_b64_e32 v[36:37], v[22:23]
	v_mov_b64_e32 v[38:39], v[18:19]
	v_mov_b32_e32 v45, 0
	s_mov_b32 s6, exec_lo
	s_delay_alu instid0(VALU_DEP_4) | instskip(NEXT) | instid1(VALU_DEP_1)
	v_max_i64 v[10:11], v[10:11], v[20:21]
	v_add_nc_u64_e32 v[40:41], v[12:13], v[10:11]
	v_mov_b64_e32 v[12:13], 0
	v_mov_b64_e32 v[10:11], 0
	s_delay_alu instid0(VALU_DEP_3) | instskip(NEXT) | instid1(VALU_DEP_1)
	v_and_b32_e32 v44, 0x60, v40
	v_cmpx_ne_u64_e32 0x60, v[44:45]
	s_cbranch_execz .LBB38_17
; %bb.14:
	v_lshrrev_b32_e32 v10, 5, v40
	v_mov_b64_e32 v[32:33], 0
	v_mov_b64_e32 v[24:25], 0
	;; [unrolled: 1-line block ×4, first 2 shown]
	v_add_nc_u32_e32 v12, 1, v10
	v_mov_b64_e32 v[10:11], 0
	v_mov_b64_e32 v[30:31], 0
	;; [unrolled: 1-line block ×4, first 2 shown]
	v_and_b32_e32 v44, 3, v12
	v_mov_b64_e32 v[12:13], 0
	v_mov_b64_e32 v[36:37], v[22:23]
	v_lshl_add_u64 v[42:43], v[18:19], 2, s[8:9]
	s_mov_b32 s7, 0
	v_sub_nc_u64_e32 v[44:45], 0, v[44:45]
.LBB38_15:                              ; =>This Inner Loop Header: Depth=1
	global_load_b32 v27, v[42:43], off
	s_clause 0x6
	global_load_b128 v[46:49], v[36:37], off offset:16
	global_load_b128 v[50:53], v[36:37], off
	global_load_b128 v[54:57], v[36:37], off offset:80
	global_load_b128 v[58:61], v[36:37], off offset:64
	;; [unrolled: 1-line block ×5, first 2 shown]
	v_add_nc_u64_e32 v[44:45], 1, v[44:45]
	v_add_nc_u64_e32 v[38:39], 32, v[38:39]
	s_wait_xcnt 0x7
	v_add_nc_u64_e32 v[42:43], 0x80, v[42:43]
	s_delay_alu instid0(VALU_DEP_3) | instskip(SKIP_3) | instid1(VALU_DEP_1)
	v_cmp_eq_u64_e32 vcc_lo, 0, v[44:45]
	s_or_b32 s7, vcc_lo, s7
	s_wait_loadcnt 0x7
	v_subrev_nc_u32_e32 v27, s12, v27
	v_lshlrev_b32_e32 v27, 2, v27
	s_wait_kmcnt 0x0
	global_load_b128 v[74:77], v27, s[4:5] scale_offset
	global_load_b128 v[78:81], v[36:37], off offset:208
	global_load_b128 v[82:85], v27, s[4:5] offset:16 scale_offset
	s_clause 0x6
	global_load_b128 v[86:89], v[36:37], off offset:48
	global_load_b128 v[90:93], v[36:37], off offset:32
	;; [unrolled: 1-line block ×7, first 2 shown]
	global_load_b128 v[114:117], v27, s[4:5] offset:32 scale_offset
	global_load_b128 v[118:121], v[36:37], off offset:240
	global_load_b128 v[122:125], v27, s[4:5] offset:48 scale_offset
	s_wait_xcnt 0x1
	v_add_nc_u64_e32 v[36:37], 0x2000, v[36:37]
	s_wait_loadcnt 0xc
	v_fmac_f64_e32 v[32:33], v[50:51], v[74:75]
	v_fmac_f64_e32 v[10:11], v[52:53], v[74:75]
	v_fmac_f64_e32 v[30:31], v[58:59], v[74:75]
	v_fmac_f64_e32 v[14:15], v[60:61], v[74:75]
	v_fmac_f64_e32 v[28:29], v[66:67], v[74:75]
	v_fmac_f64_e32 v[16:17], v[68:69], v[74:75]
	v_fmac_f64_e32 v[24:25], v[70:71], v[74:75]
	v_fmac_f64_e32 v[12:13], v[72:73], v[74:75]
	v_fma_f64 v[32:33], -v[52:53], v[76:77], v[32:33]
	v_fmac_f64_e32 v[10:11], v[50:51], v[76:77]
	v_fma_f64 v[30:31], -v[60:61], v[76:77], v[30:31]
	v_fmac_f64_e32 v[14:15], v[58:59], v[76:77]
	v_fma_f64 v[28:29], -v[68:69], v[76:77], v[28:29]
	v_fmac_f64_e32 v[16:17], v[66:67], v[76:77]
	v_fma_f64 v[24:25], -v[72:73], v[76:77], v[24:25]
	v_fmac_f64_e32 v[12:13], v[70:71], v[76:77]
	s_wait_loadcnt 0xa
	v_fmac_f64_e32 v[32:33], v[46:47], v[82:83]
	v_fmac_f64_e32 v[10:11], v[48:49], v[82:83]
	v_fmac_f64_e32 v[30:31], v[54:55], v[82:83]
	v_fmac_f64_e32 v[14:15], v[56:57], v[82:83]
	v_fmac_f64_e32 v[28:29], v[62:63], v[82:83]
	v_fmac_f64_e32 v[16:17], v[64:65], v[82:83]
	v_fmac_f64_e32 v[24:25], v[78:79], v[82:83]
	v_fmac_f64_e32 v[12:13], v[80:81], v[82:83]
	v_fma_f64 v[32:33], -v[48:49], v[84:85], v[32:33]
	v_fmac_f64_e32 v[10:11], v[46:47], v[84:85]
	v_fma_f64 v[30:31], -v[56:57], v[84:85], v[30:31]
	v_fmac_f64_e32 v[14:15], v[54:55], v[84:85]
	v_fma_f64 v[28:29], -v[64:65], v[84:85], v[28:29]
	v_fmac_f64_e32 v[16:17], v[62:63], v[84:85]
	v_fma_f64 v[24:25], -v[80:81], v[84:85], v[24:25]
	v_fmac_f64_e32 v[12:13], v[78:79], v[84:85]
	;; [unrolled: 17-line block ×4, first 2 shown]
	s_and_not1_b32 exec_lo, exec_lo, s7
	s_cbranch_execnz .LBB38_15
; %bb.16:
	s_or_b32 exec_lo, exec_lo, s7
.LBB38_17:
	s_delay_alu instid0(SALU_CYCLE_1) | instskip(NEXT) | instid1(SALU_CYCLE_1)
	s_or_b32 exec_lo, exec_lo, s6
	s_mov_b32 s6, exec_lo
	v_cmpx_lt_u64_e32 0x5f, v[40:41]
	s_cbranch_execz .LBB38_21
; %bb.18:
	v_lshl_add_u64 v[40:41], v[38:39], 2, s[8:9]
	s_mov_b32 s7, 0
	s_delay_alu instid0(VALU_DEP_1)
	v_add_nc_u64_e32 v[40:41], 0x100, v[40:41]
.LBB38_19:                              ; =>This Inner Loop Header: Depth=1
	global_load_b32 v27, v[40:41], off offset:-256
	s_clause 0x15
	global_load_b128 v[42:45], v[36:37], off offset:48
	global_load_b128 v[46:49], v[36:37], off offset:32
	;; [unrolled: 1-line block ×3, first 2 shown]
	global_load_b128 v[54:57], v[36:37], off
	global_load_b128 v[58:61], v[36:37], off offset:112
	global_load_b128 v[62:65], v[36:37], off offset:96
	;; [unrolled: 1-line block ×18, first 2 shown]
	s_clause 0x2
	global_load_b32 v174, v[40:41], off offset:-128
	global_load_b32 v175, v[40:41], off
	global_load_b32 v176, v[40:41], off offset:128
	s_clause 0x7
	global_load_b128 v[130:133], v[36:37], off offset:8272
	global_load_b128 v[134:137], v[36:37], off offset:8256
	global_load_b128 v[138:141], v[36:37], off offset:8368
	global_load_b128 v[142:145], v[36:37], off offset:8352
	global_load_b128 v[146:149], v[36:37], off offset:8336
	global_load_b128 v[150:153], v[36:37], off offset:8320
	global_load_b128 v[154:157], v[36:37], off offset:8432
	global_load_b128 v[158:161], v[36:37], off offset:8416
	v_add_nc_u64_e32 v[38:39], 0x80, v[38:39]
	s_wait_xcnt 0x8
	v_add_nc_u64_e32 v[40:41], 0x200, v[40:41]
	s_delay_alu instid0(VALU_DEP_2) | instskip(SKIP_3) | instid1(VALU_DEP_1)
	v_cmp_ge_i64_e32 vcc_lo, v[38:39], v[20:21]
	s_or_b32 s7, vcc_lo, s7
	s_wait_loadcnt 0x21
	v_subrev_nc_u32_e32 v27, s12, v27
	v_lshlrev_b32_e32 v27, 2, v27
	s_wait_kmcnt 0x0
	s_clause 0x1
	global_load_b128 v[162:165], v27, s[4:5] scale_offset
	global_load_b128 v[166:169], v27, s[4:5] offset:16 scale_offset
	s_wait_loadcnt 0x1
	v_fmac_f64_e32 v[32:33], v[54:55], v[162:163]
	v_fmac_f64_e32 v[10:11], v[56:57], v[162:163]
	;; [unrolled: 1-line block ×8, first 2 shown]
	v_fma_f64 v[170:171], -v[56:57], v[164:165], v[32:33]
	v_fmac_f64_e32 v[10:11], v[54:55], v[164:165]
	v_fma_f64 v[172:173], -v[72:73], v[164:165], v[30:31]
	v_fmac_f64_e32 v[14:15], v[70:71], v[164:165]
	;; [unrolled: 2-line block ×4, first 2 shown]
	s_clause 0x4
	global_load_b128 v[54:57], v[36:37], off offset:8400
	global_load_b128 v[30:33], v[36:37], off offset:8384
	;; [unrolled: 1-line block ×5, first 2 shown]
	s_wait_loadcnt 0x5
	v_fmac_f64_e32 v[170:171], v[50:51], v[166:167]
	v_fmac_f64_e32 v[10:11], v[52:53], v[166:167]
	;; [unrolled: 1-line block ×8, first 2 shown]
	v_fma_f64 v[170:171], -v[52:53], v[168:169], v[170:171]
	v_fmac_f64_e32 v[10:11], v[50:51], v[168:169]
	global_load_b128 v[50:53], v[36:37], off offset:16384
	v_fma_f64 v[172:173], -v[68:69], v[168:169], v[172:173]
	v_fmac_f64_e32 v[14:15], v[66:67], v[168:169]
	global_load_b128 v[66:69], v[36:37], off offset:16496
	;; [unrolled: 3-line block ×3, first 2 shown]
	v_fma_f64 v[24:25], -v[100:101], v[168:169], v[24:25]
	v_fmac_f64_e32 v[12:13], v[98:99], v[168:169]
	s_clause 0x1
	global_load_b128 v[98:101], v27, s[4:5] offset:32 scale_offset
	global_load_b128 v[162:165], v27, s[4:5] offset:48 scale_offset
	s_wait_xcnt 0x0
	v_subrev_nc_u32_e32 v27, s12, v174
	s_delay_alu instid0(VALU_DEP_1)
	v_lshlrev_b32_e32 v27, 2, v27
	s_wait_loadcnt 0x1
	v_fmac_f64_e32 v[170:171], v[46:47], v[98:99]
	v_fmac_f64_e32 v[10:11], v[48:49], v[98:99]
	;; [unrolled: 1-line block ×8, first 2 shown]
	v_fma_f64 v[166:167], -v[48:49], v[100:101], v[170:171]
	v_fmac_f64_e32 v[10:11], v[46:47], v[100:101]
	v_fma_f64 v[168:169], -v[64:65], v[100:101], v[172:173]
	v_fmac_f64_e32 v[14:15], v[62:63], v[100:101]
	;; [unrolled: 2-line block ×4, first 2 shown]
	s_clause 0x4
	global_load_b128 v[46:49], v[36:37], off offset:16464
	global_load_b128 v[62:65], v[36:37], off offset:16448
	;; [unrolled: 1-line block ×5, first 2 shown]
	s_wait_loadcnt 0x5
	v_fmac_f64_e32 v[166:167], v[42:43], v[162:163]
	v_fmac_f64_e32 v[10:11], v[44:45], v[162:163]
	v_fmac_f64_e32 v[168:169], v[58:59], v[162:163]
	v_fmac_f64_e32 v[14:15], v[60:61], v[162:163]
	v_fmac_f64_e32 v[28:29], v[74:75], v[162:163]
	v_fmac_f64_e32 v[16:17], v[76:77], v[162:163]
	v_fmac_f64_e32 v[24:25], v[90:91], v[162:163]
	v_fmac_f64_e32 v[12:13], v[92:93], v[162:163]
	v_fma_f64 v[166:167], -v[44:45], v[164:165], v[166:167]
	v_fmac_f64_e32 v[10:11], v[42:43], v[164:165]
	global_load_b128 v[42:45], v[36:37], off offset:16512
	v_fma_f64 v[168:169], -v[60:61], v[164:165], v[168:169]
	v_fmac_f64_e32 v[14:15], v[58:59], v[164:165]
	global_load_b128 v[58:61], v[36:37], off offset:16624
	;; [unrolled: 3-line block ×3, first 2 shown]
	v_fma_f64 v[24:25], -v[92:93], v[164:165], v[24:25]
	v_fmac_f64_e32 v[12:13], v[90:91], v[164:165]
	s_clause 0x1
	global_load_b128 v[90:93], v27, s[4:5] scale_offset
	global_load_b128 v[162:165], v27, s[4:5] offset:16 scale_offset
	s_wait_loadcnt 0x1
	v_fmac_f64_e32 v[166:167], v[118:119], v[90:91]
	v_fmac_f64_e32 v[168:169], v[134:135], v[90:91]
	;; [unrolled: 1-line block ×8, first 2 shown]
	v_fma_f64 v[166:167], -v[120:121], v[92:93], v[166:167]
	v_fma_f64 v[168:169], -v[136:137], v[92:93], v[168:169]
	v_fmac_f64_e32 v[14:15], v[134:135], v[92:93]
	v_fmac_f64_e32 v[10:11], v[118:119], v[92:93]
	s_clause 0x1
	global_load_b128 v[118:121], v[36:37], off offset:16592
	global_load_b128 v[134:137], v[36:37], off offset:16576
	v_fma_f64 v[170:171], -v[152:153], v[92:93], v[28:29]
	v_fmac_f64_e32 v[16:17], v[150:151], v[92:93]
	global_load_b128 v[150:153], v[36:37], off offset:24592
	v_fma_f64 v[24:25], -v[32:33], v[92:93], v[24:25]
	v_fmac_f64_e32 v[12:13], v[30:31], v[92:93]
	s_clause 0x1
	global_load_b128 v[28:31], v[36:37], off offset:24576
	global_load_b128 v[90:93], v[36:37], off offset:24656
	s_wait_loadcnt 0x5
	v_fmac_f64_e32 v[166:167], v[114:115], v[162:163]
	v_fmac_f64_e32 v[168:169], v[130:131], v[162:163]
	;; [unrolled: 1-line block ×8, first 2 shown]
	v_fma_f64 v[32:33], -v[116:117], v[164:165], v[166:167]
	v_fma_f64 v[166:167], -v[132:133], v[164:165], v[168:169]
	v_fmac_f64_e32 v[14:15], v[130:131], v[164:165]
	global_load_b128 v[130:133], v27, s[4:5] offset:32 scale_offset
	v_fmac_f64_e32 v[10:11], v[114:115], v[164:165]
	global_load_b128 v[114:117], v[36:37], off offset:24640
	v_fma_f64 v[168:169], -v[148:149], v[164:165], v[170:171]
	v_fmac_f64_e32 v[16:17], v[146:147], v[164:165]
	global_load_b128 v[146:149], v27, s[4:5] offset:48 scale_offset
	s_wait_xcnt 0x0
	v_subrev_nc_u32_e32 v27, s12, v175
	v_fma_f64 v[24:25], -v[56:57], v[164:165], v[24:25]
	v_fmac_f64_e32 v[12:13], v[54:55], v[164:165]
	global_load_b128 v[54:57], v[36:37], off offset:24720
	v_lshlrev_b32_e32 v27, 2, v27
	global_load_b128 v[162:165], v27, s[4:5] scale_offset
	s_wait_loadcnt 0x4
	v_fmac_f64_e32 v[32:33], v[110:111], v[130:131]
	v_fmac_f64_e32 v[10:11], v[112:113], v[130:131]
	;; [unrolled: 1-line block ×8, first 2 shown]
	v_fma_f64 v[32:33], -v[112:113], v[132:133], v[32:33]
	v_fmac_f64_e32 v[10:11], v[110:111], v[132:133]
	global_load_b128 v[110:113], v27, s[4:5] offset:16 scale_offset
	v_fma_f64 v[168:169], -v[144:145], v[132:133], v[168:169]
	v_fmac_f64_e32 v[16:17], v[142:143], v[132:133]
	global_load_b128 v[142:145], v27, s[4:5] offset:32 scale_offset
	v_fma_f64 v[166:167], -v[128:129], v[132:133], v[166:167]
	v_fmac_f64_e32 v[14:15], v[126:127], v[132:133]
	global_load_b128 v[126:129], v[36:37], off offset:24704
	v_fma_f64 v[24:25], -v[160:161], v[132:133], v[24:25]
	v_fmac_f64_e32 v[12:13], v[158:159], v[132:133]
	global_load_b128 v[130:133], v[36:37], off offset:24784
	global_load_b128 v[158:161], v27, s[4:5] offset:48 scale_offset
	s_wait_xcnt 0x0
	v_subrev_nc_u32_e32 v27, s12, v176
	s_delay_alu instid0(VALU_DEP_1)
	v_lshlrev_b32_e32 v27, 2, v27
	s_wait_loadcnt 0x7
	v_fmac_f64_e32 v[32:33], v[106:107], v[146:147]
	v_fmac_f64_e32 v[10:11], v[108:109], v[146:147]
	;; [unrolled: 1-line block ×8, first 2 shown]
	v_fma_f64 v[32:33], -v[108:109], v[148:149], v[32:33]
	v_fmac_f64_e32 v[10:11], v[106:107], v[148:149]
	global_load_b128 v[106:109], v[36:37], off offset:24768
	v_fma_f64 v[168:169], -v[140:141], v[148:149], v[168:169]
	v_fmac_f64_e32 v[16:17], v[138:139], v[148:149]
	global_load_b128 v[138:141], v[36:37], off offset:24624
	v_fma_f64 v[166:167], -v[124:125], v[148:149], v[166:167]
	v_fmac_f64_e32 v[14:15], v[122:123], v[148:149]
	global_load_b128 v[122:125], v27, s[4:5] scale_offset
	v_fma_f64 v[24:25], -v[156:157], v[148:149], v[24:25]
	v_fmac_f64_e32 v[12:13], v[154:155], v[148:149]
	global_load_b128 v[146:149], v[36:37], off offset:24608
	global_load_b128 v[154:157], v27, s[4:5] offset:16 scale_offset
	s_wait_loadcnt 0xa
	v_fmac_f64_e32 v[32:33], v[50:51], v[162:163]
	v_fmac_f64_e32 v[10:11], v[52:53], v[162:163]
	;; [unrolled: 1-line block ×8, first 2 shown]
	v_fma_f64 v[32:33], -v[52:53], v[164:165], v[32:33]
	v_fmac_f64_e32 v[10:11], v[50:51], v[164:165]
	global_load_b128 v[50:53], v[36:37], off offset:24688
	v_fma_f64 v[168:169], -v[44:45], v[164:165], v[168:169]
	v_fmac_f64_e32 v[16:17], v[42:43], v[164:165]
	global_load_b128 v[42:45], v[36:37], off offset:24752
	;; [unrolled: 3-line block ×3, first 2 shown]
	v_fma_f64 v[24:25], -v[136:137], v[164:165], v[24:25]
	v_fmac_f64_e32 v[12:13], v[134:135], v[164:165]
	s_clause 0x1
	global_load_b128 v[134:137], v[36:37], off offset:24736
	global_load_b128 v[162:165], v[36:37], off offset:24800
	s_wait_loadcnt 0xe
	v_fmac_f64_e32 v[32:33], v[102:103], v[110:111]
	v_fmac_f64_e32 v[10:11], v[104:105], v[110:111]
	;; [unrolled: 1-line block ×8, first 2 shown]
	v_fma_f64 v[32:33], -v[104:105], v[112:113], v[32:33]
	v_fmac_f64_e32 v[10:11], v[102:103], v[112:113]
	global_load_b128 v[102:105], v27, s[4:5] offset:32 scale_offset
	v_fma_f64 v[110:111], -v[48:49], v[112:113], v[166:167]
	v_fmac_f64_e32 v[14:15], v[46:47], v[112:113]
	v_fma_f64 v[166:167], -v[100:101], v[112:113], v[168:169]
	v_fmac_f64_e32 v[16:17], v[98:99], v[112:113]
	;; [unrolled: 2-line block ×3, first 2 shown]
	global_load_b128 v[46:49], v[36:37], off offset:24816
	global_load_b128 v[98:101], v27, s[4:5] offset:48 scale_offset
	s_wait_xcnt 0x1
	v_add_nc_u64_e32 v[36:37], 0x8000, v[36:37]
	s_wait_loadcnt 0x10
	v_fmac_f64_e32 v[32:33], v[86:87], v[142:143]
	v_fmac_f64_e32 v[10:11], v[88:89], v[142:143]
	v_fmac_f64_e32 v[110:111], v[82:83], v[142:143]
	v_fmac_f64_e32 v[14:15], v[84:85], v[142:143]
	v_fmac_f64_e32 v[166:167], v[94:95], v[142:143]
	v_fmac_f64_e32 v[16:17], v[96:97], v[142:143]
	v_fmac_f64_e32 v[24:25], v[74:75], v[142:143]
	v_fmac_f64_e32 v[12:13], v[76:77], v[142:143]
	v_fma_f64 v[32:33], -v[88:89], v[144:145], v[32:33]
	v_fmac_f64_e32 v[10:11], v[86:87], v[144:145]
	v_fma_f64 v[84:85], -v[84:85], v[144:145], v[110:111]
	v_fmac_f64_e32 v[14:15], v[82:83], v[144:145]
	v_fma_f64 v[82:83], -v[96:97], v[144:145], v[166:167]
	v_fmac_f64_e32 v[16:17], v[94:95], v[144:145]
	v_fma_f64 v[24:25], -v[76:77], v[144:145], v[24:25]
	v_fmac_f64_e32 v[12:13], v[74:75], v[144:145]
	s_wait_loadcnt 0xd
	v_fmac_f64_e32 v[32:33], v[70:71], v[158:159]
	v_fmac_f64_e32 v[10:11], v[72:73], v[158:159]
	v_fmac_f64_e32 v[84:85], v[66:67], v[158:159]
	v_fmac_f64_e32 v[14:15], v[68:69], v[158:159]
	v_fmac_f64_e32 v[82:83], v[78:79], v[158:159]
	v_fmac_f64_e32 v[16:17], v[80:81], v[158:159]
	v_fmac_f64_e32 v[24:25], v[58:59], v[158:159]
	v_fmac_f64_e32 v[12:13], v[60:61], v[158:159]
	v_fma_f64 v[32:33], -v[72:73], v[160:161], v[32:33]
	v_fmac_f64_e32 v[10:11], v[70:71], v[160:161]
	v_fma_f64 v[68:69], -v[68:69], v[160:161], v[84:85]
	v_fmac_f64_e32 v[14:15], v[66:67], v[160:161]
	v_fma_f64 v[66:67], -v[80:81], v[160:161], v[82:83]
	v_fmac_f64_e32 v[16:17], v[78:79], v[160:161]
	v_fma_f64 v[24:25], -v[60:61], v[160:161], v[24:25]
	v_fmac_f64_e32 v[12:13], v[58:59], v[160:161]
	;; [unrolled: 17-line block ×6, first 2 shown]
	s_and_not1_b32 exec_lo, exec_lo, s7
	s_cbranch_execnz .LBB38_19
; %bb.20:
	s_or_b32 exec_lo, exec_lo, s7
.LBB38_21:
	s_delay_alu instid0(SALU_CYCLE_1)
	s_or_b32 exec_lo, exec_lo, s6
.LBB38_22:
	s_delay_alu instid0(SALU_CYCLE_1)
	s_or_b32 exec_lo, exec_lo, s3
	s_cbranch_execz .LBB38_24
	s_branch .LBB38_35
.LBB38_23:
                                        ; implicit-def: $vgpr10_vgpr11
                                        ; implicit-def: $vgpr32_vgpr33
                                        ; implicit-def: $vgpr24_vgpr25
                                        ; implicit-def: $vgpr12_vgpr13
                                        ; implicit-def: $vgpr28_vgpr29
                                        ; implicit-def: $vgpr16_vgpr17
                                        ; implicit-def: $vgpr30_vgpr31
                                        ; implicit-def: $vgpr14_vgpr15
.LBB38_24:
	v_mov_b64_e32 v[10:11], 0
	v_mov_b64_e32 v[32:33], 0
	;; [unrolled: 1-line block ×8, first 2 shown]
	s_and_saveexec_b32 s3, s2
	s_cbranch_execz .LBB38_34
; %bb.25:
	v_dual_mov_b32 v11, v1 :: v_dual_bitop2_b32 v10, 32, v0 bitop3:0x54
	v_sub_nc_u64_e32 v[12:13], s[12:13], v[0:1]
	v_not_b32_e32 v15, v35
	v_not_b32_e32 v14, v34
	v_mov_b64_e32 v[30:31], 0
	v_sub_nc_u64_e64 v[10:11], v[10:11], s[12:13]
	v_mov_b64_e32 v[16:17], 0
	v_mov_b64_e32 v[28:29], 0
	v_add_nc_u64_e32 v[12:13], v[12:13], v[14:15]
	v_mov_b64_e32 v[14:15], 0
	v_mov_b64_e32 v[24:25], 0
	;; [unrolled: 1-line block ×3, first 2 shown]
	v_add_nc_u64_e32 v[10:11], v[10:11], v[34:35]
	v_mov_b32_e32 v37, 0
	s_mov_b32 s2, exec_lo
	s_delay_alu instid0(VALU_DEP_2) | instskip(NEXT) | instid1(VALU_DEP_1)
	v_max_i64 v[10:11], v[10:11], v[20:21]
	v_add_nc_u64_e32 v[34:35], v[12:13], v[10:11]
	v_mov_b64_e32 v[12:13], 0
	v_mov_b64_e32 v[10:11], 0
	s_delay_alu instid0(VALU_DEP_3) | instskip(NEXT) | instid1(VALU_DEP_1)
	v_and_b32_e32 v36, 0x60, v34
	v_cmpx_ne_u64_e32 0x60, v[36:37]
	s_cbranch_execz .LBB38_29
; %bb.26:
	v_lshrrev_b32_e32 v1, 5, v34
	v_mov_b64_e32 v[10:11], 0
	v_mov_b64_e32 v[32:33], 0
	;; [unrolled: 1-line block ×4, first 2 shown]
	v_add_nc_u32_e32 v1, 1, v1
	v_mov_b64_e32 v[28:29], 0
	v_mov_b64_e32 v[16:17], 0
	;; [unrolled: 1-line block ×4, first 2 shown]
	v_and_b32_e32 v36, 3, v1
	v_lshl_add_u64 v[38:39], v[18:19], 2, s[8:9]
	s_mov_b32 s6, 0
	s_delay_alu instid0(VALU_DEP_2)
	v_sub_nc_u64_e32 v[36:37], 0, v[36:37]
.LBB38_27:                              ; =>This Inner Loop Header: Depth=1
	global_load_b32 v1, v[38:39], off
	s_clause 0x3
	global_load_b128 v[40:43], v[22:23], off offset:48
	global_load_b128 v[44:47], v[22:23], off offset:32
	;; [unrolled: 1-line block ×3, first 2 shown]
	global_load_b128 v[52:55], v[22:23], off
	v_add_nc_u64_e32 v[36:37], 1, v[36:37]
	v_add_nc_u64_e32 v[18:19], 32, v[18:19]
	s_wait_xcnt 0x4
	v_add_nc_u64_e32 v[38:39], 0x80, v[38:39]
	s_delay_alu instid0(VALU_DEP_3) | instskip(SKIP_3) | instid1(VALU_DEP_1)
	v_cmp_eq_u64_e32 vcc_lo, 0, v[36:37]
	s_or_b32 s6, vcc_lo, s6
	s_wait_loadcnt 0x4
	v_subrev_nc_u32_e32 v1, s12, v1
	v_lshlrev_b32_e32 v1, 2, v1
	s_wait_kmcnt 0x0
	global_load_b128 v[56:59], v1, s[4:5] scale_offset
	s_clause 0x3
	global_load_b128 v[60:63], v[22:23], off offset:64
	global_load_b128 v[64:67], v[22:23], off offset:80
	;; [unrolled: 1-line block ×4, first 2 shown]
	global_load_b128 v[76:79], v1, s[4:5] offset:16 scale_offset
	s_clause 0x3
	global_load_b128 v[80:83], v[22:23], off offset:176
	global_load_b128 v[84:87], v[22:23], off offset:160
	;; [unrolled: 1-line block ×4, first 2 shown]
	s_clause 0x1
	global_load_b128 v[96:99], v1, s[4:5] offset:32 scale_offset
	global_load_b128 v[100:103], v1, s[4:5] offset:48 scale_offset
	s_clause 0x3
	global_load_b128 v[104:107], v[22:23], off offset:192
	global_load_b128 v[108:111], v[22:23], off offset:208
	;; [unrolled: 1-line block ×3, first 2 shown]
	; meta instruction
	global_load_b128 v[116:119], v[22:23], off offset:240
	s_wait_xcnt 0x0
	v_add_nc_u64_e32 v[22:23], 0x2000, v[22:23]
	s_wait_loadcnt 0xf
	v_fmac_f64_e32 v[32:33], v[52:53], v[56:57]
	v_fmac_f64_e32 v[10:11], v[54:55], v[56:57]
	v_fmac_f64_e32 v[30:31], v[48:49], v[56:57]
	v_fmac_f64_e32 v[14:15], v[50:51], v[56:57]
	v_fmac_f64_e32 v[28:29], v[44:45], v[56:57]
	v_fmac_f64_e32 v[16:17], v[46:47], v[56:57]
	v_fmac_f64_e32 v[24:25], v[40:41], v[56:57]
	v_fmac_f64_e32 v[12:13], v[42:43], v[56:57]
	v_fma_f64 v[32:33], -v[54:55], v[58:59], v[32:33]
	v_fmac_f64_e32 v[10:11], v[52:53], v[58:59]
	v_fma_f64 v[30:31], -v[50:51], v[58:59], v[30:31]
	v_fmac_f64_e32 v[14:15], v[48:49], v[58:59]
	v_fma_f64 v[28:29], -v[46:47], v[58:59], v[28:29]
	v_fmac_f64_e32 v[16:17], v[44:45], v[58:59]
	v_fma_f64 v[24:25], -v[42:43], v[58:59], v[24:25]
	v_fmac_f64_e32 v[12:13], v[40:41], v[58:59]
	s_wait_loadcnt 0xa
	v_fmac_f64_e32 v[32:33], v[60:61], v[76:77]
	v_fmac_f64_e32 v[10:11], v[62:63], v[76:77]
	v_fmac_f64_e32 v[30:31], v[64:65], v[76:77]
	v_fmac_f64_e32 v[14:15], v[66:67], v[76:77]
	v_fmac_f64_e32 v[28:29], v[68:69], v[76:77]
	v_fmac_f64_e32 v[16:17], v[70:71], v[76:77]
	v_fmac_f64_e32 v[24:25], v[72:73], v[76:77]
	v_fmac_f64_e32 v[12:13], v[74:75], v[76:77]
	v_fma_f64 v[32:33], -v[62:63], v[78:79], v[32:33]
	v_fmac_f64_e32 v[10:11], v[60:61], v[78:79]
	v_fma_f64 v[30:31], -v[66:67], v[78:79], v[30:31]
	v_fmac_f64_e32 v[14:15], v[64:65], v[78:79]
	v_fma_f64 v[28:29], -v[70:71], v[78:79], v[28:29]
	v_fmac_f64_e32 v[16:17], v[68:69], v[78:79]
	v_fma_f64 v[24:25], -v[74:75], v[78:79], v[24:25]
	v_fmac_f64_e32 v[12:13], v[72:73], v[78:79]
	;; [unrolled: 17-line block ×3, first 2 shown]
	s_wait_loadcnt 0x3
	v_fmac_f64_e32 v[32:33], v[104:105], v[100:101]
	v_fmac_f64_e32 v[10:11], v[106:107], v[100:101]
	s_wait_loadcnt 0x2
	v_fmac_f64_e32 v[30:31], v[108:109], v[100:101]
	v_fmac_f64_e32 v[14:15], v[110:111], v[100:101]
	;; [unrolled: 3-line block ×4, first 2 shown]
	v_fma_f64 v[32:33], -v[106:107], v[102:103], v[32:33]
	v_fmac_f64_e32 v[10:11], v[104:105], v[102:103]
	v_fma_f64 v[30:31], -v[110:111], v[102:103], v[30:31]
	v_fmac_f64_e32 v[14:15], v[108:109], v[102:103]
	;; [unrolled: 2-line block ×4, first 2 shown]
	s_and_not1_b32 exec_lo, exec_lo, s6
	s_cbranch_execnz .LBB38_27
; %bb.28:
	s_or_b32 exec_lo, exec_lo, s6
.LBB38_29:
	s_delay_alu instid0(SALU_CYCLE_1) | instskip(NEXT) | instid1(SALU_CYCLE_1)
	s_or_b32 exec_lo, exec_lo, s2
	s_mov_b32 s2, exec_lo
	v_cmpx_lt_u64_e32 0x5f, v[34:35]
	s_cbranch_execz .LBB38_33
; %bb.30:
	v_lshl_add_u64 v[34:35], v[18:19], 2, s[8:9]
	s_mov_b32 s6, 0
	s_delay_alu instid0(VALU_DEP_1)
	v_add_nc_u64_e32 v[34:35], 0x100, v[34:35]
.LBB38_31:                              ; =>This Inner Loop Header: Depth=1
	global_load_b32 v1, v[34:35], off offset:-256
	s_clause 0x11
	global_load_b128 v[36:39], v[22:23], off offset:48
	global_load_b128 v[40:43], v[22:23], off offset:32
	global_load_b128 v[44:47], v[22:23], off offset:16
	global_load_b128 v[48:51], v[22:23], off
	global_load_b128 v[52:55], v[22:23], off offset:112
	global_load_b128 v[56:59], v[22:23], off offset:96
	;; [unrolled: 1-line block ×14, first 2 shown]
	s_clause 0x2
	global_load_b32 v27, v[34:35], off offset:-128
	global_load_b32 v152, v[34:35], off
	global_load_b32 v153, v[34:35], off offset:128
	s_clause 0x7
	global_load_b128 v[108:111], v[22:23], off offset:8208
	global_load_b128 v[112:115], v[22:23], off offset:8192
	;; [unrolled: 1-line block ×8, first 2 shown]
	v_add_nc_u64_e32 v[18:19], 0x80, v[18:19]
	s_wait_xcnt 0x8
	v_add_nc_u64_e32 v[34:35], 0x200, v[34:35]
	s_delay_alu instid0(VALU_DEP_2) | instskip(SKIP_3) | instid1(VALU_DEP_1)
	v_cmp_ge_i64_e32 vcc_lo, v[18:19], v[20:21]
	s_or_b32 s6, vcc_lo, s6
	s_wait_loadcnt 0x1d
	v_subrev_nc_u32_e32 v1, s12, v1
	v_lshlrev_b32_e32 v1, 2, v1
	s_wait_kmcnt 0x0
	s_clause 0x1
	global_load_b128 v[140:143], v1, s[4:5] scale_offset
	global_load_b128 v[144:147], v1, s[4:5] offset:16 scale_offset
	s_wait_loadcnt 0x1
	v_fmac_f64_e32 v[32:33], v[48:49], v[140:141]
	v_fmac_f64_e32 v[10:11], v[50:51], v[140:141]
	;; [unrolled: 1-line block ×8, first 2 shown]
	v_fma_f64 v[148:149], -v[50:51], v[142:143], v[32:33]
	v_fmac_f64_e32 v[10:11], v[48:49], v[142:143]
	v_fma_f64 v[150:151], -v[46:47], v[142:143], v[30:31]
	v_fmac_f64_e32 v[14:15], v[44:45], v[142:143]
	v_fma_f64 v[28:29], -v[42:43], v[142:143], v[28:29]
	v_fmac_f64_e32 v[16:17], v[40:41], v[142:143]
	v_fma_f64 v[24:25], -v[38:39], v[142:143], v[24:25]
	v_fmac_f64_e32 v[12:13], v[36:37], v[142:143]
	s_clause 0x4
	global_load_b128 v[48:51], v[22:23], off offset:8336
	global_load_b128 v[30:33], v[22:23], off offset:8320
	;; [unrolled: 1-line block ×5, first 2 shown]
	s_wait_loadcnt 0x5
	v_fmac_f64_e32 v[148:149], v[64:65], v[144:145]
	v_fmac_f64_e32 v[10:11], v[66:67], v[144:145]
	v_fmac_f64_e32 v[150:151], v[60:61], v[144:145]
	v_fmac_f64_e32 v[14:15], v[62:63], v[144:145]
	v_fmac_f64_e32 v[28:29], v[56:57], v[144:145]
	v_fmac_f64_e32 v[16:17], v[58:59], v[144:145]
	v_fmac_f64_e32 v[24:25], v[52:53], v[144:145]
	v_fmac_f64_e32 v[12:13], v[54:55], v[144:145]
	v_fma_f64 v[148:149], -v[66:67], v[146:147], v[148:149]
	v_fmac_f64_e32 v[10:11], v[64:65], v[146:147]
	global_load_b128 v[64:67], v[22:23], off offset:8384
	v_fma_f64 v[150:151], -v[62:63], v[146:147], v[150:151]
	v_fmac_f64_e32 v[14:15], v[60:61], v[146:147]
	global_load_b128 v[60:63], v[22:23], off offset:16432
	;; [unrolled: 3-line block ×3, first 2 shown]
	v_fma_f64 v[24:25], -v[54:55], v[146:147], v[24:25]
	v_fmac_f64_e32 v[12:13], v[52:53], v[146:147]
	s_clause 0x1
	global_load_b128 v[52:55], v1, s[4:5] offset:32 scale_offset
	global_load_b128 v[140:143], v1, s[4:5] offset:48 scale_offset
	s_wait_xcnt 0x0
	v_subrev_nc_u32_e32 v1, s12, v27
	v_subrev_nc_u32_e32 v27, s12, v153
	s_delay_alu instid0(VALU_DEP_1)
	v_dual_lshlrev_b32 v1, 2, v1 :: v_dual_lshlrev_b32 v27, 2, v27
	s_wait_loadcnt 0x1
	v_fmac_f64_e32 v[148:149], v[80:81], v[52:53]
	v_fmac_f64_e32 v[10:11], v[82:83], v[52:53]
	;; [unrolled: 1-line block ×8, first 2 shown]
	v_fma_f64 v[144:145], -v[82:83], v[54:55], v[148:149]
	v_fmac_f64_e32 v[10:11], v[80:81], v[54:55]
	v_fma_f64 v[146:147], -v[78:79], v[54:55], v[150:151]
	v_fmac_f64_e32 v[14:15], v[76:77], v[54:55]
	;; [unrolled: 2-line block ×4, first 2 shown]
	s_clause 0x4
	global_load_b128 v[80:83], v[22:23], off offset:16400
	global_load_b128 v[76:79], v[22:23], off offset:16384
	;; [unrolled: 1-line block ×5, first 2 shown]
	s_wait_loadcnt 0x5
	v_fmac_f64_e32 v[144:145], v[96:97], v[140:141]
	v_fmac_f64_e32 v[10:11], v[98:99], v[140:141]
	;; [unrolled: 1-line block ×8, first 2 shown]
	v_fma_f64 v[144:145], -v[98:99], v[142:143], v[144:145]
	v_fmac_f64_e32 v[10:11], v[96:97], v[142:143]
	global_load_b128 v[96:99], v[22:23], off offset:16448
	v_fma_f64 v[146:147], -v[94:95], v[142:143], v[146:147]
	v_fmac_f64_e32 v[14:15], v[92:93], v[142:143]
	global_load_b128 v[92:95], v[22:23], off offset:16560
	;; [unrolled: 3-line block ×3, first 2 shown]
	v_fma_f64 v[24:25], -v[86:87], v[142:143], v[24:25]
	v_fmac_f64_e32 v[12:13], v[84:85], v[142:143]
	s_clause 0x1
	global_load_b128 v[84:87], v1, s[4:5] scale_offset
	global_load_b128 v[140:143], v1, s[4:5] offset:16 scale_offset
	s_wait_loadcnt 0x1
	v_fmac_f64_e32 v[144:145], v[112:113], v[84:85]
	v_fmac_f64_e32 v[10:11], v[114:115], v[84:85]
	;; [unrolled: 1-line block ×8, first 2 shown]
	v_fma_f64 v[144:145], -v[114:115], v[86:87], v[144:145]
	v_fmac_f64_e32 v[10:11], v[112:113], v[86:87]
	v_fma_f64 v[146:147], -v[110:111], v[86:87], v[146:147]
	v_fmac_f64_e32 v[14:15], v[108:109], v[86:87]
	;; [unrolled: 2-line block ×4, first 2 shown]
	s_clause 0x4
	global_load_b128 v[112:115], v[22:23], off offset:16528
	global_load_b128 v[108:111], v[22:23], off offset:16512
	;; [unrolled: 1-line block ×5, first 2 shown]
	s_wait_loadcnt 0x5
	v_fmac_f64_e32 v[144:145], v[128:129], v[140:141]
	v_fmac_f64_e32 v[10:11], v[130:131], v[140:141]
	;; [unrolled: 1-line block ×8, first 2 shown]
	v_fma_f64 v[144:145], -v[130:131], v[142:143], v[144:145]
	v_fmac_f64_e32 v[10:11], v[128:129], v[142:143]
	global_load_b128 v[128:131], v[22:23], off offset:16576
	v_fma_f64 v[146:147], -v[126:127], v[142:143], v[146:147]
	v_fmac_f64_e32 v[14:15], v[124:125], v[142:143]
	global_load_b128 v[124:127], v[22:23], off offset:24624
	;; [unrolled: 3-line block ×3, first 2 shown]
	v_fma_f64 v[24:25], -v[118:119], v[142:143], v[24:25]
	v_fmac_f64_e32 v[12:13], v[116:117], v[142:143]
	s_clause 0x1
	global_load_b128 v[116:119], v1, s[4:5] offset:32 scale_offset
	global_load_b128 v[140:143], v1, s[4:5] offset:48 scale_offset
	s_wait_xcnt 0x0
	v_subrev_nc_u32_e32 v1, s12, v152
	s_delay_alu instid0(VALU_DEP_1)
	v_lshlrev_b32_e32 v1, 2, v1
	s_wait_loadcnt 0x1
	v_fmac_f64_e32 v[144:145], v[30:31], v[116:117]
	v_fmac_f64_e32 v[10:11], v[32:33], v[116:117]
	;; [unrolled: 1-line block ×8, first 2 shown]
	v_fma_f64 v[32:33], -v[32:33], v[118:119], v[144:145]
	v_fmac_f64_e32 v[10:11], v[30:31], v[118:119]
	global_load_b128 v[28:31], v[22:23], off offset:24592
	v_fma_f64 v[144:145], -v[50:51], v[118:119], v[146:147]
	v_fmac_f64_e32 v[14:15], v[48:49], v[118:119]
	global_load_b128 v[48:51], v[22:23], off offset:24576
	;; [unrolled: 3-line block ×3, first 2 shown]
	v_fma_f64 v[24:25], -v[134:135], v[118:119], v[24:25]
	v_fmac_f64_e32 v[12:13], v[132:133], v[118:119]
	s_clause 0x1
	global_load_b128 v[116:119], v[22:23], off offset:24672
	global_load_b128 v[132:135], v[22:23], off offset:24656
	s_wait_loadcnt 0x5
	v_fmac_f64_e32 v[32:33], v[64:65], v[140:141]
	v_fmac_f64_e32 v[10:11], v[66:67], v[140:141]
	;; [unrolled: 1-line block ×8, first 2 shown]
	v_fma_f64 v[32:33], -v[66:67], v[142:143], v[32:33]
	v_fmac_f64_e32 v[10:11], v[64:65], v[142:143]
	global_load_b128 v[64:67], v1, s[4:5] scale_offset
	v_fma_f64 v[144:145], -v[46:47], v[142:143], v[144:145]
	v_fmac_f64_e32 v[14:15], v[44:45], v[142:143]
	global_load_b128 v[44:47], v1, s[4:5] offset:16 scale_offset
	v_fma_f64 v[146:147], -v[38:39], v[142:143], v[146:147]
	v_fmac_f64_e32 v[16:17], v[36:37], v[142:143]
	global_load_b128 v[36:39], v1, s[4:5] offset:32 scale_offset
	;; [unrolled: 3-line block ×3, first 2 shown]
	global_load_b128 v[40:43], v[22:23], off offset:24640
	s_wait_loadcnt 0x4
	v_fmac_f64_e32 v[32:33], v[76:77], v[64:65]
	v_fmac_f64_e32 v[10:11], v[78:79], v[64:65]
	;; [unrolled: 1-line block ×8, first 2 shown]
	v_fma_f64 v[32:33], -v[78:79], v[66:67], v[32:33]
	v_fmac_f64_e32 v[10:11], v[76:77], v[66:67]
	global_load_b128 v[76:79], v27, s[4:5] offset:16 scale_offset
	v_fma_f64 v[144:145], -v[82:83], v[66:67], v[144:145]
	v_fmac_f64_e32 v[14:15], v[80:81], v[66:67]
	global_load_b128 v[80:83], v27, s[4:5] scale_offset
	v_fma_f64 v[148:149], -v[58:59], v[66:67], v[146:147]
	v_fmac_f64_e32 v[16:17], v[56:57], v[66:67]
	v_fma_f64 v[24:25], -v[62:63], v[66:67], v[24:25]
	v_fmac_f64_e32 v[12:13], v[60:61], v[66:67]
	s_clause 0x2
	global_load_b128 v[56:59], v[22:23], off offset:24752
	global_load_b128 v[60:63], v[22:23], off offset:24736
	;; [unrolled: 1-line block ×3, first 2 shown]
	s_wait_loadcnt 0x8
	v_fmac_f64_e32 v[32:33], v[96:97], v[44:45]
	v_fmac_f64_e32 v[10:11], v[98:99], v[44:45]
	;; [unrolled: 1-line block ×8, first 2 shown]
	v_fma_f64 v[32:33], -v[98:99], v[46:47], v[32:33]
	v_fmac_f64_e32 v[10:11], v[96:97], v[46:47]
	global_load_b128 v[96:99], v[22:23], off offset:24704
	v_fma_f64 v[150:151], -v[70:71], v[46:47], v[144:145]
	v_fmac_f64_e32 v[14:15], v[68:69], v[46:47]
	s_clause 0x1
	global_load_b128 v[68:71], v27, s[4:5] offset:48 scale_offset
	global_load_b128 v[144:147], v27, s[4:5] offset:32 scale_offset
	v_fma_f64 v[148:149], -v[54:55], v[46:47], v[148:149]
	v_fmac_f64_e32 v[16:17], v[52:53], v[46:47]
	v_fma_f64 v[24:25], -v[74:75], v[46:47], v[24:25]
	v_fmac_f64_e32 v[12:13], v[72:73], v[46:47]
	s_clause 0x2
	global_load_b128 v[52:55], v[22:23], off offset:24800
	global_load_b128 v[44:47], v[22:23], off offset:24784
	;; [unrolled: 1-line block ×3, first 2 shown]
	s_wait_loadcnt 0xd
	v_fmac_f64_e32 v[32:33], v[108:109], v[36:37]
	v_fmac_f64_e32 v[10:11], v[110:111], v[36:37]
	;; [unrolled: 1-line block ×8, first 2 shown]
	v_fma_f64 v[32:33], -v[110:111], v[38:39], v[32:33]
	v_fmac_f64_e32 v[10:11], v[108:109], v[38:39]
	global_load_b128 v[108:111], v[22:23], off offset:24816
	v_fma_f64 v[36:37], -v[114:115], v[38:39], v[150:151]
	v_fmac_f64_e32 v[14:15], v[112:113], v[38:39]
	s_wait_xcnt 0x0
	v_add_nc_u64_e32 v[22:23], 0x8000, v[22:23]
	v_fma_f64 v[90:91], -v[90:91], v[38:39], v[148:149]
	v_fmac_f64_e32 v[16:17], v[88:89], v[38:39]
	v_fma_f64 v[24:25], -v[94:95], v[38:39], v[24:25]
	v_fmac_f64_e32 v[12:13], v[92:93], v[38:39]
	s_wait_loadcnt 0xd
	v_fmac_f64_e32 v[32:33], v[128:129], v[140:141]
	v_fmac_f64_e32 v[10:11], v[130:131], v[140:141]
	;; [unrolled: 1-line block ×8, first 2 shown]
	v_fma_f64 v[32:33], -v[130:131], v[142:143], v[32:33]
	v_fmac_f64_e32 v[10:11], v[128:129], v[142:143]
	v_fma_f64 v[36:37], -v[102:103], v[142:143], v[36:37]
	v_fmac_f64_e32 v[14:15], v[100:101], v[142:143]
	v_fma_f64 v[38:39], -v[86:87], v[142:143], v[90:91]
	v_fmac_f64_e32 v[16:17], v[84:85], v[142:143]
	v_fma_f64 v[24:25], -v[106:107], v[142:143], v[24:25]
	v_fmac_f64_e32 v[12:13], v[104:105], v[142:143]
	s_wait_loadcnt 0xa
	v_fmac_f64_e32 v[32:33], v[48:49], v[80:81]
	v_fmac_f64_e32 v[10:11], v[50:51], v[80:81]
	;; [unrolled: 1-line block ×8, first 2 shown]
	v_fma_f64 v[32:33], -v[50:51], v[82:83], v[32:33]
	v_fmac_f64_e32 v[10:11], v[48:49], v[82:83]
	v_fma_f64 v[30:31], -v[30:31], v[82:83], v[36:37]
	v_fmac_f64_e32 v[14:15], v[28:29], v[82:83]
	;; [unrolled: 2-line block ×4, first 2 shown]
	v_fmac_f64_e32 v[32:33], v[40:41], v[76:77]
	v_fmac_f64_e32 v[10:11], v[42:43], v[76:77]
	;; [unrolled: 1-line block ×8, first 2 shown]
	v_fma_f64 v[32:33], -v[42:43], v[78:79], v[32:33]
	v_fmac_f64_e32 v[10:11], v[40:41], v[78:79]
	v_fma_f64 v[30:31], -v[134:135], v[78:79], v[30:31]
	v_fmac_f64_e32 v[14:15], v[132:133], v[78:79]
	;; [unrolled: 2-line block ×4, first 2 shown]
	s_wait_loadcnt 0x4
	v_fmac_f64_e32 v[32:33], v[96:97], v[144:145]
	v_fmac_f64_e32 v[10:11], v[98:99], v[144:145]
	;; [unrolled: 1-line block ×8, first 2 shown]
	v_fma_f64 v[32:33], -v[98:99], v[146:147], v[32:33]
	v_fmac_f64_e32 v[10:11], v[96:97], v[146:147]
	v_fma_f64 v[30:31], -v[66:67], v[146:147], v[30:31]
	v_fmac_f64_e32 v[14:15], v[64:65], v[146:147]
	v_fma_f64 v[28:29], -v[62:63], v[146:147], v[28:29]
	v_fmac_f64_e32 v[16:17], v[60:61], v[146:147]
	v_fma_f64 v[24:25], -v[58:59], v[146:147], v[24:25]
	v_fmac_f64_e32 v[12:13], v[56:57], v[146:147]
	s_wait_loadcnt 0x1
	v_fmac_f64_e32 v[32:33], v[72:73], v[68:69]
	v_fmac_f64_e32 v[10:11], v[74:75], v[68:69]
	v_fmac_f64_e32 v[30:31], v[44:45], v[68:69]
	v_fmac_f64_e32 v[14:15], v[46:47], v[68:69]
	v_fmac_f64_e32 v[28:29], v[52:53], v[68:69]
	v_fmac_f64_e32 v[16:17], v[54:55], v[68:69]
	s_wait_loadcnt 0x0
	v_fmac_f64_e32 v[24:25], v[108:109], v[68:69]
	v_fmac_f64_e32 v[12:13], v[110:111], v[68:69]
	v_fma_f64 v[32:33], -v[74:75], v[70:71], v[32:33]
	v_fmac_f64_e32 v[10:11], v[72:73], v[70:71]
	v_fma_f64 v[30:31], -v[46:47], v[70:71], v[30:31]
	;; [unrolled: 2-line block ×4, first 2 shown]
	v_fmac_f64_e32 v[12:13], v[108:109], v[70:71]
	s_and_not1_b32 exec_lo, exec_lo, s6
	s_cbranch_execnz .LBB38_31
; %bb.32:
	s_or_b32 exec_lo, exec_lo, s6
.LBB38_33:
	s_delay_alu instid0(SALU_CYCLE_1)
	s_or_b32 exec_lo, exec_lo, s2
.LBB38_34:
	s_delay_alu instid0(SALU_CYCLE_1)
	s_or_b32 exec_lo, exec_lo, s3
.LBB38_35:
	v_mbcnt_lo_u32_b32 v1, -1, 0
	s_delay_alu instid0(VALU_DEP_1) | instskip(NEXT) | instid1(VALU_DEP_1)
	v_xor_b32_e32 v18, 16, v1
	v_cmp_gt_i32_e32 vcc_lo, 32, v18
	v_cndmask_b32_e32 v18, v1, v18, vcc_lo
	s_delay_alu instid0(VALU_DEP_1)
	v_lshlrev_b32_e32 v27, 2, v18
	ds_bpermute_b32 v20, v27, v10
	ds_bpermute_b32 v21, v27, v11
	;; [unrolled: 1-line block ×6, first 2 shown]
	s_wait_dscnt 0x4
	v_add_f64_e32 v[10:11], v[10:11], v[20:21]
	s_wait_dscnt 0x2
	v_add_f64_e32 v[20:21], v[30:31], v[22:23]
	;; [unrolled: 2-line block ×3, first 2 shown]
	ds_bpermute_b32 v18, v27, v32
	ds_bpermute_b32 v19, v27, v33
	;; [unrolled: 1-line block ×10, first 2 shown]
	v_xor_b32_e32 v27, 8, v1
	s_delay_alu instid0(VALU_DEP_1)
	v_cmp_gt_i32_e32 vcc_lo, 32, v27
	s_wait_dscnt 0x8
	v_add_f64_e32 v[18:19], v[32:33], v[18:19]
	v_cndmask_b32_e32 v27, v1, v27, vcc_lo
	s_wait_dscnt 0x6
	v_add_f64_e32 v[24:25], v[24:25], v[40:41]
	s_wait_dscnt 0x4
	v_add_f64_e32 v[14:15], v[14:15], v[34:35]
	;; [unrolled: 2-line block ×3, first 2 shown]
	v_lshlrev_b32_e32 v27, 2, v27
	s_wait_dscnt 0x0
	v_add_f64_e32 v[12:13], v[12:13], v[42:43]
	ds_bpermute_b32 v30, v27, v10
	ds_bpermute_b32 v31, v27, v11
	;; [unrolled: 1-line block ×8, first 2 shown]
	s_wait_dscnt 0x6
	v_add_f64_e32 v[10:11], v[10:11], v[30:31]
	ds_bpermute_b32 v40, v27, v24
	ds_bpermute_b32 v34, v27, v14
	;; [unrolled: 1-line block ×8, first 2 shown]
	v_xor_b32_e32 v27, 4, v1
	s_delay_alu instid0(VALU_DEP_1)
	v_cmp_gt_i32_e32 vcc_lo, 32, v27
	s_wait_dscnt 0xc
	v_dual_add_f64 v[22:23], v[22:23], v[36:37] :: v_dual_cndmask_b32 v27, v1, v27, vcc_lo
	s_wait_dscnt 0x8
	v_add_f64_e32 v[18:19], v[18:19], v[28:29]
	v_add_f64_e32 v[20:21], v[20:21], v[32:33]
	s_wait_dscnt 0x5
	v_add_f64_e32 v[14:15], v[14:15], v[34:35]
	v_lshlrev_b32_e32 v27, 2, v27
	s_wait_dscnt 0x0
	v_add_f64_e32 v[12:13], v[12:13], v[42:43]
	ds_bpermute_b32 v30, v27, v10
	ds_bpermute_b32 v31, v27, v11
	;; [unrolled: 1-line block ×12, first 2 shown]
	s_wait_dscnt 0x8
	v_add_f64_e32 v[22:23], v[22:23], v[36:37]
	s_wait_dscnt 0x6
	v_add_f64_e32 v[18:19], v[18:19], v[28:29]
	v_dual_add_f64 v[28:29], v[10:11], v[30:31] :: v_dual_bitop2_b32 v10, 2, v1 bitop3:0x14
	v_add_f64_e32 v[16:17], v[16:17], v[38:39]
	s_wait_dscnt 0x4
	v_add_f64_e32 v[20:21], v[20:21], v[32:33]
	s_wait_dscnt 0x2
	v_add_f64_e32 v[14:15], v[14:15], v[34:35]
	v_cmp_gt_i32_e32 vcc_lo, 32, v10
	s_wait_dscnt 0x0
	v_add_f64_e32 v[34:35], v[12:13], v[42:43]
	v_cndmask_b32_e32 v10, v1, v10, vcc_lo
	v_add_f64_e32 v[24:25], v[24:25], v[40:41]
	ds_bpermute_b32 v38, v27, v16
	ds_bpermute_b32 v39, v27, v17
	;; [unrolled: 1-line block ×4, first 2 shown]
	v_lshlrev_b32_e32 v27, 2, v10
	ds_bpermute_b32 v10, v27, v18
	ds_bpermute_b32 v11, v27, v19
	;; [unrolled: 1-line block ×4, first 2 shown]
	s_wait_dscnt 0x6
	v_add_f64_e32 v[16:17], v[16:17], v[38:39]
	ds_bpermute_b32 v36, v27, v14
	ds_bpermute_b32 v37, v27, v15
	;; [unrolled: 1-line block ×6, first 2 shown]
	s_wait_dscnt 0xa
	v_add_f64_e32 v[32:33], v[24:25], v[40:41]
	ds_bpermute_b32 v24, v27, v20
	ds_bpermute_b32 v25, v27, v21
	s_wait_dscnt 0xa
	v_add_f64_e32 v[10:11], v[18:19], v[10:11]
	s_wait_dscnt 0x8
	v_add_f64_e32 v[30:31], v[28:29], v[12:13]
	;; [unrolled: 2-line block ×3, first 2 shown]
	ds_bpermute_b32 v40, v27, v16
	ds_bpermute_b32 v41, v27, v17
	s_wait_dscnt 0x2
	v_add_f64_e32 v[12:13], v[20:21], v[24:25]
	v_add_f64_e32 v[24:25], v[14:15], v[36:37]
	v_dual_add_f64 v[14:15], v[22:23], v[38:39] :: v_dual_bitop2_b32 v22, 1, v1 bitop3:0x14
	ds_bpermute_b32 v42, v27, v32
	ds_bpermute_b32 v43, v27, v33
	v_cmp_gt_i32_e32 vcc_lo, 32, v22
	v_cndmask_b32_e32 v1, v1, v22, vcc_lo
	v_cmp_eq_u32_e32 vcc_lo, 31, v0
	s_wait_dscnt 0x2
	v_add_f64_e32 v[20:21], v[16:17], v[40:41]
	s_delay_alu instid0(VALU_DEP_3)
	v_lshlrev_b32_e32 v1, 2, v1
	ds_bpermute_b32 v22, v1, v10
	ds_bpermute_b32 v23, v1, v11
	;; [unrolled: 1-line block ×4, first 2 shown]
	s_wait_dscnt 0x4
	v_add_f64_e32 v[16:17], v[32:33], v[42:43]
	ds_bpermute_b32 v42, v1, v30
	ds_bpermute_b32 v43, v1, v31
	;; [unrolled: 1-line block ×12, first 2 shown]
	s_and_b32 exec_lo, exec_lo, vcc_lo
	s_cbranch_execz .LBB38_8
; %bb.36:
	s_wait_dscnt 0xa
	v_add_f64_e32 v[0:1], v[30:31], v[42:43]
	s_wait_dscnt 0x6
	v_add_f64_e32 v[30:31], v[24:25], v[40:41]
	;; [unrolled: 2-line block ×3, first 2 shown]
	v_add_f64_e32 v[36:37], v[18:19], v[36:37]
	v_add_f64_e32 v[40:41], v[10:11], v[22:23]
	;; [unrolled: 1-line block ×4, first 2 shown]
	s_wait_dscnt 0x0
	v_add_f64_e32 v[34:35], v[16:17], v[34:35]
	v_cmp_eq_f64_e32 vcc_lo, 0, v[2:3]
	v_cmp_eq_f64_e64 s2, 0, v[4:5]
	s_load_b64 s[0:1], s[0:1], 0x60
	v_mul_f64_e64 v[22:23], v[0:1], -v[8:9]
	v_mul_f64_e32 v[24:25], v[6:7], v[0:1]
	v_mul_f64_e64 v[14:15], v[38:39], -v[8:9]
	v_mul_f64_e32 v[16:17], v[6:7], v[38:39]
	v_mul_f64_e64 v[10:11], v[36:37], -v[8:9]
	v_dual_mul_f64 v[12:13], v[6:7], v[36:37] :: v_dual_lshlrev_b32 v0, 2, v26
	v_mul_f64_e64 v[18:19], v[30:31], -v[8:9]
	v_mul_f64_e32 v[20:21], v[6:7], v[30:31]
	s_and_b32 s2, vcc_lo, s2
	v_fmac_f64_e32 v[22:23], v[6:7], v[40:41]
	v_fmac_f64_e32 v[24:25], v[8:9], v[40:41]
	;; [unrolled: 1-line block ×8, first 2 shown]
	s_and_saveexec_b32 s3, s2
	s_delay_alu instid0(SALU_CYCLE_1)
	s_xor_b32 s2, exec_lo, s3
	s_cbranch_execz .LBB38_38
; %bb.37:
	s_wait_kmcnt 0x0
	s_clause 0x3
	global_store_b128 v0, v[22:25], s[0:1] scale_offset
	global_store_b128 v0, v[18:21], s[0:1] offset:16 scale_offset
	global_store_b128 v0, v[14:17], s[0:1] offset:32 scale_offset
	global_store_b128 v0, v[10:13], s[0:1] offset:48 scale_offset
                                        ; implicit-def: $vgpr4_vgpr5
                                        ; implicit-def: $vgpr22_vgpr23
                                        ; implicit-def: $vgpr0
                                        ; implicit-def: $vgpr18_vgpr19
                                        ; implicit-def: $vgpr14_vgpr15
                                        ; implicit-def: $vgpr10_vgpr11
.LBB38_38:
	s_wait_xcnt 0x0
	s_and_not1_saveexec_b32 s2, s2
	s_cbranch_execz .LBB38_8
; %bb.39:
	s_wait_kmcnt 0x0
	s_clause 0x3
	global_load_b128 v[6:9], v0, s[0:1] scale_offset
	global_load_b128 v[26:29], v0, s[0:1] offset:16 scale_offset
	global_load_b128 v[30:33], v0, s[0:1] offset:32 scale_offset
	;; [unrolled: 1-line block ×3, first 2 shown]
	s_wait_loadcnt 0x3
	v_fmac_f64_e32 v[22:23], v[2:3], v[6:7]
	v_fmac_f64_e32 v[24:25], v[4:5], v[6:7]
	s_wait_loadcnt 0x2
	v_fmac_f64_e32 v[18:19], v[2:3], v[26:27]
	v_fmac_f64_e32 v[20:21], v[4:5], v[26:27]
	;; [unrolled: 3-line block ×4, first 2 shown]
	v_fma_f64 v[22:23], -v[4:5], v[8:9], v[22:23]
	v_fmac_f64_e32 v[24:25], v[2:3], v[8:9]
	v_fma_f64 v[18:19], -v[4:5], v[28:29], v[18:19]
	v_fmac_f64_e32 v[20:21], v[2:3], v[28:29]
	;; [unrolled: 2-line block ×4, first 2 shown]
	s_clause 0x3
	global_store_b128 v0, v[22:25], s[0:1] scale_offset
	global_store_b128 v0, v[18:21], s[0:1] offset:16 scale_offset
	global_store_b128 v0, v[14:17], s[0:1] offset:32 scale_offset
	;; [unrolled: 1-line block ×3, first 2 shown]
	s_sendmsg sendmsg(MSG_DEALLOC_VGPRS)
	s_endpgm
	.section	.rodata,"a",@progbits
	.p2align	6, 0x0
	.amdhsa_kernel _ZN9rocsparseL18bsrxmvn_4x4_kernelILj128ELj32E21rocsparse_complex_numIdEliS2_S2_S2_EEvT3_20rocsparse_direction_NS_24const_host_device_scalarIT1_EES3_PKS3_PKT2_SC_S9_PKT4_PKT5_S7_PT6_21rocsparse_index_base_b
		.amdhsa_group_segment_fixed_size 0
		.amdhsa_private_segment_fixed_size 0
		.amdhsa_kernarg_size 112
		.amdhsa_user_sgpr_count 2
		.amdhsa_user_sgpr_dispatch_ptr 0
		.amdhsa_user_sgpr_queue_ptr 0
		.amdhsa_user_sgpr_kernarg_segment_ptr 1
		.amdhsa_user_sgpr_dispatch_id 0
		.amdhsa_user_sgpr_kernarg_preload_length 0
		.amdhsa_user_sgpr_kernarg_preload_offset 0
		.amdhsa_user_sgpr_private_segment_size 0
		.amdhsa_wavefront_size32 1
		.amdhsa_uses_dynamic_stack 0
		.amdhsa_enable_private_segment 0
		.amdhsa_system_sgpr_workgroup_id_x 1
		.amdhsa_system_sgpr_workgroup_id_y 0
		.amdhsa_system_sgpr_workgroup_id_z 0
		.amdhsa_system_sgpr_workgroup_info 0
		.amdhsa_system_vgpr_workitem_id 0
		.amdhsa_next_free_vgpr 177
		.amdhsa_next_free_sgpr 14
		.amdhsa_named_barrier_count 0
		.amdhsa_reserve_vcc 1
		.amdhsa_float_round_mode_32 0
		.amdhsa_float_round_mode_16_64 0
		.amdhsa_float_denorm_mode_32 3
		.amdhsa_float_denorm_mode_16_64 3
		.amdhsa_fp16_overflow 0
		.amdhsa_memory_ordered 1
		.amdhsa_forward_progress 1
		.amdhsa_inst_pref_size 71
		.amdhsa_round_robin_scheduling 0
		.amdhsa_exception_fp_ieee_invalid_op 0
		.amdhsa_exception_fp_denorm_src 0
		.amdhsa_exception_fp_ieee_div_zero 0
		.amdhsa_exception_fp_ieee_overflow 0
		.amdhsa_exception_fp_ieee_underflow 0
		.amdhsa_exception_fp_ieee_inexact 0
		.amdhsa_exception_int_div_zero 0
	.end_amdhsa_kernel
	.section	.text._ZN9rocsparseL18bsrxmvn_4x4_kernelILj128ELj32E21rocsparse_complex_numIdEliS2_S2_S2_EEvT3_20rocsparse_direction_NS_24const_host_device_scalarIT1_EES3_PKS3_PKT2_SC_S9_PKT4_PKT5_S7_PT6_21rocsparse_index_base_b,"axG",@progbits,_ZN9rocsparseL18bsrxmvn_4x4_kernelILj128ELj32E21rocsparse_complex_numIdEliS2_S2_S2_EEvT3_20rocsparse_direction_NS_24const_host_device_scalarIT1_EES3_PKS3_PKT2_SC_S9_PKT4_PKT5_S7_PT6_21rocsparse_index_base_b,comdat
.Lfunc_end38:
	.size	_ZN9rocsparseL18bsrxmvn_4x4_kernelILj128ELj32E21rocsparse_complex_numIdEliS2_S2_S2_EEvT3_20rocsparse_direction_NS_24const_host_device_scalarIT1_EES3_PKS3_PKT2_SC_S9_PKT4_PKT5_S7_PT6_21rocsparse_index_base_b, .Lfunc_end38-_ZN9rocsparseL18bsrxmvn_4x4_kernelILj128ELj32E21rocsparse_complex_numIdEliS2_S2_S2_EEvT3_20rocsparse_direction_NS_24const_host_device_scalarIT1_EES3_PKS3_PKT2_SC_S9_PKT4_PKT5_S7_PT6_21rocsparse_index_base_b
                                        ; -- End function
	.set _ZN9rocsparseL18bsrxmvn_4x4_kernelILj128ELj32E21rocsparse_complex_numIdEliS2_S2_S2_EEvT3_20rocsparse_direction_NS_24const_host_device_scalarIT1_EES3_PKS3_PKT2_SC_S9_PKT4_PKT5_S7_PT6_21rocsparse_index_base_b.num_vgpr, 177
	.set _ZN9rocsparseL18bsrxmvn_4x4_kernelILj128ELj32E21rocsparse_complex_numIdEliS2_S2_S2_EEvT3_20rocsparse_direction_NS_24const_host_device_scalarIT1_EES3_PKS3_PKT2_SC_S9_PKT4_PKT5_S7_PT6_21rocsparse_index_base_b.num_agpr, 0
	.set _ZN9rocsparseL18bsrxmvn_4x4_kernelILj128ELj32E21rocsparse_complex_numIdEliS2_S2_S2_EEvT3_20rocsparse_direction_NS_24const_host_device_scalarIT1_EES3_PKS3_PKT2_SC_S9_PKT4_PKT5_S7_PT6_21rocsparse_index_base_b.numbered_sgpr, 14
	.set _ZN9rocsparseL18bsrxmvn_4x4_kernelILj128ELj32E21rocsparse_complex_numIdEliS2_S2_S2_EEvT3_20rocsparse_direction_NS_24const_host_device_scalarIT1_EES3_PKS3_PKT2_SC_S9_PKT4_PKT5_S7_PT6_21rocsparse_index_base_b.num_named_barrier, 0
	.set _ZN9rocsparseL18bsrxmvn_4x4_kernelILj128ELj32E21rocsparse_complex_numIdEliS2_S2_S2_EEvT3_20rocsparse_direction_NS_24const_host_device_scalarIT1_EES3_PKS3_PKT2_SC_S9_PKT4_PKT5_S7_PT6_21rocsparse_index_base_b.private_seg_size, 0
	.set _ZN9rocsparseL18bsrxmvn_4x4_kernelILj128ELj32E21rocsparse_complex_numIdEliS2_S2_S2_EEvT3_20rocsparse_direction_NS_24const_host_device_scalarIT1_EES3_PKS3_PKT2_SC_S9_PKT4_PKT5_S7_PT6_21rocsparse_index_base_b.uses_vcc, 1
	.set _ZN9rocsparseL18bsrxmvn_4x4_kernelILj128ELj32E21rocsparse_complex_numIdEliS2_S2_S2_EEvT3_20rocsparse_direction_NS_24const_host_device_scalarIT1_EES3_PKS3_PKT2_SC_S9_PKT4_PKT5_S7_PT6_21rocsparse_index_base_b.uses_flat_scratch, 0
	.set _ZN9rocsparseL18bsrxmvn_4x4_kernelILj128ELj32E21rocsparse_complex_numIdEliS2_S2_S2_EEvT3_20rocsparse_direction_NS_24const_host_device_scalarIT1_EES3_PKS3_PKT2_SC_S9_PKT4_PKT5_S7_PT6_21rocsparse_index_base_b.has_dyn_sized_stack, 0
	.set _ZN9rocsparseL18bsrxmvn_4x4_kernelILj128ELj32E21rocsparse_complex_numIdEliS2_S2_S2_EEvT3_20rocsparse_direction_NS_24const_host_device_scalarIT1_EES3_PKS3_PKT2_SC_S9_PKT4_PKT5_S7_PT6_21rocsparse_index_base_b.has_recursion, 0
	.set _ZN9rocsparseL18bsrxmvn_4x4_kernelILj128ELj32E21rocsparse_complex_numIdEliS2_S2_S2_EEvT3_20rocsparse_direction_NS_24const_host_device_scalarIT1_EES3_PKS3_PKT2_SC_S9_PKT4_PKT5_S7_PT6_21rocsparse_index_base_b.has_indirect_call, 0
	.section	.AMDGPU.csdata,"",@progbits
; Kernel info:
; codeLenInByte = 9020
; TotalNumSgprs: 16
; NumVgprs: 177
; ScratchSize: 0
; MemoryBound: 1
; FloatMode: 240
; IeeeMode: 1
; LDSByteSize: 0 bytes/workgroup (compile time only)
; SGPRBlocks: 0
; VGPRBlocks: 11
; NumSGPRsForWavesPerEU: 16
; NumVGPRsForWavesPerEU: 177
; NamedBarCnt: 0
; Occupancy: 5
; WaveLimiterHint : 1
; COMPUTE_PGM_RSRC2:SCRATCH_EN: 0
; COMPUTE_PGM_RSRC2:USER_SGPR: 2
; COMPUTE_PGM_RSRC2:TRAP_HANDLER: 0
; COMPUTE_PGM_RSRC2:TGID_X_EN: 1
; COMPUTE_PGM_RSRC2:TGID_Y_EN: 0
; COMPUTE_PGM_RSRC2:TGID_Z_EN: 0
; COMPUTE_PGM_RSRC2:TIDIG_COMP_CNT: 0
	.section	.text._ZN9rocsparseL18bsrxmvn_4x4_kernelILj128ELj64E21rocsparse_complex_numIdEliS2_S2_S2_EEvT3_20rocsparse_direction_NS_24const_host_device_scalarIT1_EES3_PKS3_PKT2_SC_S9_PKT4_PKT5_S7_PT6_21rocsparse_index_base_b,"axG",@progbits,_ZN9rocsparseL18bsrxmvn_4x4_kernelILj128ELj64E21rocsparse_complex_numIdEliS2_S2_S2_EEvT3_20rocsparse_direction_NS_24const_host_device_scalarIT1_EES3_PKS3_PKT2_SC_S9_PKT4_PKT5_S7_PT6_21rocsparse_index_base_b,comdat
	.globl	_ZN9rocsparseL18bsrxmvn_4x4_kernelILj128ELj64E21rocsparse_complex_numIdEliS2_S2_S2_EEvT3_20rocsparse_direction_NS_24const_host_device_scalarIT1_EES3_PKS3_PKT2_SC_S9_PKT4_PKT5_S7_PT6_21rocsparse_index_base_b ; -- Begin function _ZN9rocsparseL18bsrxmvn_4x4_kernelILj128ELj64E21rocsparse_complex_numIdEliS2_S2_S2_EEvT3_20rocsparse_direction_NS_24const_host_device_scalarIT1_EES3_PKS3_PKT2_SC_S9_PKT4_PKT5_S7_PT6_21rocsparse_index_base_b
	.p2align	8
	.type	_ZN9rocsparseL18bsrxmvn_4x4_kernelILj128ELj64E21rocsparse_complex_numIdEliS2_S2_S2_EEvT3_20rocsparse_direction_NS_24const_host_device_scalarIT1_EES3_PKS3_PKT2_SC_S9_PKT4_PKT5_S7_PT6_21rocsparse_index_base_b,@function
_ZN9rocsparseL18bsrxmvn_4x4_kernelILj128ELj64E21rocsparse_complex_numIdEliS2_S2_S2_EEvT3_20rocsparse_direction_NS_24const_host_device_scalarIT1_EES3_PKS3_PKT2_SC_S9_PKT4_PKT5_S7_PT6_21rocsparse_index_base_b: ; @_ZN9rocsparseL18bsrxmvn_4x4_kernelILj128ELj64E21rocsparse_complex_numIdEliS2_S2_S2_EEvT3_20rocsparse_direction_NS_24const_host_device_scalarIT1_EES3_PKS3_PKT2_SC_S9_PKT4_PKT5_S7_PT6_21rocsparse_index_base_b
; %bb.0:
	s_clause 0x1
	s_load_b64 s[12:13], s[0:1], 0x68
	s_load_b64 s[2:3], s[0:1], 0x8
	v_mov_b32_e32 v1, 0
	s_add_nc_u64 s[4:5], s[0:1], 8
	s_load_b64 s[6:7], s[0:1], 0x50
	s_wait_kmcnt 0x0
	s_bitcmp1_b32 s13, 0
	s_cselect_b32 s3, s5, s3
	s_cselect_b32 s2, s4, s2
	flat_load_b128 v[6:9], v1, s[2:3]
	s_wait_xcnt 0x0
	s_add_nc_u64 s[2:3], s[0:1], 0x50
	s_delay_alu instid0(SALU_CYCLE_1)
	s_cselect_b32 s3, s3, s7
	s_cselect_b32 s2, s2, s6
	flat_load_b128 v[2:5], v1, s[2:3]
	s_wait_loadcnt_dscnt 0x101
	v_cmp_eq_f64_e32 vcc_lo, 0, v[6:7]
	s_wait_xcnt 0x0
	v_cmp_eq_f64_e64 s2, 0, v[8:9]
	s_and_b32 s4, vcc_lo, s2
	s_mov_b32 s2, -1
	s_and_saveexec_b32 s3, s4
	s_cbranch_execz .LBB39_2
; %bb.1:
	s_wait_loadcnt_dscnt 0x0
	v_cmp_neq_f64_e32 vcc_lo, 1.0, v[2:3]
	v_cmp_neq_f64_e64 s2, 0, v[4:5]
	s_or_b32 s2, vcc_lo, s2
	s_delay_alu instid0(SALU_CYCLE_1)
	s_or_not1_b32 s2, s2, exec_lo
.LBB39_2:
	s_or_b32 exec_lo, exec_lo, s3
	s_and_saveexec_b32 s3, s2
	s_cbranch_execz .LBB39_8
; %bb.3:
	s_clause 0x1
	s_load_b64 s[4:5], s[0:1], 0x20
	s_load_b64 s[2:3], s[0:1], 0x0
	s_bfe_u32 s6, ttmp6, 0x4000c
	s_and_b32 s7, ttmp6, 15
	s_add_co_i32 s6, s6, 1
	s_getreg_b32 s8, hwreg(HW_REG_IB_STS2, 6, 4)
	s_mul_i32 s6, ttmp9, s6
	v_lshrrev_b32_e32 v1, 6, v0
	s_add_co_i32 s7, s7, s6
	s_cmp_eq_u32 s8, 0
	s_cselect_b32 s6, ttmp9, s7
	s_delay_alu instid0(VALU_DEP_1) | instid1(SALU_CYCLE_1)
	v_lshl_or_b32 v26, s6, 1, v1
	s_mov_b32 s6, 0
	s_wait_kmcnt 0x0
	s_cmp_lg_u64 s[4:5], 0
	s_cbranch_scc0 .LBB39_9
; %bb.4:
	s_load_b32 s6, s[0:1], 0x18
	s_mov_b32 s7, 0
                                        ; implicit-def: $vgpr1
	s_wait_kmcnt 0x0
	v_cmp_gt_i32_e32 vcc_lo, s6, v26
	s_mov_b32 s6, 0
	s_and_saveexec_b32 s8, vcc_lo
	s_delay_alu instid0(SALU_CYCLE_1)
	s_xor_b32 s8, exec_lo, s8
	s_cbranch_execz .LBB39_6
; %bb.5:
	global_load_b32 v1, v26, s[4:5] scale_offset
	s_mov_b32 s6, exec_lo
	s_wait_loadcnt 0x0
	v_subrev_nc_u32_e32 v1, s12, v1
.LBB39_6:
	s_or_b32 exec_lo, exec_lo, s8
	s_delay_alu instid0(SALU_CYCLE_1)
	s_and_b32 vcc_lo, exec_lo, s7
	s_cbranch_vccz .LBB39_10
.LBB39_7:
	v_cmp_gt_i32_e32 vcc_lo, s2, v26
	s_and_not1_b32 s2, s6, exec_lo
	s_and_b32 s4, vcc_lo, exec_lo
	s_delay_alu instid0(SALU_CYCLE_1) | instskip(NEXT) | instid1(SALU_CYCLE_1)
	s_or_b32 s6, s2, s4
	s_and_b32 exec_lo, exec_lo, s6
	s_cbranch_execnz .LBB39_11
.LBB39_8:
	s_sendmsg sendmsg(MSG_DEALLOC_VGPRS)
	s_endpgm
.LBB39_9:
                                        ; implicit-def: $vgpr1
	s_cbranch_execnz .LBB39_7
.LBB39_10:
	s_delay_alu instid0(VALU_DEP_1)
	v_mov_b32_e32 v26, v1
	s_and_b32 exec_lo, exec_lo, s6
	s_cbranch_execz .LBB39_8
.LBB39_11:
	s_load_b256 s[4:11], s[0:1], 0x28
	s_mov_b32 s13, 0
	v_dual_mov_b32 v1, 0 :: v_dual_bitop2_b32 v0, 63, v0 bitop3:0x40
	s_wait_kmcnt 0x0
	s_cmp_eq_u64 s[6:7], 0
	global_load_b64 v[34:35], v26, s[4:5] scale_offset
	s_cselect_b32 vcc_lo, -1, 0
	v_ashrrev_i32_e32 v27, 31, v26
	s_cmp_eq_u32 s3, 1
	s_delay_alu instid0(VALU_DEP_1) | instskip(NEXT) | instid1(VALU_DEP_1)
	v_lshlrev_b64_e32 v[10:11], 3, v[26:27]
	v_add_nc_u64_e32 v[12:13], s[4:5], v[10:11]
	v_add_nc_u64_e32 v[10:11], s[6:7], v[10:11]
	s_wait_xcnt 0x0
	s_load_b64 s[4:5], s[0:1], 0x48
	s_delay_alu instid0(VALU_DEP_2) | instskip(NEXT) | instid1(VALU_DEP_1)
	v_add_nc_u64_e32 v[12:13], 8, v[12:13]
	v_dual_cndmask_b32 v11, v11, v13 :: v_dual_cndmask_b32 v10, v10, v12
	global_load_b64 v[10:11], v[10:11], off
	s_wait_loadcnt 0x1
	v_sub_nc_u64_e64 v[12:13], v[34:35], s[12:13]
	s_delay_alu instid0(VALU_DEP_1) | instskip(NEXT) | instid1(VALU_DEP_1)
	v_add_nc_u64_e32 v[18:19], v[12:13], v[0:1]
	v_lshlrev_b64_e32 v[12:13], 8, v[18:19]
	s_delay_alu instid0(VALU_DEP_1) | instskip(SKIP_2) | instid1(VALU_DEP_1)
	v_add_nc_u64_e32 v[22:23], s[10:11], v[12:13]
	s_wait_loadcnt 0x0
	v_sub_nc_u64_e64 v[20:21], v[10:11], s[12:13]
	v_cmp_lt_i64_e64 s2, v[18:19], v[20:21]
	s_cbranch_scc1 .LBB39_23
; %bb.12:
	v_mov_b64_e32 v[10:11], 0
	v_mov_b64_e32 v[32:33], 0
	;; [unrolled: 1-line block ×8, first 2 shown]
	s_and_saveexec_b32 s3, s2
	s_cbranch_execz .LBB39_22
; %bb.13:
	v_dual_mov_b32 v11, v1 :: v_dual_bitop2_b32 v10, 64, v0 bitop3:0x54
	v_sub_nc_u64_e32 v[12:13], s[12:13], v[0:1]
	v_not_b32_e32 v15, v35
	v_not_b32_e32 v14, v34
	v_mov_b64_e32 v[30:31], 0
	v_sub_nc_u64_e64 v[10:11], v[10:11], s[12:13]
	v_mov_b64_e32 v[16:17], 0
	v_mov_b64_e32 v[28:29], 0
	v_add_nc_u64_e32 v[12:13], v[12:13], v[14:15]
	v_mov_b64_e32 v[14:15], 0
	v_mov_b64_e32 v[24:25], 0
	;; [unrolled: 1-line block ×3, first 2 shown]
	v_add_nc_u64_e32 v[10:11], v[10:11], v[34:35]
	v_mov_b64_e32 v[36:37], v[22:23]
	v_mov_b64_e32 v[38:39], v[18:19]
	v_mov_b32_e32 v45, 0
	s_mov_b32 s6, exec_lo
	s_delay_alu instid0(VALU_DEP_4) | instskip(NEXT) | instid1(VALU_DEP_1)
	v_max_i64 v[10:11], v[10:11], v[20:21]
	v_add_nc_u64_e32 v[40:41], v[12:13], v[10:11]
	v_mov_b64_e32 v[12:13], 0
	v_mov_b64_e32 v[10:11], 0
	s_delay_alu instid0(VALU_DEP_3) | instskip(NEXT) | instid1(VALU_DEP_1)
	v_and_b32_e32 v44, 0xc0, v40
	v_cmpx_ne_u64_e32 0xc0, v[44:45]
	s_cbranch_execz .LBB39_17
; %bb.14:
	v_lshrrev_b32_e32 v10, 6, v40
	v_mov_b64_e32 v[32:33], 0
	v_mov_b64_e32 v[24:25], 0
	;; [unrolled: 1-line block ×4, first 2 shown]
	v_add_nc_u32_e32 v12, 1, v10
	v_mov_b64_e32 v[10:11], 0
	v_mov_b64_e32 v[30:31], 0
	;; [unrolled: 1-line block ×4, first 2 shown]
	v_and_b32_e32 v44, 3, v12
	v_mov_b64_e32 v[12:13], 0
	v_mov_b64_e32 v[36:37], v[22:23]
	v_lshl_add_u64 v[42:43], v[18:19], 2, s[8:9]
	s_mov_b32 s7, 0
	v_sub_nc_u64_e32 v[44:45], 0, v[44:45]
.LBB39_15:                              ; =>This Inner Loop Header: Depth=1
	global_load_b32 v27, v[42:43], off
	s_clause 0x6
	global_load_b128 v[46:49], v[36:37], off offset:16
	global_load_b128 v[50:53], v[36:37], off
	global_load_b128 v[54:57], v[36:37], off offset:80
	global_load_b128 v[58:61], v[36:37], off offset:64
	;; [unrolled: 1-line block ×5, first 2 shown]
	v_add_nc_u64_e32 v[44:45], 1, v[44:45]
	v_add_nc_u64_e32 v[38:39], 64, v[38:39]
	s_wait_xcnt 0x7
	v_add_nc_u64_e32 v[42:43], 0x100, v[42:43]
	s_delay_alu instid0(VALU_DEP_3) | instskip(SKIP_3) | instid1(VALU_DEP_1)
	v_cmp_eq_u64_e32 vcc_lo, 0, v[44:45]
	s_or_b32 s7, vcc_lo, s7
	s_wait_loadcnt 0x7
	v_subrev_nc_u32_e32 v27, s12, v27
	v_lshlrev_b32_e32 v27, 2, v27
	s_wait_kmcnt 0x0
	global_load_b128 v[74:77], v27, s[4:5] scale_offset
	global_load_b128 v[78:81], v[36:37], off offset:208
	global_load_b128 v[82:85], v27, s[4:5] offset:16 scale_offset
	s_clause 0x6
	global_load_b128 v[86:89], v[36:37], off offset:48
	global_load_b128 v[90:93], v[36:37], off offset:32
	;; [unrolled: 1-line block ×7, first 2 shown]
	global_load_b128 v[114:117], v27, s[4:5] offset:32 scale_offset
	global_load_b128 v[118:121], v[36:37], off offset:240
	global_load_b128 v[122:125], v27, s[4:5] offset:48 scale_offset
	s_wait_xcnt 0x1
	v_add_nc_u64_e32 v[36:37], 0x4000, v[36:37]
	s_wait_loadcnt 0xc
	v_fmac_f64_e32 v[32:33], v[50:51], v[74:75]
	v_fmac_f64_e32 v[10:11], v[52:53], v[74:75]
	v_fmac_f64_e32 v[30:31], v[58:59], v[74:75]
	v_fmac_f64_e32 v[14:15], v[60:61], v[74:75]
	v_fmac_f64_e32 v[28:29], v[66:67], v[74:75]
	v_fmac_f64_e32 v[16:17], v[68:69], v[74:75]
	v_fmac_f64_e32 v[24:25], v[70:71], v[74:75]
	v_fmac_f64_e32 v[12:13], v[72:73], v[74:75]
	v_fma_f64 v[32:33], -v[52:53], v[76:77], v[32:33]
	v_fmac_f64_e32 v[10:11], v[50:51], v[76:77]
	v_fma_f64 v[30:31], -v[60:61], v[76:77], v[30:31]
	v_fmac_f64_e32 v[14:15], v[58:59], v[76:77]
	v_fma_f64 v[28:29], -v[68:69], v[76:77], v[28:29]
	v_fmac_f64_e32 v[16:17], v[66:67], v[76:77]
	v_fma_f64 v[24:25], -v[72:73], v[76:77], v[24:25]
	v_fmac_f64_e32 v[12:13], v[70:71], v[76:77]
	s_wait_loadcnt 0xa
	v_fmac_f64_e32 v[32:33], v[46:47], v[82:83]
	v_fmac_f64_e32 v[10:11], v[48:49], v[82:83]
	v_fmac_f64_e32 v[30:31], v[54:55], v[82:83]
	v_fmac_f64_e32 v[14:15], v[56:57], v[82:83]
	v_fmac_f64_e32 v[28:29], v[62:63], v[82:83]
	v_fmac_f64_e32 v[16:17], v[64:65], v[82:83]
	v_fmac_f64_e32 v[24:25], v[78:79], v[82:83]
	v_fmac_f64_e32 v[12:13], v[80:81], v[82:83]
	v_fma_f64 v[32:33], -v[48:49], v[84:85], v[32:33]
	v_fmac_f64_e32 v[10:11], v[46:47], v[84:85]
	v_fma_f64 v[30:31], -v[56:57], v[84:85], v[30:31]
	v_fmac_f64_e32 v[14:15], v[54:55], v[84:85]
	v_fma_f64 v[28:29], -v[64:65], v[84:85], v[28:29]
	v_fmac_f64_e32 v[16:17], v[62:63], v[84:85]
	v_fma_f64 v[24:25], -v[80:81], v[84:85], v[24:25]
	v_fmac_f64_e32 v[12:13], v[78:79], v[84:85]
	;; [unrolled: 17-line block ×4, first 2 shown]
	s_and_not1_b32 exec_lo, exec_lo, s7
	s_cbranch_execnz .LBB39_15
; %bb.16:
	s_or_b32 exec_lo, exec_lo, s7
.LBB39_17:
	s_delay_alu instid0(SALU_CYCLE_1) | instskip(NEXT) | instid1(SALU_CYCLE_1)
	s_or_b32 exec_lo, exec_lo, s6
	s_mov_b32 s6, exec_lo
	v_cmpx_lt_u64_e32 0xbf, v[40:41]
	s_cbranch_execz .LBB39_21
; %bb.18:
	v_lshl_add_u64 v[40:41], v[38:39], 2, s[8:9]
	s_mov_b32 s7, 0
	s_delay_alu instid0(VALU_DEP_1)
	v_add_nc_u64_e32 v[40:41], 0x200, v[40:41]
.LBB39_19:                              ; =>This Inner Loop Header: Depth=1
	global_load_b32 v27, v[40:41], off offset:-512
	s_clause 0x15
	global_load_b128 v[42:45], v[36:37], off offset:48
	global_load_b128 v[46:49], v[36:37], off offset:32
	;; [unrolled: 1-line block ×3, first 2 shown]
	global_load_b128 v[54:57], v[36:37], off
	global_load_b128 v[58:61], v[36:37], off offset:112
	global_load_b128 v[62:65], v[36:37], off offset:96
	global_load_b128 v[66:69], v[36:37], off offset:80
	global_load_b128 v[70:73], v[36:37], off offset:64
	global_load_b128 v[74:77], v[36:37], off offset:176
	global_load_b128 v[78:81], v[36:37], off offset:160
	global_load_b128 v[82:85], v[36:37], off offset:144
	global_load_b128 v[86:89], v[36:37], off offset:128
	global_load_b128 v[90:93], v[36:37], off offset:240
	global_load_b128 v[94:97], v[36:37], off offset:224
	global_load_b128 v[98:101], v[36:37], off offset:208
	global_load_b128 v[102:105], v[36:37], off offset:192
	global_load_b128 v[106:109], v[36:37], off offset:16432
	global_load_b128 v[110:113], v[36:37], off offset:16416
	global_load_b128 v[114:117], v[36:37], off offset:16400
	global_load_b128 v[118:121], v[36:37], off offset:16384
	global_load_b128 v[122:125], v[36:37], off offset:16496
	global_load_b128 v[126:129], v[36:37], off offset:16480
	s_clause 0x2
	global_load_b32 v174, v[40:41], off offset:-256
	global_load_b32 v175, v[40:41], off
	global_load_b32 v176, v[40:41], off offset:256
	s_clause 0x7
	global_load_b128 v[130:133], v[36:37], off offset:16464
	global_load_b128 v[134:137], v[36:37], off offset:16448
	;; [unrolled: 1-line block ×8, first 2 shown]
	v_add_nc_u64_e32 v[38:39], 0x100, v[38:39]
	s_wait_xcnt 0x8
	v_add_nc_u64_e32 v[40:41], 0x400, v[40:41]
	s_delay_alu instid0(VALU_DEP_2) | instskip(SKIP_3) | instid1(VALU_DEP_1)
	v_cmp_ge_i64_e32 vcc_lo, v[38:39], v[20:21]
	s_or_b32 s7, vcc_lo, s7
	s_wait_loadcnt 0x21
	v_subrev_nc_u32_e32 v27, s12, v27
	v_lshlrev_b32_e32 v27, 2, v27
	s_wait_kmcnt 0x0
	s_clause 0x1
	global_load_b128 v[162:165], v27, s[4:5] scale_offset
	global_load_b128 v[166:169], v27, s[4:5] offset:16 scale_offset
	s_wait_loadcnt 0x1
	v_fmac_f64_e32 v[32:33], v[54:55], v[162:163]
	v_fmac_f64_e32 v[10:11], v[56:57], v[162:163]
	;; [unrolled: 1-line block ×8, first 2 shown]
	v_fma_f64 v[170:171], -v[56:57], v[164:165], v[32:33]
	v_fmac_f64_e32 v[10:11], v[54:55], v[164:165]
	v_fma_f64 v[172:173], -v[72:73], v[164:165], v[30:31]
	v_fmac_f64_e32 v[14:15], v[70:71], v[164:165]
	;; [unrolled: 2-line block ×4, first 2 shown]
	s_clause 0x4
	global_load_b128 v[54:57], v[36:37], off offset:16592
	global_load_b128 v[30:33], v[36:37], off offset:16576
	;; [unrolled: 1-line block ×5, first 2 shown]
	s_wait_loadcnt 0x5
	v_fmac_f64_e32 v[170:171], v[50:51], v[166:167]
	v_fmac_f64_e32 v[10:11], v[52:53], v[166:167]
	;; [unrolled: 1-line block ×8, first 2 shown]
	v_fma_f64 v[170:171], -v[52:53], v[168:169], v[170:171]
	v_fmac_f64_e32 v[10:11], v[50:51], v[168:169]
	global_load_b128 v[50:53], v[36:37], off offset:32768
	v_fma_f64 v[172:173], -v[68:69], v[168:169], v[172:173]
	v_fmac_f64_e32 v[14:15], v[66:67], v[168:169]
	global_load_b128 v[66:69], v[36:37], off offset:32880
	;; [unrolled: 3-line block ×3, first 2 shown]
	v_fma_f64 v[24:25], -v[100:101], v[168:169], v[24:25]
	v_fmac_f64_e32 v[12:13], v[98:99], v[168:169]
	s_clause 0x1
	global_load_b128 v[98:101], v27, s[4:5] offset:32 scale_offset
	global_load_b128 v[162:165], v27, s[4:5] offset:48 scale_offset
	s_wait_xcnt 0x0
	v_subrev_nc_u32_e32 v27, s12, v174
	s_delay_alu instid0(VALU_DEP_1)
	v_lshlrev_b32_e32 v27, 2, v27
	s_wait_loadcnt 0x1
	v_fmac_f64_e32 v[170:171], v[46:47], v[98:99]
	v_fmac_f64_e32 v[10:11], v[48:49], v[98:99]
	v_fmac_f64_e32 v[172:173], v[62:63], v[98:99]
	v_fmac_f64_e32 v[14:15], v[64:65], v[98:99]
	v_fmac_f64_e32 v[28:29], v[78:79], v[98:99]
	v_fmac_f64_e32 v[16:17], v[80:81], v[98:99]
	v_fmac_f64_e32 v[24:25], v[94:95], v[98:99]
	v_fmac_f64_e32 v[12:13], v[96:97], v[98:99]
	v_fma_f64 v[166:167], -v[48:49], v[100:101], v[170:171]
	v_fmac_f64_e32 v[10:11], v[46:47], v[100:101]
	v_fma_f64 v[168:169], -v[64:65], v[100:101], v[172:173]
	v_fmac_f64_e32 v[14:15], v[62:63], v[100:101]
	;; [unrolled: 2-line block ×4, first 2 shown]
	s_clause 0x4
	global_load_b128 v[46:49], v[36:37], off offset:32848
	global_load_b128 v[62:65], v[36:37], off offset:32832
	;; [unrolled: 1-line block ×5, first 2 shown]
	s_wait_loadcnt 0x5
	v_fmac_f64_e32 v[166:167], v[42:43], v[162:163]
	v_fmac_f64_e32 v[10:11], v[44:45], v[162:163]
	v_fmac_f64_e32 v[168:169], v[58:59], v[162:163]
	v_fmac_f64_e32 v[14:15], v[60:61], v[162:163]
	v_fmac_f64_e32 v[28:29], v[74:75], v[162:163]
	v_fmac_f64_e32 v[16:17], v[76:77], v[162:163]
	v_fmac_f64_e32 v[24:25], v[90:91], v[162:163]
	v_fmac_f64_e32 v[12:13], v[92:93], v[162:163]
	v_fma_f64 v[166:167], -v[44:45], v[164:165], v[166:167]
	v_fmac_f64_e32 v[10:11], v[42:43], v[164:165]
	global_load_b128 v[42:45], v[36:37], off offset:32896
	v_fma_f64 v[168:169], -v[60:61], v[164:165], v[168:169]
	v_fmac_f64_e32 v[14:15], v[58:59], v[164:165]
	global_load_b128 v[58:61], v[36:37], off offset:33008
	;; [unrolled: 3-line block ×3, first 2 shown]
	v_fma_f64 v[24:25], -v[92:93], v[164:165], v[24:25]
	v_fmac_f64_e32 v[12:13], v[90:91], v[164:165]
	s_clause 0x1
	global_load_b128 v[90:93], v27, s[4:5] scale_offset
	global_load_b128 v[162:165], v27, s[4:5] offset:16 scale_offset
	s_wait_loadcnt 0x1
	v_fmac_f64_e32 v[166:167], v[118:119], v[90:91]
	v_fmac_f64_e32 v[168:169], v[134:135], v[90:91]
	;; [unrolled: 1-line block ×8, first 2 shown]
	v_fma_f64 v[166:167], -v[120:121], v[92:93], v[166:167]
	v_fma_f64 v[168:169], -v[136:137], v[92:93], v[168:169]
	v_fmac_f64_e32 v[14:15], v[134:135], v[92:93]
	v_fmac_f64_e32 v[10:11], v[118:119], v[92:93]
	s_clause 0x1
	global_load_b128 v[118:121], v[36:37], off offset:32976
	global_load_b128 v[134:137], v[36:37], off offset:32960
	v_fma_f64 v[170:171], -v[152:153], v[92:93], v[28:29]
	v_fmac_f64_e32 v[16:17], v[150:151], v[92:93]
	global_load_b128 v[150:153], v[36:37], off offset:49168
	v_fma_f64 v[24:25], -v[32:33], v[92:93], v[24:25]
	v_fmac_f64_e32 v[12:13], v[30:31], v[92:93]
	s_clause 0x1
	global_load_b128 v[28:31], v[36:37], off offset:49152
	global_load_b128 v[90:93], v[36:37], off offset:49232
	s_wait_loadcnt 0x5
	v_fmac_f64_e32 v[166:167], v[114:115], v[162:163]
	v_fmac_f64_e32 v[168:169], v[130:131], v[162:163]
	;; [unrolled: 1-line block ×8, first 2 shown]
	v_fma_f64 v[32:33], -v[116:117], v[164:165], v[166:167]
	v_fma_f64 v[166:167], -v[132:133], v[164:165], v[168:169]
	v_fmac_f64_e32 v[14:15], v[130:131], v[164:165]
	global_load_b128 v[130:133], v27, s[4:5] offset:32 scale_offset
	v_fmac_f64_e32 v[10:11], v[114:115], v[164:165]
	global_load_b128 v[114:117], v[36:37], off offset:49216
	v_fma_f64 v[168:169], -v[148:149], v[164:165], v[170:171]
	v_fmac_f64_e32 v[16:17], v[146:147], v[164:165]
	global_load_b128 v[146:149], v27, s[4:5] offset:48 scale_offset
	s_wait_xcnt 0x0
	v_subrev_nc_u32_e32 v27, s12, v175
	v_fma_f64 v[24:25], -v[56:57], v[164:165], v[24:25]
	v_fmac_f64_e32 v[12:13], v[54:55], v[164:165]
	global_load_b128 v[54:57], v[36:37], off offset:49296
	v_lshlrev_b32_e32 v27, 2, v27
	global_load_b128 v[162:165], v27, s[4:5] scale_offset
	s_wait_loadcnt 0x4
	v_fmac_f64_e32 v[32:33], v[110:111], v[130:131]
	v_fmac_f64_e32 v[10:11], v[112:113], v[130:131]
	;; [unrolled: 1-line block ×8, first 2 shown]
	v_fma_f64 v[32:33], -v[112:113], v[132:133], v[32:33]
	v_fmac_f64_e32 v[10:11], v[110:111], v[132:133]
	global_load_b128 v[110:113], v27, s[4:5] offset:16 scale_offset
	v_fma_f64 v[168:169], -v[144:145], v[132:133], v[168:169]
	v_fmac_f64_e32 v[16:17], v[142:143], v[132:133]
	global_load_b128 v[142:145], v27, s[4:5] offset:32 scale_offset
	v_fma_f64 v[166:167], -v[128:129], v[132:133], v[166:167]
	v_fmac_f64_e32 v[14:15], v[126:127], v[132:133]
	global_load_b128 v[126:129], v[36:37], off offset:49280
	v_fma_f64 v[24:25], -v[160:161], v[132:133], v[24:25]
	v_fmac_f64_e32 v[12:13], v[158:159], v[132:133]
	global_load_b128 v[130:133], v[36:37], off offset:49360
	global_load_b128 v[158:161], v27, s[4:5] offset:48 scale_offset
	s_wait_xcnt 0x0
	v_subrev_nc_u32_e32 v27, s12, v176
	s_delay_alu instid0(VALU_DEP_1)
	v_lshlrev_b32_e32 v27, 2, v27
	s_wait_loadcnt 0x7
	v_fmac_f64_e32 v[32:33], v[106:107], v[146:147]
	v_fmac_f64_e32 v[10:11], v[108:109], v[146:147]
	;; [unrolled: 1-line block ×8, first 2 shown]
	v_fma_f64 v[32:33], -v[108:109], v[148:149], v[32:33]
	v_fmac_f64_e32 v[10:11], v[106:107], v[148:149]
	global_load_b128 v[106:109], v[36:37], off offset:49344
	v_fma_f64 v[168:169], -v[140:141], v[148:149], v[168:169]
	v_fmac_f64_e32 v[16:17], v[138:139], v[148:149]
	global_load_b128 v[138:141], v[36:37], off offset:49200
	v_fma_f64 v[166:167], -v[124:125], v[148:149], v[166:167]
	v_fmac_f64_e32 v[14:15], v[122:123], v[148:149]
	global_load_b128 v[122:125], v27, s[4:5] scale_offset
	v_fma_f64 v[24:25], -v[156:157], v[148:149], v[24:25]
	v_fmac_f64_e32 v[12:13], v[154:155], v[148:149]
	global_load_b128 v[146:149], v[36:37], off offset:49184
	global_load_b128 v[154:157], v27, s[4:5] offset:16 scale_offset
	s_wait_loadcnt 0xa
	v_fmac_f64_e32 v[32:33], v[50:51], v[162:163]
	v_fmac_f64_e32 v[10:11], v[52:53], v[162:163]
	;; [unrolled: 1-line block ×8, first 2 shown]
	v_fma_f64 v[32:33], -v[52:53], v[164:165], v[32:33]
	v_fmac_f64_e32 v[10:11], v[50:51], v[164:165]
	global_load_b128 v[50:53], v[36:37], off offset:49264
	v_fma_f64 v[168:169], -v[44:45], v[164:165], v[168:169]
	v_fmac_f64_e32 v[16:17], v[42:43], v[164:165]
	global_load_b128 v[42:45], v[36:37], off offset:49328
	;; [unrolled: 3-line block ×3, first 2 shown]
	v_fma_f64 v[24:25], -v[136:137], v[164:165], v[24:25]
	v_fmac_f64_e32 v[12:13], v[134:135], v[164:165]
	s_clause 0x1
	global_load_b128 v[134:137], v[36:37], off offset:49312
	global_load_b128 v[162:165], v[36:37], off offset:49376
	s_wait_loadcnt 0xe
	v_fmac_f64_e32 v[32:33], v[102:103], v[110:111]
	v_fmac_f64_e32 v[10:11], v[104:105], v[110:111]
	;; [unrolled: 1-line block ×8, first 2 shown]
	v_fma_f64 v[32:33], -v[104:105], v[112:113], v[32:33]
	v_fmac_f64_e32 v[10:11], v[102:103], v[112:113]
	global_load_b128 v[102:105], v27, s[4:5] offset:32 scale_offset
	v_fma_f64 v[110:111], -v[48:49], v[112:113], v[166:167]
	v_fmac_f64_e32 v[14:15], v[46:47], v[112:113]
	v_fma_f64 v[166:167], -v[100:101], v[112:113], v[168:169]
	v_fmac_f64_e32 v[16:17], v[98:99], v[112:113]
	;; [unrolled: 2-line block ×3, first 2 shown]
	global_load_b128 v[46:49], v[36:37], off offset:49392
	global_load_b128 v[98:101], v27, s[4:5] offset:48 scale_offset
	s_wait_xcnt 0x1
	v_add_nc_u64_e32 v[36:37], 0x10000, v[36:37]
	s_wait_loadcnt 0x10
	v_fmac_f64_e32 v[32:33], v[86:87], v[142:143]
	v_fmac_f64_e32 v[10:11], v[88:89], v[142:143]
	v_fmac_f64_e32 v[110:111], v[82:83], v[142:143]
	v_fmac_f64_e32 v[14:15], v[84:85], v[142:143]
	v_fmac_f64_e32 v[166:167], v[94:95], v[142:143]
	v_fmac_f64_e32 v[16:17], v[96:97], v[142:143]
	v_fmac_f64_e32 v[24:25], v[74:75], v[142:143]
	v_fmac_f64_e32 v[12:13], v[76:77], v[142:143]
	v_fma_f64 v[32:33], -v[88:89], v[144:145], v[32:33]
	v_fmac_f64_e32 v[10:11], v[86:87], v[144:145]
	v_fma_f64 v[84:85], -v[84:85], v[144:145], v[110:111]
	v_fmac_f64_e32 v[14:15], v[82:83], v[144:145]
	v_fma_f64 v[82:83], -v[96:97], v[144:145], v[166:167]
	v_fmac_f64_e32 v[16:17], v[94:95], v[144:145]
	v_fma_f64 v[24:25], -v[76:77], v[144:145], v[24:25]
	v_fmac_f64_e32 v[12:13], v[74:75], v[144:145]
	s_wait_loadcnt 0xd
	v_fmac_f64_e32 v[32:33], v[70:71], v[158:159]
	v_fmac_f64_e32 v[10:11], v[72:73], v[158:159]
	v_fmac_f64_e32 v[84:85], v[66:67], v[158:159]
	v_fmac_f64_e32 v[14:15], v[68:69], v[158:159]
	v_fmac_f64_e32 v[82:83], v[78:79], v[158:159]
	v_fmac_f64_e32 v[16:17], v[80:81], v[158:159]
	v_fmac_f64_e32 v[24:25], v[58:59], v[158:159]
	v_fmac_f64_e32 v[12:13], v[60:61], v[158:159]
	v_fma_f64 v[32:33], -v[72:73], v[160:161], v[32:33]
	v_fmac_f64_e32 v[10:11], v[70:71], v[160:161]
	v_fma_f64 v[68:69], -v[68:69], v[160:161], v[84:85]
	v_fmac_f64_e32 v[14:15], v[66:67], v[160:161]
	v_fma_f64 v[66:67], -v[80:81], v[160:161], v[82:83]
	v_fmac_f64_e32 v[16:17], v[78:79], v[160:161]
	v_fma_f64 v[24:25], -v[60:61], v[160:161], v[24:25]
	v_fmac_f64_e32 v[12:13], v[58:59], v[160:161]
	;; [unrolled: 17-line block ×6, first 2 shown]
	s_and_not1_b32 exec_lo, exec_lo, s7
	s_cbranch_execnz .LBB39_19
; %bb.20:
	s_or_b32 exec_lo, exec_lo, s7
.LBB39_21:
	s_delay_alu instid0(SALU_CYCLE_1)
	s_or_b32 exec_lo, exec_lo, s6
.LBB39_22:
	s_delay_alu instid0(SALU_CYCLE_1)
	s_or_b32 exec_lo, exec_lo, s3
	s_cbranch_execz .LBB39_24
	s_branch .LBB39_35
.LBB39_23:
                                        ; implicit-def: $vgpr10_vgpr11
                                        ; implicit-def: $vgpr32_vgpr33
                                        ; implicit-def: $vgpr24_vgpr25
                                        ; implicit-def: $vgpr12_vgpr13
                                        ; implicit-def: $vgpr28_vgpr29
                                        ; implicit-def: $vgpr16_vgpr17
                                        ; implicit-def: $vgpr30_vgpr31
                                        ; implicit-def: $vgpr14_vgpr15
.LBB39_24:
	v_mov_b64_e32 v[10:11], 0
	v_mov_b64_e32 v[32:33], 0
	;; [unrolled: 1-line block ×8, first 2 shown]
	s_and_saveexec_b32 s3, s2
	s_cbranch_execz .LBB39_34
; %bb.25:
	v_dual_mov_b32 v11, v1 :: v_dual_bitop2_b32 v10, 64, v0 bitop3:0x54
	v_sub_nc_u64_e32 v[12:13], s[12:13], v[0:1]
	v_not_b32_e32 v15, v35
	v_not_b32_e32 v14, v34
	v_mov_b64_e32 v[30:31], 0
	v_sub_nc_u64_e64 v[10:11], v[10:11], s[12:13]
	v_mov_b64_e32 v[16:17], 0
	v_mov_b64_e32 v[28:29], 0
	v_add_nc_u64_e32 v[12:13], v[12:13], v[14:15]
	v_mov_b64_e32 v[14:15], 0
	v_mov_b64_e32 v[24:25], 0
	;; [unrolled: 1-line block ×3, first 2 shown]
	v_add_nc_u64_e32 v[10:11], v[10:11], v[34:35]
	v_mov_b32_e32 v37, 0
	s_mov_b32 s2, exec_lo
	s_delay_alu instid0(VALU_DEP_2) | instskip(NEXT) | instid1(VALU_DEP_1)
	v_max_i64 v[10:11], v[10:11], v[20:21]
	v_add_nc_u64_e32 v[34:35], v[12:13], v[10:11]
	v_mov_b64_e32 v[12:13], 0
	v_mov_b64_e32 v[10:11], 0
	s_delay_alu instid0(VALU_DEP_3) | instskip(NEXT) | instid1(VALU_DEP_1)
	v_and_b32_e32 v36, 0xc0, v34
	v_cmpx_ne_u64_e32 0xc0, v[36:37]
	s_cbranch_execz .LBB39_29
; %bb.26:
	v_lshrrev_b32_e32 v1, 6, v34
	v_mov_b64_e32 v[10:11], 0
	v_mov_b64_e32 v[32:33], 0
	;; [unrolled: 1-line block ×4, first 2 shown]
	v_add_nc_u32_e32 v1, 1, v1
	v_mov_b64_e32 v[28:29], 0
	v_mov_b64_e32 v[16:17], 0
	;; [unrolled: 1-line block ×4, first 2 shown]
	v_and_b32_e32 v36, 3, v1
	v_lshl_add_u64 v[38:39], v[18:19], 2, s[8:9]
	s_mov_b32 s6, 0
	s_delay_alu instid0(VALU_DEP_2)
	v_sub_nc_u64_e32 v[36:37], 0, v[36:37]
.LBB39_27:                              ; =>This Inner Loop Header: Depth=1
	global_load_b32 v1, v[38:39], off
	s_clause 0x3
	global_load_b128 v[40:43], v[22:23], off offset:48
	global_load_b128 v[44:47], v[22:23], off offset:32
	;; [unrolled: 1-line block ×3, first 2 shown]
	global_load_b128 v[52:55], v[22:23], off
	v_add_nc_u64_e32 v[36:37], 1, v[36:37]
	v_add_nc_u64_e32 v[18:19], 64, v[18:19]
	s_wait_xcnt 0x4
	v_add_nc_u64_e32 v[38:39], 0x100, v[38:39]
	s_delay_alu instid0(VALU_DEP_3) | instskip(SKIP_3) | instid1(VALU_DEP_1)
	v_cmp_eq_u64_e32 vcc_lo, 0, v[36:37]
	s_or_b32 s6, vcc_lo, s6
	s_wait_loadcnt 0x4
	v_subrev_nc_u32_e32 v1, s12, v1
	v_lshlrev_b32_e32 v1, 2, v1
	s_wait_kmcnt 0x0
	global_load_b128 v[56:59], v1, s[4:5] scale_offset
	s_clause 0x3
	global_load_b128 v[60:63], v[22:23], off offset:64
	global_load_b128 v[64:67], v[22:23], off offset:80
	;; [unrolled: 1-line block ×4, first 2 shown]
	global_load_b128 v[76:79], v1, s[4:5] offset:16 scale_offset
	s_clause 0x3
	global_load_b128 v[80:83], v[22:23], off offset:176
	global_load_b128 v[84:87], v[22:23], off offset:160
	;; [unrolled: 1-line block ×4, first 2 shown]
	s_clause 0x1
	global_load_b128 v[96:99], v1, s[4:5] offset:32 scale_offset
	global_load_b128 v[100:103], v1, s[4:5] offset:48 scale_offset
	s_clause 0x3
	global_load_b128 v[104:107], v[22:23], off offset:192
	global_load_b128 v[108:111], v[22:23], off offset:208
	;; [unrolled: 1-line block ×3, first 2 shown]
	; meta instruction
	global_load_b128 v[116:119], v[22:23], off offset:240
	s_wait_xcnt 0x0
	v_add_nc_u64_e32 v[22:23], 0x4000, v[22:23]
	s_wait_loadcnt 0xf
	v_fmac_f64_e32 v[32:33], v[52:53], v[56:57]
	v_fmac_f64_e32 v[10:11], v[54:55], v[56:57]
	v_fmac_f64_e32 v[30:31], v[48:49], v[56:57]
	v_fmac_f64_e32 v[14:15], v[50:51], v[56:57]
	v_fmac_f64_e32 v[28:29], v[44:45], v[56:57]
	v_fmac_f64_e32 v[16:17], v[46:47], v[56:57]
	v_fmac_f64_e32 v[24:25], v[40:41], v[56:57]
	v_fmac_f64_e32 v[12:13], v[42:43], v[56:57]
	v_fma_f64 v[32:33], -v[54:55], v[58:59], v[32:33]
	v_fmac_f64_e32 v[10:11], v[52:53], v[58:59]
	v_fma_f64 v[30:31], -v[50:51], v[58:59], v[30:31]
	v_fmac_f64_e32 v[14:15], v[48:49], v[58:59]
	v_fma_f64 v[28:29], -v[46:47], v[58:59], v[28:29]
	v_fmac_f64_e32 v[16:17], v[44:45], v[58:59]
	v_fma_f64 v[24:25], -v[42:43], v[58:59], v[24:25]
	v_fmac_f64_e32 v[12:13], v[40:41], v[58:59]
	s_wait_loadcnt 0xa
	v_fmac_f64_e32 v[32:33], v[60:61], v[76:77]
	v_fmac_f64_e32 v[10:11], v[62:63], v[76:77]
	v_fmac_f64_e32 v[30:31], v[64:65], v[76:77]
	v_fmac_f64_e32 v[14:15], v[66:67], v[76:77]
	v_fmac_f64_e32 v[28:29], v[68:69], v[76:77]
	v_fmac_f64_e32 v[16:17], v[70:71], v[76:77]
	v_fmac_f64_e32 v[24:25], v[72:73], v[76:77]
	v_fmac_f64_e32 v[12:13], v[74:75], v[76:77]
	v_fma_f64 v[32:33], -v[62:63], v[78:79], v[32:33]
	v_fmac_f64_e32 v[10:11], v[60:61], v[78:79]
	v_fma_f64 v[30:31], -v[66:67], v[78:79], v[30:31]
	v_fmac_f64_e32 v[14:15], v[64:65], v[78:79]
	v_fma_f64 v[28:29], -v[70:71], v[78:79], v[28:29]
	v_fmac_f64_e32 v[16:17], v[68:69], v[78:79]
	v_fma_f64 v[24:25], -v[74:75], v[78:79], v[24:25]
	v_fmac_f64_e32 v[12:13], v[72:73], v[78:79]
	;; [unrolled: 17-line block ×3, first 2 shown]
	s_wait_loadcnt 0x3
	v_fmac_f64_e32 v[32:33], v[104:105], v[100:101]
	v_fmac_f64_e32 v[10:11], v[106:107], v[100:101]
	s_wait_loadcnt 0x2
	v_fmac_f64_e32 v[30:31], v[108:109], v[100:101]
	v_fmac_f64_e32 v[14:15], v[110:111], v[100:101]
	;; [unrolled: 3-line block ×4, first 2 shown]
	v_fma_f64 v[32:33], -v[106:107], v[102:103], v[32:33]
	v_fmac_f64_e32 v[10:11], v[104:105], v[102:103]
	v_fma_f64 v[30:31], -v[110:111], v[102:103], v[30:31]
	v_fmac_f64_e32 v[14:15], v[108:109], v[102:103]
	;; [unrolled: 2-line block ×4, first 2 shown]
	s_and_not1_b32 exec_lo, exec_lo, s6
	s_cbranch_execnz .LBB39_27
; %bb.28:
	s_or_b32 exec_lo, exec_lo, s6
.LBB39_29:
	s_delay_alu instid0(SALU_CYCLE_1) | instskip(NEXT) | instid1(SALU_CYCLE_1)
	s_or_b32 exec_lo, exec_lo, s2
	s_mov_b32 s2, exec_lo
	v_cmpx_lt_u64_e32 0xbf, v[34:35]
	s_cbranch_execz .LBB39_33
; %bb.30:
	v_lshl_add_u64 v[34:35], v[18:19], 2, s[8:9]
	s_mov_b32 s6, 0
	s_delay_alu instid0(VALU_DEP_1)
	v_add_nc_u64_e32 v[34:35], 0x200, v[34:35]
.LBB39_31:                              ; =>This Inner Loop Header: Depth=1
	global_load_b32 v1, v[34:35], off offset:-512
	s_clause 0x11
	global_load_b128 v[36:39], v[22:23], off offset:48
	global_load_b128 v[40:43], v[22:23], off offset:32
	;; [unrolled: 1-line block ×3, first 2 shown]
	global_load_b128 v[48:51], v[22:23], off
	global_load_b128 v[52:55], v[22:23], off offset:112
	global_load_b128 v[56:59], v[22:23], off offset:96
	;; [unrolled: 1-line block ×14, first 2 shown]
	s_clause 0x2
	global_load_b32 v27, v[34:35], off offset:-256
	global_load_b32 v152, v[34:35], off
	global_load_b32 v153, v[34:35], off offset:256
	s_clause 0x7
	global_load_b128 v[108:111], v[22:23], off offset:16400
	global_load_b128 v[112:115], v[22:23], off offset:16384
	;; [unrolled: 1-line block ×8, first 2 shown]
	v_add_nc_u64_e32 v[18:19], 0x100, v[18:19]
	s_wait_xcnt 0x8
	v_add_nc_u64_e32 v[34:35], 0x400, v[34:35]
	s_delay_alu instid0(VALU_DEP_2) | instskip(SKIP_3) | instid1(VALU_DEP_1)
	v_cmp_ge_i64_e32 vcc_lo, v[18:19], v[20:21]
	s_or_b32 s6, vcc_lo, s6
	s_wait_loadcnt 0x1d
	v_subrev_nc_u32_e32 v1, s12, v1
	v_lshlrev_b32_e32 v1, 2, v1
	s_wait_kmcnt 0x0
	s_clause 0x1
	global_load_b128 v[140:143], v1, s[4:5] scale_offset
	global_load_b128 v[144:147], v1, s[4:5] offset:16 scale_offset
	s_wait_loadcnt 0x1
	v_fmac_f64_e32 v[32:33], v[48:49], v[140:141]
	v_fmac_f64_e32 v[10:11], v[50:51], v[140:141]
	;; [unrolled: 1-line block ×8, first 2 shown]
	v_fma_f64 v[148:149], -v[50:51], v[142:143], v[32:33]
	v_fmac_f64_e32 v[10:11], v[48:49], v[142:143]
	v_fma_f64 v[150:151], -v[46:47], v[142:143], v[30:31]
	v_fmac_f64_e32 v[14:15], v[44:45], v[142:143]
	v_fma_f64 v[28:29], -v[42:43], v[142:143], v[28:29]
	v_fmac_f64_e32 v[16:17], v[40:41], v[142:143]
	v_fma_f64 v[24:25], -v[38:39], v[142:143], v[24:25]
	v_fmac_f64_e32 v[12:13], v[36:37], v[142:143]
	s_clause 0x4
	global_load_b128 v[48:51], v[22:23], off offset:16528
	global_load_b128 v[30:33], v[22:23], off offset:16512
	;; [unrolled: 1-line block ×5, first 2 shown]
	s_wait_loadcnt 0x5
	v_fmac_f64_e32 v[148:149], v[64:65], v[144:145]
	v_fmac_f64_e32 v[10:11], v[66:67], v[144:145]
	;; [unrolled: 1-line block ×8, first 2 shown]
	v_fma_f64 v[148:149], -v[66:67], v[146:147], v[148:149]
	v_fmac_f64_e32 v[10:11], v[64:65], v[146:147]
	global_load_b128 v[64:67], v[22:23], off offset:16576
	v_fma_f64 v[150:151], -v[62:63], v[146:147], v[150:151]
	v_fmac_f64_e32 v[14:15], v[60:61], v[146:147]
	global_load_b128 v[60:63], v[22:23], off offset:32816
	;; [unrolled: 3-line block ×3, first 2 shown]
	v_fma_f64 v[24:25], -v[54:55], v[146:147], v[24:25]
	v_fmac_f64_e32 v[12:13], v[52:53], v[146:147]
	s_clause 0x1
	global_load_b128 v[52:55], v1, s[4:5] offset:32 scale_offset
	global_load_b128 v[140:143], v1, s[4:5] offset:48 scale_offset
	s_wait_xcnt 0x0
	v_subrev_nc_u32_e32 v1, s12, v27
	v_subrev_nc_u32_e32 v27, s12, v153
	s_delay_alu instid0(VALU_DEP_1)
	v_dual_lshlrev_b32 v1, 2, v1 :: v_dual_lshlrev_b32 v27, 2, v27
	s_wait_loadcnt 0x1
	v_fmac_f64_e32 v[148:149], v[80:81], v[52:53]
	v_fmac_f64_e32 v[10:11], v[82:83], v[52:53]
	v_fmac_f64_e32 v[150:151], v[76:77], v[52:53]
	v_fmac_f64_e32 v[14:15], v[78:79], v[52:53]
	v_fmac_f64_e32 v[28:29], v[72:73], v[52:53]
	v_fmac_f64_e32 v[16:17], v[74:75], v[52:53]
	v_fmac_f64_e32 v[24:25], v[68:69], v[52:53]
	v_fmac_f64_e32 v[12:13], v[70:71], v[52:53]
	v_fma_f64 v[144:145], -v[82:83], v[54:55], v[148:149]
	v_fmac_f64_e32 v[10:11], v[80:81], v[54:55]
	v_fma_f64 v[146:147], -v[78:79], v[54:55], v[150:151]
	v_fmac_f64_e32 v[14:15], v[76:77], v[54:55]
	;; [unrolled: 2-line block ×4, first 2 shown]
	s_clause 0x4
	global_load_b128 v[80:83], v[22:23], off offset:32784
	global_load_b128 v[76:79], v[22:23], off offset:32768
	;; [unrolled: 1-line block ×5, first 2 shown]
	s_wait_loadcnt 0x5
	v_fmac_f64_e32 v[144:145], v[96:97], v[140:141]
	v_fmac_f64_e32 v[10:11], v[98:99], v[140:141]
	;; [unrolled: 1-line block ×8, first 2 shown]
	v_fma_f64 v[144:145], -v[98:99], v[142:143], v[144:145]
	v_fmac_f64_e32 v[10:11], v[96:97], v[142:143]
	global_load_b128 v[96:99], v[22:23], off offset:32832
	v_fma_f64 v[146:147], -v[94:95], v[142:143], v[146:147]
	v_fmac_f64_e32 v[14:15], v[92:93], v[142:143]
	global_load_b128 v[92:95], v[22:23], off offset:32944
	;; [unrolled: 3-line block ×3, first 2 shown]
	v_fma_f64 v[24:25], -v[86:87], v[142:143], v[24:25]
	v_fmac_f64_e32 v[12:13], v[84:85], v[142:143]
	s_clause 0x1
	global_load_b128 v[84:87], v1, s[4:5] scale_offset
	global_load_b128 v[140:143], v1, s[4:5] offset:16 scale_offset
	s_wait_loadcnt 0x1
	v_fmac_f64_e32 v[144:145], v[112:113], v[84:85]
	v_fmac_f64_e32 v[10:11], v[114:115], v[84:85]
	;; [unrolled: 1-line block ×8, first 2 shown]
	v_fma_f64 v[144:145], -v[114:115], v[86:87], v[144:145]
	v_fmac_f64_e32 v[10:11], v[112:113], v[86:87]
	v_fma_f64 v[146:147], -v[110:111], v[86:87], v[146:147]
	v_fmac_f64_e32 v[14:15], v[108:109], v[86:87]
	;; [unrolled: 2-line block ×4, first 2 shown]
	s_clause 0x4
	global_load_b128 v[112:115], v[22:23], off offset:32912
	global_load_b128 v[108:111], v[22:23], off offset:32896
	;; [unrolled: 1-line block ×5, first 2 shown]
	s_wait_loadcnt 0x5
	v_fmac_f64_e32 v[144:145], v[128:129], v[140:141]
	v_fmac_f64_e32 v[10:11], v[130:131], v[140:141]
	;; [unrolled: 1-line block ×8, first 2 shown]
	v_fma_f64 v[144:145], -v[130:131], v[142:143], v[144:145]
	v_fmac_f64_e32 v[10:11], v[128:129], v[142:143]
	global_load_b128 v[128:131], v[22:23], off offset:32960
	v_fma_f64 v[146:147], -v[126:127], v[142:143], v[146:147]
	v_fmac_f64_e32 v[14:15], v[124:125], v[142:143]
	global_load_b128 v[124:127], v[22:23], off offset:49200
	;; [unrolled: 3-line block ×3, first 2 shown]
	v_fma_f64 v[24:25], -v[118:119], v[142:143], v[24:25]
	v_fmac_f64_e32 v[12:13], v[116:117], v[142:143]
	s_clause 0x1
	global_load_b128 v[116:119], v1, s[4:5] offset:32 scale_offset
	global_load_b128 v[140:143], v1, s[4:5] offset:48 scale_offset
	s_wait_xcnt 0x0
	v_subrev_nc_u32_e32 v1, s12, v152
	s_delay_alu instid0(VALU_DEP_1)
	v_lshlrev_b32_e32 v1, 2, v1
	s_wait_loadcnt 0x1
	v_fmac_f64_e32 v[144:145], v[30:31], v[116:117]
	v_fmac_f64_e32 v[10:11], v[32:33], v[116:117]
	;; [unrolled: 1-line block ×8, first 2 shown]
	v_fma_f64 v[32:33], -v[32:33], v[118:119], v[144:145]
	v_fmac_f64_e32 v[10:11], v[30:31], v[118:119]
	global_load_b128 v[28:31], v[22:23], off offset:49168
	v_fma_f64 v[144:145], -v[50:51], v[118:119], v[146:147]
	v_fmac_f64_e32 v[14:15], v[48:49], v[118:119]
	global_load_b128 v[48:51], v[22:23], off offset:49152
	;; [unrolled: 3-line block ×3, first 2 shown]
	v_fma_f64 v[24:25], -v[134:135], v[118:119], v[24:25]
	v_fmac_f64_e32 v[12:13], v[132:133], v[118:119]
	s_clause 0x1
	global_load_b128 v[116:119], v[22:23], off offset:49248
	global_load_b128 v[132:135], v[22:23], off offset:49232
	s_wait_loadcnt 0x5
	v_fmac_f64_e32 v[32:33], v[64:65], v[140:141]
	v_fmac_f64_e32 v[10:11], v[66:67], v[140:141]
	;; [unrolled: 1-line block ×8, first 2 shown]
	v_fma_f64 v[32:33], -v[66:67], v[142:143], v[32:33]
	v_fmac_f64_e32 v[10:11], v[64:65], v[142:143]
	global_load_b128 v[64:67], v1, s[4:5] scale_offset
	v_fma_f64 v[144:145], -v[46:47], v[142:143], v[144:145]
	v_fmac_f64_e32 v[14:15], v[44:45], v[142:143]
	global_load_b128 v[44:47], v1, s[4:5] offset:16 scale_offset
	v_fma_f64 v[146:147], -v[38:39], v[142:143], v[146:147]
	v_fmac_f64_e32 v[16:17], v[36:37], v[142:143]
	global_load_b128 v[36:39], v1, s[4:5] offset:32 scale_offset
	;; [unrolled: 3-line block ×3, first 2 shown]
	global_load_b128 v[40:43], v[22:23], off offset:49216
	s_wait_loadcnt 0x4
	v_fmac_f64_e32 v[32:33], v[76:77], v[64:65]
	v_fmac_f64_e32 v[10:11], v[78:79], v[64:65]
	;; [unrolled: 1-line block ×8, first 2 shown]
	v_fma_f64 v[32:33], -v[78:79], v[66:67], v[32:33]
	v_fmac_f64_e32 v[10:11], v[76:77], v[66:67]
	global_load_b128 v[76:79], v27, s[4:5] offset:16 scale_offset
	v_fma_f64 v[144:145], -v[82:83], v[66:67], v[144:145]
	v_fmac_f64_e32 v[14:15], v[80:81], v[66:67]
	global_load_b128 v[80:83], v27, s[4:5] scale_offset
	v_fma_f64 v[148:149], -v[58:59], v[66:67], v[146:147]
	v_fmac_f64_e32 v[16:17], v[56:57], v[66:67]
	v_fma_f64 v[24:25], -v[62:63], v[66:67], v[24:25]
	v_fmac_f64_e32 v[12:13], v[60:61], v[66:67]
	s_clause 0x2
	global_load_b128 v[56:59], v[22:23], off offset:49328
	global_load_b128 v[60:63], v[22:23], off offset:49312
	;; [unrolled: 1-line block ×3, first 2 shown]
	s_wait_loadcnt 0x8
	v_fmac_f64_e32 v[32:33], v[96:97], v[44:45]
	v_fmac_f64_e32 v[10:11], v[98:99], v[44:45]
	;; [unrolled: 1-line block ×8, first 2 shown]
	v_fma_f64 v[32:33], -v[98:99], v[46:47], v[32:33]
	v_fmac_f64_e32 v[10:11], v[96:97], v[46:47]
	global_load_b128 v[96:99], v[22:23], off offset:49280
	v_fma_f64 v[150:151], -v[70:71], v[46:47], v[144:145]
	v_fmac_f64_e32 v[14:15], v[68:69], v[46:47]
	s_clause 0x1
	global_load_b128 v[68:71], v27, s[4:5] offset:48 scale_offset
	global_load_b128 v[144:147], v27, s[4:5] offset:32 scale_offset
	v_fma_f64 v[148:149], -v[54:55], v[46:47], v[148:149]
	v_fmac_f64_e32 v[16:17], v[52:53], v[46:47]
	v_fma_f64 v[24:25], -v[74:75], v[46:47], v[24:25]
	v_fmac_f64_e32 v[12:13], v[72:73], v[46:47]
	s_clause 0x2
	global_load_b128 v[52:55], v[22:23], off offset:49376
	global_load_b128 v[44:47], v[22:23], off offset:49360
	;; [unrolled: 1-line block ×3, first 2 shown]
	s_wait_loadcnt 0xd
	v_fmac_f64_e32 v[32:33], v[108:109], v[36:37]
	v_fmac_f64_e32 v[10:11], v[110:111], v[36:37]
	;; [unrolled: 1-line block ×8, first 2 shown]
	v_fma_f64 v[32:33], -v[110:111], v[38:39], v[32:33]
	v_fmac_f64_e32 v[10:11], v[108:109], v[38:39]
	global_load_b128 v[108:111], v[22:23], off offset:49392
	v_fma_f64 v[36:37], -v[114:115], v[38:39], v[150:151]
	v_fmac_f64_e32 v[14:15], v[112:113], v[38:39]
	s_wait_xcnt 0x0
	v_add_nc_u64_e32 v[22:23], 0x10000, v[22:23]
	v_fma_f64 v[90:91], -v[90:91], v[38:39], v[148:149]
	v_fmac_f64_e32 v[16:17], v[88:89], v[38:39]
	v_fma_f64 v[24:25], -v[94:95], v[38:39], v[24:25]
	v_fmac_f64_e32 v[12:13], v[92:93], v[38:39]
	s_wait_loadcnt 0xd
	v_fmac_f64_e32 v[32:33], v[128:129], v[140:141]
	v_fmac_f64_e32 v[10:11], v[130:131], v[140:141]
	;; [unrolled: 1-line block ×8, first 2 shown]
	v_fma_f64 v[32:33], -v[130:131], v[142:143], v[32:33]
	v_fmac_f64_e32 v[10:11], v[128:129], v[142:143]
	v_fma_f64 v[36:37], -v[102:103], v[142:143], v[36:37]
	v_fmac_f64_e32 v[14:15], v[100:101], v[142:143]
	;; [unrolled: 2-line block ×4, first 2 shown]
	s_wait_loadcnt 0xa
	v_fmac_f64_e32 v[32:33], v[48:49], v[80:81]
	v_fmac_f64_e32 v[10:11], v[50:51], v[80:81]
	;; [unrolled: 1-line block ×8, first 2 shown]
	v_fma_f64 v[32:33], -v[50:51], v[82:83], v[32:33]
	v_fmac_f64_e32 v[10:11], v[48:49], v[82:83]
	v_fma_f64 v[30:31], -v[30:31], v[82:83], v[36:37]
	v_fmac_f64_e32 v[14:15], v[28:29], v[82:83]
	;; [unrolled: 2-line block ×4, first 2 shown]
	v_fmac_f64_e32 v[32:33], v[40:41], v[76:77]
	v_fmac_f64_e32 v[10:11], v[42:43], v[76:77]
	;; [unrolled: 1-line block ×8, first 2 shown]
	v_fma_f64 v[32:33], -v[42:43], v[78:79], v[32:33]
	v_fmac_f64_e32 v[10:11], v[40:41], v[78:79]
	v_fma_f64 v[30:31], -v[134:135], v[78:79], v[30:31]
	v_fmac_f64_e32 v[14:15], v[132:133], v[78:79]
	;; [unrolled: 2-line block ×4, first 2 shown]
	s_wait_loadcnt 0x4
	v_fmac_f64_e32 v[32:33], v[96:97], v[144:145]
	v_fmac_f64_e32 v[10:11], v[98:99], v[144:145]
	;; [unrolled: 1-line block ×8, first 2 shown]
	v_fma_f64 v[32:33], -v[98:99], v[146:147], v[32:33]
	v_fmac_f64_e32 v[10:11], v[96:97], v[146:147]
	v_fma_f64 v[30:31], -v[66:67], v[146:147], v[30:31]
	v_fmac_f64_e32 v[14:15], v[64:65], v[146:147]
	;; [unrolled: 2-line block ×4, first 2 shown]
	s_wait_loadcnt 0x1
	v_fmac_f64_e32 v[32:33], v[72:73], v[68:69]
	v_fmac_f64_e32 v[10:11], v[74:75], v[68:69]
	;; [unrolled: 1-line block ×6, first 2 shown]
	s_wait_loadcnt 0x0
	v_fmac_f64_e32 v[24:25], v[108:109], v[68:69]
	v_fmac_f64_e32 v[12:13], v[110:111], v[68:69]
	v_fma_f64 v[32:33], -v[74:75], v[70:71], v[32:33]
	v_fmac_f64_e32 v[10:11], v[72:73], v[70:71]
	v_fma_f64 v[30:31], -v[46:47], v[70:71], v[30:31]
	;; [unrolled: 2-line block ×4, first 2 shown]
	v_fmac_f64_e32 v[12:13], v[108:109], v[70:71]
	s_and_not1_b32 exec_lo, exec_lo, s6
	s_cbranch_execnz .LBB39_31
; %bb.32:
	s_or_b32 exec_lo, exec_lo, s6
.LBB39_33:
	s_delay_alu instid0(SALU_CYCLE_1)
	s_or_b32 exec_lo, exec_lo, s2
.LBB39_34:
	s_delay_alu instid0(SALU_CYCLE_1)
	s_or_b32 exec_lo, exec_lo, s3
.LBB39_35:
	v_mbcnt_lo_u32_b32 v1, -1, 0
	s_delay_alu instid0(VALU_DEP_1) | instskip(NEXT) | instid1(VALU_DEP_1)
	v_or_b32_e32 v18, 32, v1
	v_cmp_gt_i32_e32 vcc_lo, 32, v18
	v_cndmask_b32_e32 v18, v1, v18, vcc_lo
	s_delay_alu instid0(VALU_DEP_1)
	v_lshlrev_b32_e32 v27, 2, v18
	ds_bpermute_b32 v20, v27, v10
	ds_bpermute_b32 v21, v27, v11
	;; [unrolled: 1-line block ×6, first 2 shown]
	s_wait_dscnt 0x4
	v_add_f64_e32 v[10:11], v[10:11], v[20:21]
	s_wait_dscnt 0x2
	v_add_f64_e32 v[20:21], v[30:31], v[22:23]
	;; [unrolled: 2-line block ×3, first 2 shown]
	ds_bpermute_b32 v18, v27, v32
	ds_bpermute_b32 v19, v27, v33
	;; [unrolled: 1-line block ×10, first 2 shown]
	v_xor_b32_e32 v27, 16, v1
	s_delay_alu instid0(VALU_DEP_1)
	v_cmp_gt_i32_e32 vcc_lo, 32, v27
	s_wait_dscnt 0x8
	v_add_f64_e32 v[18:19], v[32:33], v[18:19]
	v_cndmask_b32_e32 v27, v1, v27, vcc_lo
	s_wait_dscnt 0x6
	v_add_f64_e32 v[14:15], v[14:15], v[34:35]
	s_wait_dscnt 0x4
	v_add_f64_e32 v[16:17], v[16:17], v[38:39]
	s_wait_dscnt 0x2
	v_dual_add_f64 v[24:25], v[24:25], v[40:41] :: v_dual_lshlrev_b32 v27, 2, v27
	s_wait_dscnt 0x0
	v_add_f64_e32 v[12:13], v[12:13], v[42:43]
	ds_bpermute_b32 v30, v27, v10
	ds_bpermute_b32 v31, v27, v11
	;; [unrolled: 1-line block ×16, first 2 shown]
	s_wait_dscnt 0xe
	v_dual_add_f64 v[10:11], v[10:11], v[30:31] :: v_dual_bitop2_b32 v27, 8, v1 bitop3:0x14
	s_delay_alu instid0(VALU_DEP_1)
	v_cmp_gt_i32_e32 vcc_lo, 32, v27
	s_wait_dscnt 0xa
	v_dual_add_f64 v[22:23], v[22:23], v[36:37] :: v_dual_cndmask_b32 v27, v1, v27, vcc_lo
	s_wait_dscnt 0x8
	v_add_f64_e32 v[18:19], v[18:19], v[28:29]
	v_add_f64_e32 v[20:21], v[20:21], v[32:33]
	s_wait_dscnt 0x6
	v_add_f64_e32 v[14:15], v[14:15], v[34:35]
	s_wait_dscnt 0x4
	v_add_f64_e32 v[16:17], v[16:17], v[38:39]
	s_wait_dscnt 0x2
	v_dual_add_f64 v[24:25], v[24:25], v[40:41] :: v_dual_lshlrev_b32 v27, 2, v27
	s_wait_dscnt 0x0
	v_add_f64_e32 v[12:13], v[12:13], v[42:43]
	ds_bpermute_b32 v30, v27, v10
	ds_bpermute_b32 v31, v27, v11
	;; [unrolled: 1-line block ×16, first 2 shown]
	s_wait_dscnt 0xe
	v_dual_add_f64 v[10:11], v[10:11], v[30:31] :: v_dual_bitop2_b32 v27, 4, v1 bitop3:0x14
	s_delay_alu instid0(VALU_DEP_1) | instskip(SKIP_4) | instid1(VALU_DEP_2)
	v_cmp_gt_i32_e32 vcc_lo, 32, v27
	s_wait_dscnt 0xa
	v_dual_add_f64 v[18:19], v[18:19], v[28:29] :: v_dual_cndmask_b32 v27, v1, v27, vcc_lo
	s_wait_dscnt 0x6
	v_add_f64_e32 v[14:15], v[14:15], v[34:35]
	v_lshlrev_b32_e32 v27, 2, v27
	s_wait_dscnt 0x4
	v_add_f64_e32 v[16:17], v[16:17], v[38:39]
	s_wait_dscnt 0x2
	v_add_f64_e32 v[24:25], v[24:25], v[40:41]
	;; [unrolled: 2-line block ×3, first 2 shown]
	ds_bpermute_b32 v30, v27, v10
	ds_bpermute_b32 v31, v27, v11
	ds_bpermute_b32 v28, v27, v18
	ds_bpermute_b32 v29, v27, v19
	ds_bpermute_b32 v34, v27, v14
	ds_bpermute_b32 v35, v27, v15
	ds_bpermute_b32 v38, v27, v16
	ds_bpermute_b32 v39, v27, v17
	ds_bpermute_b32 v40, v27, v24
	ds_bpermute_b32 v41, v27, v25
	ds_bpermute_b32 v42, v27, v12
	ds_bpermute_b32 v43, v27, v13
	s_wait_dscnt 0x8
	v_add_f64_e32 v[18:19], v[18:19], v[28:29]
	v_dual_add_f64 v[28:29], v[10:11], v[30:31] :: v_dual_bitop2_b32 v10, 2, v1 bitop3:0x14
	s_wait_dscnt 0x6
	v_add_f64_e32 v[14:15], v[14:15], v[34:35]
	s_delay_alu instid0(VALU_DEP_2)
	v_cmp_gt_i32_e32 vcc_lo, 32, v10
	v_add_f64_e32 v[22:23], v[22:23], v[36:37]
	s_wait_dscnt 0x4
	v_add_f64_e32 v[16:17], v[16:17], v[38:39]
	s_wait_dscnt 0x0
	v_add_f64_e32 v[34:35], v[12:13], v[42:43]
	v_cndmask_b32_e32 v10, v1, v10, vcc_lo
	v_add_f64_e32 v[20:21], v[20:21], v[32:33]
	ds_bpermute_b32 v36, v27, v22
	ds_bpermute_b32 v37, v27, v23
	;; [unrolled: 1-line block ×4, first 2 shown]
	v_lshlrev_b32_e32 v27, 2, v10
	ds_bpermute_b32 v12, v27, v28
	ds_bpermute_b32 v13, v27, v29
	;; [unrolled: 1-line block ×4, first 2 shown]
	s_wait_dscnt 0x6
	v_add_f64_e32 v[22:23], v[22:23], v[36:37]
	ds_bpermute_b32 v36, v27, v14
	ds_bpermute_b32 v37, v27, v15
	s_wait_dscnt 0x6
	v_add_f64_e32 v[20:21], v[20:21], v[32:33]
	v_add_f64_e32 v[32:33], v[24:25], v[40:41]
	ds_bpermute_b32 v40, v27, v16
	ds_bpermute_b32 v41, v27, v17
	s_wait_dscnt 0x6
	v_add_f64_e32 v[30:31], v[28:29], v[12:13]
	ds_bpermute_b32 v38, v27, v22
	ds_bpermute_b32 v39, v27, v23
	;; [unrolled: 1-line block ×6, first 2 shown]
	s_wait_dscnt 0x2
	v_add_f64_e32 v[12:13], v[20:21], v[24:25]
	v_add_f64_e32 v[24:25], v[14:15], v[36:37]
	v_dual_add_f64 v[14:15], v[22:23], v[38:39] :: v_dual_bitop2_b32 v22, 1, v1 bitop3:0x14
	v_add_f64_e32 v[20:21], v[16:17], v[40:41]
	s_wait_dscnt 0x0
	v_add_f64_e32 v[16:17], v[32:33], v[42:43]
	s_delay_alu instid0(VALU_DEP_3)
	v_cmp_gt_i32_e32 vcc_lo, 32, v22
	v_cndmask_b32_e32 v1, v1, v22, vcc_lo
	ds_bpermute_b32 v10, v27, v18
	ds_bpermute_b32 v11, v27, v19
	v_cmp_eq_u32_e32 vcc_lo, 63, v0
	v_lshlrev_b32_e32 v1, 2, v1
	ds_bpermute_b32 v42, v1, v30
	ds_bpermute_b32 v43, v1, v31
	;; [unrolled: 1-line block ×5, first 2 shown]
	s_wait_dscnt 0x5
	v_add_f64_e32 v[10:11], v[18:19], v[10:11]
	v_add_f64_e32 v[18:19], v[34:35], v[44:45]
	ds_bpermute_b32 v41, v1, v25
	ds_bpermute_b32 v32, v1, v14
	;; [unrolled: 1-line block ×11, first 2 shown]
	s_and_b32 exec_lo, exec_lo, vcc_lo
	s_cbranch_execz .LBB39_8
; %bb.36:
	s_wait_dscnt 0xe
	v_add_f64_e32 v[0:1], v[30:31], v[42:43]
	s_wait_dscnt 0xa
	v_add_f64_e32 v[30:31], v[24:25], v[40:41]
	s_wait_dscnt 0x6
	v_add_f64_e32 v[38:39], v[20:21], v[38:39]
	s_wait_dscnt 0x0
	v_add_f64_e32 v[36:37], v[18:19], v[36:37]
	v_add_f64_e32 v[40:41], v[10:11], v[22:23]
	v_add_f64_e32 v[28:29], v[12:13], v[28:29]
	;; [unrolled: 1-line block ×4, first 2 shown]
	v_cmp_eq_f64_e32 vcc_lo, 0, v[2:3]
	v_cmp_eq_f64_e64 s2, 0, v[4:5]
	s_load_b64 s[0:1], s[0:1], 0x60
	v_mul_f64_e64 v[22:23], v[0:1], -v[8:9]
	v_mul_f64_e32 v[24:25], v[6:7], v[0:1]
	v_mul_f64_e64 v[14:15], v[38:39], -v[8:9]
	v_mul_f64_e32 v[16:17], v[6:7], v[38:39]
	v_mul_f64_e64 v[10:11], v[36:37], -v[8:9]
	v_dual_mul_f64 v[12:13], v[6:7], v[36:37] :: v_dual_lshlrev_b32 v0, 2, v26
	v_mul_f64_e64 v[18:19], v[30:31], -v[8:9]
	v_mul_f64_e32 v[20:21], v[6:7], v[30:31]
	s_and_b32 s2, vcc_lo, s2
	v_fmac_f64_e32 v[22:23], v[6:7], v[40:41]
	v_fmac_f64_e32 v[24:25], v[8:9], v[40:41]
	;; [unrolled: 1-line block ×8, first 2 shown]
	s_and_saveexec_b32 s3, s2
	s_delay_alu instid0(SALU_CYCLE_1)
	s_xor_b32 s2, exec_lo, s3
	s_cbranch_execz .LBB39_38
; %bb.37:
	s_wait_kmcnt 0x0
	s_clause 0x3
	global_store_b128 v0, v[22:25], s[0:1] scale_offset
	global_store_b128 v0, v[18:21], s[0:1] offset:16 scale_offset
	global_store_b128 v0, v[14:17], s[0:1] offset:32 scale_offset
	;; [unrolled: 1-line block ×3, first 2 shown]
                                        ; implicit-def: $vgpr4_vgpr5
                                        ; implicit-def: $vgpr22_vgpr23
                                        ; implicit-def: $vgpr0
                                        ; implicit-def: $vgpr18_vgpr19
                                        ; implicit-def: $vgpr14_vgpr15
                                        ; implicit-def: $vgpr10_vgpr11
.LBB39_38:
	s_wait_xcnt 0x0
	s_and_not1_saveexec_b32 s2, s2
	s_cbranch_execz .LBB39_8
; %bb.39:
	s_wait_kmcnt 0x0
	s_clause 0x3
	global_load_b128 v[6:9], v0, s[0:1] scale_offset
	global_load_b128 v[26:29], v0, s[0:1] offset:16 scale_offset
	global_load_b128 v[30:33], v0, s[0:1] offset:32 scale_offset
	;; [unrolled: 1-line block ×3, first 2 shown]
	s_wait_loadcnt 0x3
	v_fmac_f64_e32 v[22:23], v[2:3], v[6:7]
	v_fmac_f64_e32 v[24:25], v[4:5], v[6:7]
	s_wait_loadcnt 0x2
	v_fmac_f64_e32 v[18:19], v[2:3], v[26:27]
	v_fmac_f64_e32 v[20:21], v[4:5], v[26:27]
	s_wait_loadcnt 0x1
	v_fmac_f64_e32 v[14:15], v[2:3], v[30:31]
	v_fmac_f64_e32 v[16:17], v[4:5], v[30:31]
	s_wait_loadcnt 0x0
	v_fmac_f64_e32 v[10:11], v[2:3], v[34:35]
	v_fmac_f64_e32 v[12:13], v[4:5], v[34:35]
	v_fma_f64 v[22:23], -v[4:5], v[8:9], v[22:23]
	v_fmac_f64_e32 v[24:25], v[2:3], v[8:9]
	v_fma_f64 v[18:19], -v[4:5], v[28:29], v[18:19]
	v_fmac_f64_e32 v[20:21], v[2:3], v[28:29]
	;; [unrolled: 2-line block ×4, first 2 shown]
	s_clause 0x3
	global_store_b128 v0, v[22:25], s[0:1] scale_offset
	global_store_b128 v0, v[18:21], s[0:1] offset:16 scale_offset
	global_store_b128 v0, v[14:17], s[0:1] offset:32 scale_offset
	;; [unrolled: 1-line block ×3, first 2 shown]
	s_sendmsg sendmsg(MSG_DEALLOC_VGPRS)
	s_endpgm
	.section	.rodata,"a",@progbits
	.p2align	6, 0x0
	.amdhsa_kernel _ZN9rocsparseL18bsrxmvn_4x4_kernelILj128ELj64E21rocsparse_complex_numIdEliS2_S2_S2_EEvT3_20rocsparse_direction_NS_24const_host_device_scalarIT1_EES3_PKS3_PKT2_SC_S9_PKT4_PKT5_S7_PT6_21rocsparse_index_base_b
		.amdhsa_group_segment_fixed_size 0
		.amdhsa_private_segment_fixed_size 0
		.amdhsa_kernarg_size 112
		.amdhsa_user_sgpr_count 2
		.amdhsa_user_sgpr_dispatch_ptr 0
		.amdhsa_user_sgpr_queue_ptr 0
		.amdhsa_user_sgpr_kernarg_segment_ptr 1
		.amdhsa_user_sgpr_dispatch_id 0
		.amdhsa_user_sgpr_kernarg_preload_length 0
		.amdhsa_user_sgpr_kernarg_preload_offset 0
		.amdhsa_user_sgpr_private_segment_size 0
		.amdhsa_wavefront_size32 1
		.amdhsa_uses_dynamic_stack 0
		.amdhsa_enable_private_segment 0
		.amdhsa_system_sgpr_workgroup_id_x 1
		.amdhsa_system_sgpr_workgroup_id_y 0
		.amdhsa_system_sgpr_workgroup_id_z 0
		.amdhsa_system_sgpr_workgroup_info 0
		.amdhsa_system_vgpr_workitem_id 0
		.amdhsa_next_free_vgpr 177
		.amdhsa_next_free_sgpr 14
		.amdhsa_named_barrier_count 0
		.amdhsa_reserve_vcc 1
		.amdhsa_float_round_mode_32 0
		.amdhsa_float_round_mode_16_64 0
		.amdhsa_float_denorm_mode_32 3
		.amdhsa_float_denorm_mode_16_64 3
		.amdhsa_fp16_overflow 0
		.amdhsa_memory_ordered 1
		.amdhsa_forward_progress 1
		.amdhsa_inst_pref_size 73
		.amdhsa_round_robin_scheduling 0
		.amdhsa_exception_fp_ieee_invalid_op 0
		.amdhsa_exception_fp_denorm_src 0
		.amdhsa_exception_fp_ieee_div_zero 0
		.amdhsa_exception_fp_ieee_overflow 0
		.amdhsa_exception_fp_ieee_underflow 0
		.amdhsa_exception_fp_ieee_inexact 0
		.amdhsa_exception_int_div_zero 0
	.end_amdhsa_kernel
	.section	.text._ZN9rocsparseL18bsrxmvn_4x4_kernelILj128ELj64E21rocsparse_complex_numIdEliS2_S2_S2_EEvT3_20rocsparse_direction_NS_24const_host_device_scalarIT1_EES3_PKS3_PKT2_SC_S9_PKT4_PKT5_S7_PT6_21rocsparse_index_base_b,"axG",@progbits,_ZN9rocsparseL18bsrxmvn_4x4_kernelILj128ELj64E21rocsparse_complex_numIdEliS2_S2_S2_EEvT3_20rocsparse_direction_NS_24const_host_device_scalarIT1_EES3_PKS3_PKT2_SC_S9_PKT4_PKT5_S7_PT6_21rocsparse_index_base_b,comdat
.Lfunc_end39:
	.size	_ZN9rocsparseL18bsrxmvn_4x4_kernelILj128ELj64E21rocsparse_complex_numIdEliS2_S2_S2_EEvT3_20rocsparse_direction_NS_24const_host_device_scalarIT1_EES3_PKS3_PKT2_SC_S9_PKT4_PKT5_S7_PT6_21rocsparse_index_base_b, .Lfunc_end39-_ZN9rocsparseL18bsrxmvn_4x4_kernelILj128ELj64E21rocsparse_complex_numIdEliS2_S2_S2_EEvT3_20rocsparse_direction_NS_24const_host_device_scalarIT1_EES3_PKS3_PKT2_SC_S9_PKT4_PKT5_S7_PT6_21rocsparse_index_base_b
                                        ; -- End function
	.set _ZN9rocsparseL18bsrxmvn_4x4_kernelILj128ELj64E21rocsparse_complex_numIdEliS2_S2_S2_EEvT3_20rocsparse_direction_NS_24const_host_device_scalarIT1_EES3_PKS3_PKT2_SC_S9_PKT4_PKT5_S7_PT6_21rocsparse_index_base_b.num_vgpr, 177
	.set _ZN9rocsparseL18bsrxmvn_4x4_kernelILj128ELj64E21rocsparse_complex_numIdEliS2_S2_S2_EEvT3_20rocsparse_direction_NS_24const_host_device_scalarIT1_EES3_PKS3_PKT2_SC_S9_PKT4_PKT5_S7_PT6_21rocsparse_index_base_b.num_agpr, 0
	.set _ZN9rocsparseL18bsrxmvn_4x4_kernelILj128ELj64E21rocsparse_complex_numIdEliS2_S2_S2_EEvT3_20rocsparse_direction_NS_24const_host_device_scalarIT1_EES3_PKS3_PKT2_SC_S9_PKT4_PKT5_S7_PT6_21rocsparse_index_base_b.numbered_sgpr, 14
	.set _ZN9rocsparseL18bsrxmvn_4x4_kernelILj128ELj64E21rocsparse_complex_numIdEliS2_S2_S2_EEvT3_20rocsparse_direction_NS_24const_host_device_scalarIT1_EES3_PKS3_PKT2_SC_S9_PKT4_PKT5_S7_PT6_21rocsparse_index_base_b.num_named_barrier, 0
	.set _ZN9rocsparseL18bsrxmvn_4x4_kernelILj128ELj64E21rocsparse_complex_numIdEliS2_S2_S2_EEvT3_20rocsparse_direction_NS_24const_host_device_scalarIT1_EES3_PKS3_PKT2_SC_S9_PKT4_PKT5_S7_PT6_21rocsparse_index_base_b.private_seg_size, 0
	.set _ZN9rocsparseL18bsrxmvn_4x4_kernelILj128ELj64E21rocsparse_complex_numIdEliS2_S2_S2_EEvT3_20rocsparse_direction_NS_24const_host_device_scalarIT1_EES3_PKS3_PKT2_SC_S9_PKT4_PKT5_S7_PT6_21rocsparse_index_base_b.uses_vcc, 1
	.set _ZN9rocsparseL18bsrxmvn_4x4_kernelILj128ELj64E21rocsparse_complex_numIdEliS2_S2_S2_EEvT3_20rocsparse_direction_NS_24const_host_device_scalarIT1_EES3_PKS3_PKT2_SC_S9_PKT4_PKT5_S7_PT6_21rocsparse_index_base_b.uses_flat_scratch, 0
	.set _ZN9rocsparseL18bsrxmvn_4x4_kernelILj128ELj64E21rocsparse_complex_numIdEliS2_S2_S2_EEvT3_20rocsparse_direction_NS_24const_host_device_scalarIT1_EES3_PKS3_PKT2_SC_S9_PKT4_PKT5_S7_PT6_21rocsparse_index_base_b.has_dyn_sized_stack, 0
	.set _ZN9rocsparseL18bsrxmvn_4x4_kernelILj128ELj64E21rocsparse_complex_numIdEliS2_S2_S2_EEvT3_20rocsparse_direction_NS_24const_host_device_scalarIT1_EES3_PKS3_PKT2_SC_S9_PKT4_PKT5_S7_PT6_21rocsparse_index_base_b.has_recursion, 0
	.set _ZN9rocsparseL18bsrxmvn_4x4_kernelILj128ELj64E21rocsparse_complex_numIdEliS2_S2_S2_EEvT3_20rocsparse_direction_NS_24const_host_device_scalarIT1_EES3_PKS3_PKT2_SC_S9_PKT4_PKT5_S7_PT6_21rocsparse_index_base_b.has_indirect_call, 0
	.section	.AMDGPU.csdata,"",@progbits
; Kernel info:
; codeLenInByte = 9244
; TotalNumSgprs: 16
; NumVgprs: 177
; ScratchSize: 0
; MemoryBound: 1
; FloatMode: 240
; IeeeMode: 1
; LDSByteSize: 0 bytes/workgroup (compile time only)
; SGPRBlocks: 0
; VGPRBlocks: 11
; NumSGPRsForWavesPerEU: 16
; NumVGPRsForWavesPerEU: 177
; NamedBarCnt: 0
; Occupancy: 5
; WaveLimiterHint : 1
; COMPUTE_PGM_RSRC2:SCRATCH_EN: 0
; COMPUTE_PGM_RSRC2:USER_SGPR: 2
; COMPUTE_PGM_RSRC2:TRAP_HANDLER: 0
; COMPUTE_PGM_RSRC2:TGID_X_EN: 1
; COMPUTE_PGM_RSRC2:TGID_Y_EN: 0
; COMPUTE_PGM_RSRC2:TGID_Z_EN: 0
; COMPUTE_PGM_RSRC2:TIDIG_COMP_CNT: 0
	.section	.text._ZN9rocsparseL18bsrxmvn_4x4_kernelILj128ELj4EfllfffEEvT3_20rocsparse_direction_NS_24const_host_device_scalarIT1_EES1_PKS1_PKT2_SA_S7_PKT4_PKT5_S5_PT6_21rocsparse_index_base_b,"axG",@progbits,_ZN9rocsparseL18bsrxmvn_4x4_kernelILj128ELj4EfllfffEEvT3_20rocsparse_direction_NS_24const_host_device_scalarIT1_EES1_PKS1_PKT2_SA_S7_PKT4_PKT5_S5_PT6_21rocsparse_index_base_b,comdat
	.globl	_ZN9rocsparseL18bsrxmvn_4x4_kernelILj128ELj4EfllfffEEvT3_20rocsparse_direction_NS_24const_host_device_scalarIT1_EES1_PKS1_PKT2_SA_S7_PKT4_PKT5_S5_PT6_21rocsparse_index_base_b ; -- Begin function _ZN9rocsparseL18bsrxmvn_4x4_kernelILj128ELj4EfllfffEEvT3_20rocsparse_direction_NS_24const_host_device_scalarIT1_EES1_PKS1_PKT2_SA_S7_PKT4_PKT5_S5_PT6_21rocsparse_index_base_b
	.p2align	8
	.type	_ZN9rocsparseL18bsrxmvn_4x4_kernelILj128ELj4EfllfffEEvT3_20rocsparse_direction_NS_24const_host_device_scalarIT1_EES1_PKS1_PKT2_SA_S7_PKT4_PKT5_S5_PT6_21rocsparse_index_base_b,@function
_ZN9rocsparseL18bsrxmvn_4x4_kernelILj128ELj4EfllfffEEvT3_20rocsparse_direction_NS_24const_host_device_scalarIT1_EES1_PKS1_PKT2_SA_S7_PKT4_PKT5_S5_PT6_21rocsparse_index_base_b: ; @_ZN9rocsparseL18bsrxmvn_4x4_kernelILj128ELj4EfllfffEEvT3_20rocsparse_direction_NS_24const_host_device_scalarIT1_EES1_PKS1_PKT2_SA_S7_PKT4_PKT5_S5_PT6_21rocsparse_index_base_b
; %bb.0:
	s_clause 0x2
	s_load_b64 s[2:3], s[0:1], 0x60
	s_load_b128 s[12:15], s[0:1], 0x10
	s_load_b64 s[16:17], s[0:1], 0x50
	s_wait_kmcnt 0x0
	s_bitcmp1_b32 s3, 0
	s_cselect_b32 s3, -1, 0
	s_delay_alu instid0(SALU_CYCLE_1)
	s_and_b32 vcc_lo, exec_lo, s3
	s_xor_b32 s3, s3, -1
	s_cbranch_vccnz .LBB40_2
; %bb.1:
	s_load_b32 s12, s[12:13], 0x0
.LBB40_2:
	s_and_not1_b32 vcc_lo, exec_lo, s3
	s_cbranch_vccnz .LBB40_4
; %bb.3:
	s_load_b32 s16, s[16:17], 0x0
.LBB40_4:
	s_wait_kmcnt 0x0
	s_cmp_neq_f32 s12, 0
	s_mov_b32 s6, 0
	s_cselect_b32 s3, -1, 0
	s_cmp_neq_f32 s16, 1.0
	s_cselect_b32 s4, -1, 0
	s_delay_alu instid0(SALU_CYCLE_1) | instskip(NEXT) | instid1(SALU_CYCLE_1)
	s_or_b32 s3, s3, s4
	s_and_not1_b32 vcc_lo, exec_lo, s3
	s_cbranch_vccnz .LBB40_10
; %bb.5:
	s_load_b64 s[4:5], s[0:1], 0x20
	s_bfe_u32 s3, ttmp6, 0x4000c
	s_and_b32 s7, ttmp6, 15
	s_add_co_i32 s3, s3, 1
	s_getreg_b32 s8, hwreg(HW_REG_IB_STS2, 6, 4)
	s_mul_i32 s3, ttmp9, s3
	v_dual_lshrrev_b32 v1, 2, v0 :: v_dual_mov_b32 v7, 0
	s_add_co_i32 s7, s7, s3
	s_cmp_eq_u32 s8, 0
	s_cselect_b32 s3, ttmp9, s7
	s_delay_alu instid0(VALU_DEP_1) | instid1(SALU_CYCLE_1)
	v_lshl_or_b32 v6, s3, 5, v1
	s_wait_kmcnt 0x0
	s_cmp_lg_u64 s[4:5], 0
	s_cbranch_scc0 .LBB40_11
; %bb.6:
	s_mov_b32 s7, 0
                                        ; implicit-def: $vgpr2_vgpr3
                                        ; implicit-def: $vgpr4_vgpr5
	s_mov_b32 s3, exec_lo
	v_cmpx_gt_i64_e64 s[14:15], v[6:7]
	s_xor_b32 s8, exec_lo, s3
	s_cbranch_execz .LBB40_8
; %bb.7:
	v_lshl_add_u64 v[2:3], v[6:7], 3, s[4:5]
	s_mov_b32 s3, 0
	s_mov_b32 s6, exec_lo
	v_mov_b64_e32 v[4:5], s[2:3]
	global_load_b64 v[2:3], v[2:3], off
	s_wait_loadcnt 0x0
	v_sub_nc_u64_e64 v[2:3], v[2:3], s[2:3]
.LBB40_8:
	s_or_b32 exec_lo, exec_lo, s8
	s_delay_alu instid0(SALU_CYCLE_1)
	s_and_b32 vcc_lo, exec_lo, s7
	s_cbranch_vccnz .LBB40_12
.LBB40_9:
	s_and_saveexec_b32 s2, s6
	s_cbranch_execnz .LBB40_15
.LBB40_10:
	s_sendmsg sendmsg(MSG_DEALLOC_VGPRS)
	s_endpgm
.LBB40_11:
                                        ; implicit-def: $vgpr2_vgpr3
                                        ; implicit-def: $vgpr4_vgpr5
	s_cbranch_execz .LBB40_9
.LBB40_12:
	s_load_b64 s[4:5], s[0:1], 0x0
	s_wait_kmcnt 0x0
	v_cmp_gt_i64_e32 vcc_lo, s[4:5], v[6:7]
	s_and_saveexec_b32 s4, vcc_lo
; %bb.13:
	s_mov_b32 s3, 0
	s_or_b32 s6, s6, exec_lo
; %bb.14:
	s_or_b32 exec_lo, exec_lo, s4
	v_mov_b64_e32 v[4:5], s[2:3]
	v_mov_b64_e32 v[2:3], v[6:7]
	s_and_saveexec_b32 s2, s6
	s_cbranch_execz .LBB40_10
.LBB40_15:
	s_load_b256 s[4:11], s[0:1], 0x28
	s_delay_alu instid0(VALU_DEP_1) | instskip(SKIP_3) | instid1(VALU_DEP_2)
	v_lshlrev_b64_e32 v[6:7], 3, v[2:3]
	v_dual_mov_b32 v1, 0 :: v_dual_bitop2_b32 v0, 3, v0 bitop3:0x40
	s_load_b32 s3, s[0:1], 0x8
	s_wait_kmcnt 0x0
	v_add_nc_u64_e32 v[8:9], s[4:5], v[6:7]
	v_add_nc_u64_e32 v[6:7], s[6:7], v[6:7]
	s_cmp_eq_u64 s[6:7], 0
	s_load_b64 s[4:5], s[0:1], 0x48
	s_cselect_b32 vcc_lo, -1, 0
	s_cmp_eq_u32 s3, 1
	global_load_b64 v[16:17], v[8:9], off
	s_wait_xcnt 0x0
	v_add_nc_u64_e32 v[8:9], 8, v[8:9]
	s_delay_alu instid0(VALU_DEP_1) | instskip(SKIP_4) | instid1(VALU_DEP_1)
	v_dual_cndmask_b32 v7, v7, v9 :: v_dual_cndmask_b32 v6, v6, v8
	global_load_b64 v[8:9], v[6:7], off
	s_wait_loadcnt 0x1
	s_wait_xcnt 0x0
	v_sub_nc_u64_e32 v[6:7], v[16:17], v[4:5]
	v_add_nc_u64_e32 v[6:7], v[6:7], v[0:1]
	s_wait_loadcnt 0x0
	v_sub_nc_u64_e32 v[8:9], v[8:9], v[4:5]
	s_delay_alu instid0(VALU_DEP_2) | instskip(NEXT) | instid1(VALU_DEP_2)
	v_lshlrev_b64_e32 v[10:11], 6, v[6:7]
	v_cmp_lt_i64_e64 s2, v[6:7], v[8:9]
	s_delay_alu instid0(VALU_DEP_2)
	v_add_nc_u64_e32 v[10:11], s[10:11], v[10:11]
	s_cbranch_scc1 .LBB40_27
; %bb.16:
	v_dual_mov_b32 v15, v1 :: v_dual_mov_b32 v14, v1
	v_dual_mov_b32 v13, v1 :: v_dual_mov_b32 v12, v1
	s_and_saveexec_b32 s3, s2
	s_cbranch_execz .LBB40_26
; %bb.17:
	v_dual_mov_b32 v13, v1 :: v_dual_bitop2_b32 v12, 4, v0 bitop3:0x54
	v_sub_nc_u64_e32 v[14:15], v[4:5], v[0:1]
	v_not_b32_e32 v19, v17
	v_not_b32_e32 v18, v16
	v_mov_b64_e32 v[20:21], v[10:11]
	v_sub_nc_u64_e32 v[12:13], v[12:13], v[4:5]
	s_delay_alu instid0(VALU_DEP_3) | instskip(SKIP_1) | instid1(VALU_DEP_3)
	v_add_nc_u64_e32 v[14:15], v[14:15], v[18:19]
	v_mov_b64_e32 v[18:19], v[6:7]
	v_add_nc_u64_e32 v[12:13], v[12:13], v[16:17]
	s_delay_alu instid0(VALU_DEP_1) | instskip(NEXT) | instid1(VALU_DEP_1)
	v_max_i64 v[12:13], v[12:13], v[8:9]
	v_add_nc_u64_e32 v[22:23], v[14:15], v[12:13]
	s_delay_alu instid0(VALU_DEP_1) | instskip(NEXT) | instid1(VALU_DEP_1)
	v_dual_mov_b32 v13, 0 :: v_dual_bitop2_b32 v12, 12, v22 bitop3:0x40
	v_dual_mov_b32 v14, v13 :: v_dual_mov_b32 v15, v13
	s_delay_alu instid0(VALU_DEP_2)
	v_cmp_ne_u64_e32 vcc_lo, 12, v[12:13]
	v_mov_b32_e32 v12, v13
	s_and_saveexec_b32 s6, vcc_lo
	s_cbranch_execz .LBB40_21
; %bb.18:
	v_dual_mov_b32 v13, 0 :: v_dual_lshrrev_b32 v12, 2, v22
	v_mov_b64_e32 v[20:21], v[10:11]
	v_mov_b64_e32 v[18:19], v[6:7]
	v_lshl_add_u64 v[24:25], v[6:7], 3, s[8:9]
	s_delay_alu instid0(VALU_DEP_4) | instskip(SKIP_1) | instid1(VALU_DEP_1)
	v_dual_add_nc_u32 v12, 1, v12 :: v_dual_mov_b32 v14, v13
	s_mov_b32 s7, 0
	v_dual_mov_b32 v15, v13 :: v_dual_bitop2_b32 v12, 3, v12 bitop3:0x40
	s_delay_alu instid0(VALU_DEP_1)
	v_sub_nc_u64_e32 v[26:27], 0, v[12:13]
	v_mov_b32_e32 v12, v13
.LBB40_19:                              ; =>This Inner Loop Header: Depth=1
	global_load_b64 v[28:29], v[24:25], off
	v_add_nc_u64_e32 v[26:27], 1, v[26:27]
	v_add_nc_u64_e32 v[18:19], 4, v[18:19]
	s_wait_xcnt 0x0
	v_add_nc_u64_e32 v[24:25], 32, v[24:25]
	s_delay_alu instid0(VALU_DEP_3)
	v_cmp_eq_u64_e32 vcc_lo, 0, v[26:27]
	s_or_b32 s7, vcc_lo, s7
	s_wait_loadcnt 0x0
	v_sub_nc_u64_e32 v[44:45], v[28:29], v[4:5]
	s_clause 0x3
	global_load_b128 v[28:31], v[20:21], off offset:16
	global_load_b128 v[32:35], v[20:21], off
	global_load_b128 v[36:39], v[20:21], off offset:48
	global_load_b128 v[40:43], v[20:21], off offset:32
	s_wait_xcnt 0x0
	v_add_nc_u64_e32 v[20:21], 0x100, v[20:21]
	s_wait_kmcnt 0x0
	v_lshl_add_u64 v[44:45], v[44:45], 4, s[4:5]
	global_load_b128 v[44:47], v[44:45], off
	s_wait_loadcnt 0x3
	v_dual_mov_b32 v49, v28 :: v_dual_mov_b32 v48, v32
	s_wait_loadcnt 0x1
	v_dual_mov_b32 v51, v36 :: v_dual_mov_b32 v50, v40
	v_dual_mov_b32 v28, v33 :: v_dual_mov_b32 v32, v34
	;; [unrolled: 1-line block ×5, first 2 shown]
	s_wait_loadcnt 0x0
	v_pk_fma_f32 v[12:13], v[48:49], v[44:45], v[12:13] op_sel_hi:[1,0,1]
	v_pk_fma_f32 v[14:15], v[50:51], v[44:45], v[14:15] op_sel_hi:[1,0,1]
	s_delay_alu instid0(VALU_DEP_2) | instskip(NEXT) | instid1(VALU_DEP_2)
	v_pk_fma_f32 v[12:13], v[28:29], v[44:45], v[12:13] op_sel:[0,1,0]
	v_pk_fma_f32 v[14:15], v[36:37], v[44:45], v[14:15] op_sel:[0,1,0]
	v_mov_b32_e32 v28, v47
	s_delay_alu instid0(VALU_DEP_3) | instskip(NEXT) | instid1(VALU_DEP_3)
	v_pk_fma_f32 v[12:13], v[32:33], v[46:47], v[12:13] op_sel_hi:[1,0,1]
	v_pk_fma_f32 v[14:15], v[40:41], v[46:47], v[14:15] op_sel_hi:[1,0,1]
	s_delay_alu instid0(VALU_DEP_2) | instskip(NEXT) | instid1(VALU_DEP_2)
	v_pk_fma_f32 v[12:13], v[30:31], v[28:29], v[12:13] op_sel_hi:[1,0,1]
	v_pk_fma_f32 v[14:15], v[38:39], v[28:29], v[14:15] op_sel_hi:[1,0,1]
	s_and_not1_b32 exec_lo, exec_lo, s7
	s_cbranch_execnz .LBB40_19
; %bb.20:
	s_or_b32 exec_lo, exec_lo, s7
.LBB40_21:
	s_delay_alu instid0(SALU_CYCLE_1) | instskip(NEXT) | instid1(SALU_CYCLE_1)
	s_or_b32 exec_lo, exec_lo, s6
	s_mov_b32 s6, exec_lo
	v_cmpx_lt_u64_e32 11, v[22:23]
	s_cbranch_execz .LBB40_25
; %bb.22:
	v_lshl_add_u64 v[22:23], v[18:19], 3, s[8:9]
	s_mov_b32 s7, 0
	s_delay_alu instid0(VALU_DEP_1)
	v_add_nc_u64_e32 v[22:23], 64, v[22:23]
.LBB40_23:                              ; =>This Inner Loop Header: Depth=1
	s_clause 0x2
	global_load_b64 v[40:41], v[22:23], off offset:-64
	global_load_b64 v[48:49], v[22:23], off offset:-32
	global_load_b64 v[68:69], v[22:23], off
	s_clause 0x3
	global_load_b128 v[24:27], v[20:21], off
	global_load_b128 v[28:31], v[20:21], off offset:16
	global_load_b128 v[32:35], v[20:21], off offset:32
	;; [unrolled: 1-line block ×3, first 2 shown]
	global_load_b64 v[96:97], v[22:23], off offset:32
	v_add_nc_u64_e32 v[18:19], 16, v[18:19]
	s_wait_xcnt 0x0
	v_add_nc_u64_e32 v[22:23], 0x80, v[22:23]
	s_delay_alu instid0(VALU_DEP_2)
	v_cmp_ge_i64_e32 vcc_lo, v[18:19], v[8:9]
	s_or_b32 s7, vcc_lo, s7
	s_wait_loadcnt 0x7
	v_sub_nc_u64_e32 v[40:41], v[40:41], v[4:5]
	s_wait_loadcnt 0x6
	v_sub_nc_u64_e32 v[60:61], v[48:49], v[4:5]
	;; [unrolled: 2-line block ×3, first 2 shown]
	s_wait_loadcnt 0x3
	v_dual_mov_b32 v98, v24 :: v_dual_mov_b32 v99, v28
	v_dual_mov_b32 v28, v25 :: v_dual_mov_b32 v100, v26
	s_wait_kmcnt 0x0
	v_lshl_add_u64 v[50:51], v[40:41], 4, s[4:5]
	v_lshl_add_u64 v[70:71], v[60:61], 4, s[4:5]
	;; [unrolled: 1-line block ×3, first 2 shown]
	s_wait_loadcnt 0x0
	v_sub_nc_u64_e32 v[96:97], v[96:97], v[4:5]
	v_dual_mov_b32 v101, v30 :: v_dual_mov_b32 v30, v27
	global_load_b128 v[40:43], v[50:51], off
	s_clause 0x3
	global_load_b128 v[44:47], v[20:21], off offset:256
	global_load_b128 v[48:51], v[20:21], off offset:272
	;; [unrolled: 1-line block ×4, first 2 shown]
	global_load_b128 v[60:63], v[70:71], off
	s_clause 0x6
	global_load_b128 v[64:67], v[20:21], off offset:512
	global_load_b128 v[68:71], v[20:21], off offset:528
	;; [unrolled: 1-line block ×7, first 2 shown]
	global_load_b128 v[92:95], v[92:93], off
	v_dual_mov_b32 v102, v32 :: v_dual_mov_b32 v103, v36
	v_dual_mov_b32 v36, v33 :: v_dual_mov_b32 v104, v34
	global_load_b128 v[24:27], v[20:21], off offset:816
	v_lshl_add_u64 v[32:33], v[96:97], 4, s[4:5]
	v_dual_mov_b32 v105, v38 :: v_dual_mov_b32 v38, v35
	s_wait_xcnt 0x0
	v_add_nc_u64_e32 v[20:21], 0x400, v[20:21]
	global_load_b128 v[32:35], v[32:33], off
	s_wait_loadcnt 0xf
	v_pk_fma_f32 v[12:13], v[98:99], v[40:41], v[12:13] op_sel_hi:[1,0,1]
	v_pk_fma_f32 v[14:15], v[102:103], v[40:41], v[14:15] op_sel_hi:[1,0,1]
	s_wait_loadcnt 0xd
	v_dual_mov_b32 v96, v44 :: v_dual_mov_b32 v97, v48
	v_mov_b32_e32 v48, v45
	v_pk_fma_f32 v[12:13], v[28:29], v[40:41], v[12:13] op_sel:[0,1,0]
	v_pk_fma_f32 v[14:15], v[36:37], v[40:41], v[14:15] op_sel:[0,1,0]
	v_dual_mov_b32 v28, v43 :: v_dual_mov_b32 v36, v46
	s_wait_loadcnt 0xc
	v_mov_b32_e32 v40, v52
	v_pk_fma_f32 v[12:13], v[100:101], v[42:43], v[12:13] op_sel_hi:[1,0,1]
	v_pk_fma_f32 v[14:15], v[104:105], v[42:43], v[14:15] op_sel_hi:[1,0,1]
	s_wait_loadcnt 0xb
	v_dual_mov_b32 v41, v56 :: v_dual_mov_b32 v37, v50
	v_dual_mov_b32 v50, v47 :: v_dual_mov_b32 v56, v53
	v_pk_fma_f32 v[12:13], v[30:31], v[28:29], v[12:13] op_sel_hi:[1,0,1]
	v_pk_fma_f32 v[14:15], v[38:39], v[28:29], v[14:15] op_sel_hi:[1,0,1]
	v_dual_mov_b32 v28, v54 :: v_dual_mov_b32 v29, v58
	s_wait_loadcnt 0x9
	v_dual_mov_b32 v58, v55 :: v_dual_mov_b32 v30, v64
	v_pk_fma_f32 v[12:13], v[96:97], v[60:61], v[12:13] op_sel_hi:[1,0,1]
	v_pk_fma_f32 v[14:15], v[40:41], v[60:61], v[14:15] op_sel_hi:[1,0,1]
	s_wait_loadcnt 0x8
	v_dual_mov_b32 v31, v68 :: v_dual_mov_b32 v38, v63
	v_mov_b32_e32 v68, v65
	v_pk_fma_f32 v[12:13], v[48:49], v[60:61], v[12:13] op_sel:[0,1,0]
	v_pk_fma_f32 v[14:15], v[56:57], v[60:61], v[14:15] op_sel:[0,1,0]
	s_delay_alu instid0(VALU_DEP_2) | instskip(NEXT) | instid1(VALU_DEP_2)
	v_pk_fma_f32 v[12:13], v[36:37], v[62:63], v[12:13] op_sel_hi:[1,0,1]
	v_pk_fma_f32 v[14:15], v[28:29], v[62:63], v[14:15] op_sel_hi:[1,0,1]
	s_wait_loadcnt 0x6
	v_dual_mov_b32 v28, v76 :: v_dual_mov_b32 v29, v72
	v_mov_b32_e32 v72, v77
	v_pk_fma_f32 v[12:13], v[50:51], v[38:39], v[12:13] op_sel_hi:[1,0,1]
	v_pk_fma_f32 v[14:15], v[58:59], v[38:39], v[14:15] op_sel_hi:[1,0,1]
	v_dual_mov_b32 v36, v66 :: v_dual_mov_b32 v37, v70
	v_mov_b32_e32 v70, v67
	s_wait_loadcnt 0x2
	v_pk_fma_f32 v[12:13], v[30:31], v[92:93], v[12:13] op_sel_hi:[1,0,1]
	v_pk_fma_f32 v[14:15], v[28:29], v[92:93], v[14:15] op_sel_hi:[1,0,1]
	v_dual_mov_b32 v28, v78 :: v_dual_mov_b32 v29, v74
	v_mov_b32_e32 v30, v84
	s_delay_alu instid0(VALU_DEP_4) | instskip(NEXT) | instid1(VALU_DEP_4)
	v_pk_fma_f32 v[12:13], v[68:69], v[92:93], v[12:13] op_sel:[0,1,0]
	v_pk_fma_f32 v[14:15], v[72:73], v[92:93], v[14:15] op_sel:[0,1,0]
	v_dual_mov_b32 v74, v79 :: v_dual_mov_b32 v38, v95
	v_mov_b32_e32 v31, v80
	s_delay_alu instid0(VALU_DEP_4) | instskip(NEXT) | instid1(VALU_DEP_4)
	v_pk_fma_f32 v[12:13], v[36:37], v[94:95], v[12:13] op_sel_hi:[1,0,1]
	v_pk_fma_f32 v[14:15], v[28:29], v[94:95], v[14:15] op_sel_hi:[1,0,1]
	s_wait_loadcnt 0x1
	v_dual_mov_b32 v28, v88 :: v_dual_mov_b32 v29, v24
	v_mov_b32_e32 v80, v85
	v_pk_fma_f32 v[12:13], v[70:71], v[38:39], v[12:13] op_sel_hi:[1,0,1]
	v_pk_fma_f32 v[14:15], v[74:75], v[38:39], v[14:15] op_sel_hi:[1,0,1]
	v_dual_mov_b32 v36, v86 :: v_dual_mov_b32 v24, v89
	v_mov_b32_e32 v37, v82
	s_wait_loadcnt 0x0
	v_pk_fma_f32 v[12:13], v[30:31], v[32:33], v[12:13] op_sel_hi:[1,0,1]
	v_pk_fma_f32 v[14:15], v[28:29], v[32:33], v[14:15] op_sel_hi:[1,0,1]
	v_dual_mov_b32 v28, v90 :: v_dual_mov_b32 v29, v26
	v_mov_b32_e32 v82, v87
	s_delay_alu instid0(VALU_DEP_4) | instskip(NEXT) | instid1(VALU_DEP_4)
	v_pk_fma_f32 v[12:13], v[80:81], v[32:33], v[12:13] op_sel:[0,1,0]
	v_pk_fma_f32 v[14:15], v[24:25], v[32:33], v[14:15] op_sel:[0,1,0]
	v_dual_mov_b32 v26, v91 :: v_dual_mov_b32 v24, v35
	s_delay_alu instid0(VALU_DEP_3) | instskip(NEXT) | instid1(VALU_DEP_3)
	v_pk_fma_f32 v[12:13], v[36:37], v[34:35], v[12:13] op_sel_hi:[1,0,1]
	v_pk_fma_f32 v[14:15], v[28:29], v[34:35], v[14:15] op_sel_hi:[1,0,1]
	s_delay_alu instid0(VALU_DEP_2) | instskip(NEXT) | instid1(VALU_DEP_2)
	v_pk_fma_f32 v[12:13], v[82:83], v[24:25], v[12:13] op_sel_hi:[1,0,1]
	v_pk_fma_f32 v[14:15], v[26:27], v[24:25], v[14:15] op_sel_hi:[1,0,1]
	s_and_not1_b32 exec_lo, exec_lo, s7
	s_cbranch_execnz .LBB40_23
; %bb.24:
	s_or_b32 exec_lo, exec_lo, s7
.LBB40_25:
	s_delay_alu instid0(SALU_CYCLE_1)
	s_or_b32 exec_lo, exec_lo, s6
.LBB40_26:
	s_delay_alu instid0(SALU_CYCLE_1)
	s_or_b32 exec_lo, exec_lo, s3
	s_cbranch_execz .LBB40_28
	s_branch .LBB40_39
.LBB40_27:
                                        ; implicit-def: $vgpr15
                                        ; implicit-def: $vgpr13
.LBB40_28:
	v_dual_mov_b32 v15, 0 :: v_dual_mov_b32 v14, 0
	v_dual_mov_b32 v13, 0 :: v_dual_mov_b32 v12, 0
	s_and_saveexec_b32 s3, s2
	s_cbranch_execz .LBB40_38
; %bb.29:
	v_dual_mov_b32 v13, v1 :: v_dual_bitop2_b32 v12, 4, v0 bitop3:0x54
	v_sub_nc_u64_e32 v[14:15], v[4:5], v[0:1]
	s_delay_alu instid0(VALU_DEP_2) | instskip(NEXT) | instid1(VALU_DEP_1)
	v_sub_nc_u64_e32 v[12:13], v[12:13], v[4:5]
	v_add_nc_u64_e32 v[12:13], v[12:13], v[16:17]
	v_not_b32_e32 v17, v17
	v_not_b32_e32 v16, v16
	s_delay_alu instid0(VALU_DEP_1) | instskip(NEXT) | instid1(VALU_DEP_4)
	v_add_nc_u64_e32 v[14:15], v[14:15], v[16:17]
	v_max_i64 v[12:13], v[12:13], v[8:9]
	s_delay_alu instid0(VALU_DEP_1) | instskip(NEXT) | instid1(VALU_DEP_1)
	v_add_nc_u64_e32 v[16:17], v[14:15], v[12:13]
	v_dual_mov_b32 v13, 0 :: v_dual_bitop2_b32 v12, 12, v16 bitop3:0x40
	s_delay_alu instid0(VALU_DEP_1) | instskip(NEXT) | instid1(VALU_DEP_2)
	v_dual_mov_b32 v15, v13 :: v_dual_mov_b32 v14, v13
	v_cmp_ne_u64_e32 vcc_lo, 12, v[12:13]
	v_mov_b32_e32 v12, v13
	s_and_saveexec_b32 s2, vcc_lo
	s_cbranch_execz .LBB40_33
; %bb.30:
	v_dual_lshrrev_b32 v1, 2, v16 :: v_dual_mov_b32 v13, 0
	v_lshl_add_u64 v[18:19], v[6:7], 3, s[8:9]
	s_mov_b32 s6, 0
	s_delay_alu instid0(VALU_DEP_2) | instskip(NEXT) | instid1(VALU_DEP_1)
	v_dual_add_nc_u32 v1, 1, v1 :: v_dual_mov_b32 v15, v13
	v_dual_mov_b32 v14, v13 :: v_dual_bitop2_b32 v12, 3, v1 bitop3:0x40
	s_delay_alu instid0(VALU_DEP_1)
	v_sub_nc_u64_e32 v[20:21], 0, v[12:13]
	v_mov_b32_e32 v12, v13
.LBB40_31:                              ; =>This Inner Loop Header: Depth=1
	global_load_b64 v[22:23], v[18:19], off
	v_add_nc_u64_e32 v[20:21], 1, v[20:21]
	v_add_nc_u64_e32 v[6:7], 4, v[6:7]
	s_wait_xcnt 0x0
	v_add_nc_u64_e32 v[18:19], 32, v[18:19]
	s_delay_alu instid0(VALU_DEP_3) | instskip(SKIP_4) | instid1(VALU_DEP_1)
	v_cmp_eq_u64_e32 vcc_lo, 0, v[20:21]
	s_or_b32 s6, vcc_lo, s6
	s_wait_loadcnt 0x0
	v_sub_nc_u64_e32 v[22:23], v[22:23], v[4:5]
	s_wait_kmcnt 0x0
	v_lshl_add_u64 v[42:43], v[22:23], 4, s[4:5]
	s_clause 0x1
	global_load_b128 v[22:25], v[10:11], off offset:16
	global_load_b128 v[26:29], v[10:11], off
	global_load_b128 v[30:33], v[42:43], off
	s_clause 0x1
	global_load_b128 v[34:37], v[10:11], off offset:32
	global_load_b128 v[38:41], v[10:11], off offset:48
	s_wait_xcnt 0x0
	v_add_nc_u64_e32 v[10:11], 0x100, v[10:11]
	s_wait_loadcnt 0x2
	v_pk_fma_f32 v[12:13], v[26:27], v[30:31], v[12:13] op_sel_hi:[1,0,1]
	v_pk_fma_f32 v[14:15], v[28:29], v[30:31], v[14:15] op_sel_hi:[1,0,1]
	s_delay_alu instid0(VALU_DEP_2) | instskip(NEXT) | instid1(VALU_DEP_2)
	v_pk_fma_f32 v[12:13], v[22:23], v[30:31], v[12:13] op_sel:[0,1,0]
	v_pk_fma_f32 v[14:15], v[24:25], v[30:31], v[14:15] op_sel:[0,1,0]
	v_mov_b32_e32 v22, v33
	s_wait_loadcnt 0x1
	s_delay_alu instid0(VALU_DEP_3) | instskip(NEXT) | instid1(VALU_DEP_3)
	v_pk_fma_f32 v[12:13], v[34:35], v[32:33], v[12:13] op_sel_hi:[1,0,1]
	v_pk_fma_f32 v[14:15], v[36:37], v[32:33], v[14:15] op_sel_hi:[1,0,1]
	s_wait_loadcnt 0x0
	s_delay_alu instid0(VALU_DEP_2) | instskip(NEXT) | instid1(VALU_DEP_2)
	v_pk_fma_f32 v[12:13], v[38:39], v[22:23], v[12:13] op_sel_hi:[1,0,1]
	v_pk_fma_f32 v[14:15], v[40:41], v[22:23], v[14:15] op_sel_hi:[1,0,1]
	s_and_not1_b32 exec_lo, exec_lo, s6
	s_cbranch_execnz .LBB40_31
; %bb.32:
	s_or_b32 exec_lo, exec_lo, s6
.LBB40_33:
	s_delay_alu instid0(SALU_CYCLE_1) | instskip(NEXT) | instid1(SALU_CYCLE_1)
	s_or_b32 exec_lo, exec_lo, s2
	s_mov_b32 s2, exec_lo
	v_cmpx_lt_u64_e32 11, v[16:17]
	s_cbranch_execz .LBB40_37
; %bb.34:
	v_lshl_add_u64 v[16:17], v[6:7], 3, s[8:9]
	s_mov_b32 s6, 0
	s_delay_alu instid0(VALU_DEP_1)
	v_add_nc_u64_e32 v[16:17], 64, v[16:17]
.LBB40_35:                              ; =>This Inner Loop Header: Depth=1
	s_clause 0x2
	global_load_b64 v[30:31], v[16:17], off offset:-64
	global_load_b64 v[32:33], v[16:17], off offset:-32
	global_load_b64 v[50:51], v[16:17], off
	s_clause 0x2
	global_load_b128 v[18:21], v[10:11], off offset:32
	global_load_b128 v[22:25], v[10:11], off offset:16
	global_load_b128 v[26:29], v[10:11], off
	global_load_b64 v[78:79], v[16:17], off offset:32
	v_add_nc_u64_e32 v[6:7], 16, v[6:7]
	s_wait_xcnt 0x0
	v_add_nc_u64_e32 v[16:17], 0x80, v[16:17]
	s_delay_alu instid0(VALU_DEP_2)
	v_cmp_ge_i64_e32 vcc_lo, v[6:7], v[8:9]
	s_or_b32 s6, vcc_lo, s6
	s_wait_loadcnt 0x6
	v_sub_nc_u64_e32 v[30:31], v[30:31], v[4:5]
	s_wait_loadcnt 0x5
	v_sub_nc_u64_e32 v[38:39], v[32:33], v[4:5]
	;; [unrolled: 2-line block ×4, first 2 shown]
	s_wait_kmcnt 0x0
	v_lshl_add_u64 v[40:41], v[30:31], 4, s[4:5]
	v_lshl_add_u64 v[52:53], v[38:39], 4, s[4:5]
	s_delay_alu instid0(VALU_DEP_4)
	v_lshl_add_u64 v[80:81], v[58:59], 4, s[4:5]
	global_load_b128 v[30:33], v[40:41], off
	s_clause 0x2
	global_load_b128 v[34:37], v[10:11], off offset:48
	global_load_b128 v[38:41], v[10:11], off offset:272
	global_load_b128 v[42:45], v[10:11], off offset:256
	global_load_b128 v[46:49], v[52:53], off
	s_clause 0x3
	global_load_b128 v[50:53], v[10:11], off offset:288
	global_load_b128 v[54:57], v[10:11], off offset:304
	;; [unrolled: 1-line block ×4, first 2 shown]
	global_load_b128 v[66:69], v[80:81], off
	s_clause 0x1
	global_load_b128 v[70:73], v[10:11], off offset:560
	global_load_b128 v[74:77], v[10:11], off offset:544
	s_wait_loadcnt 0xb
	v_pk_fma_f32 v[26:27], v[26:27], v[30:31], v[12:13] op_sel_hi:[1,0,1]
	v_pk_fma_f32 v[28:29], v[28:29], v[30:31], v[14:15] op_sel_hi:[1,0,1]
	global_load_b128 v[12:15], v[10:11], off offset:784
	v_pk_fma_f32 v[26:27], v[22:23], v[30:31], v[26:27] op_sel:[0,1,0]
	v_pk_fma_f32 v[28:29], v[24:25], v[30:31], v[28:29] op_sel:[0,1,0]
	v_lshl_add_u64 v[30:31], v[78:79], 4, s[4:5]
	global_load_b128 v[22:25], v[10:11], off offset:768
	v_pk_fma_f32 v[78:79], v[18:19], v[32:33], v[26:27] op_sel_hi:[1,0,1]
	s_wait_xcnt 0x4
	v_pk_fma_f32 v[80:81], v[20:21], v[32:33], v[28:29] op_sel_hi:[1,0,1]
	global_load_b128 v[18:21], v[30:31], off
	s_wait_xcnt 0x0
	v_mov_b32_e32 v30, v33
	global_load_b128 v[26:29], v[10:11], off offset:800
	s_wait_loadcnt 0xe
	v_pk_fma_f32 v[34:35], v[34:35], v[30:31], v[78:79] op_sel_hi:[1,0,1]
	s_wait_loadcnt 0xb
	s_delay_alu instid0(VALU_DEP_1) | instskip(NEXT) | instid1(VALU_DEP_1)
	v_pk_fma_f32 v[34:35], v[42:43], v[46:47], v[34:35] op_sel_hi:[1,0,1]
	v_pk_fma_f32 v[34:35], v[38:39], v[46:47], v[34:35] op_sel:[0,1,0]
	v_mov_b32_e32 v38, v49
	v_pk_fma_f32 v[36:37], v[36:37], v[30:31], v[80:81] op_sel_hi:[1,0,1]
	global_load_b128 v[30:33], v[10:11], off offset:816
	s_wait_xcnt 0x0
	v_add_nc_u64_e32 v[10:11], 0x400, v[10:11]
	s_wait_loadcnt 0xb
	v_pk_fma_f32 v[34:35], v[50:51], v[48:49], v[34:35] op_sel_hi:[1,0,1]
	v_pk_fma_f32 v[36:37], v[44:45], v[46:47], v[36:37] op_sel_hi:[1,0,1]
	s_wait_loadcnt 0xa
	s_delay_alu instid0(VALU_DEP_2) | instskip(NEXT) | instid1(VALU_DEP_2)
	v_pk_fma_f32 v[34:35], v[54:55], v[38:39], v[34:35] op_sel_hi:[1,0,1]
	v_pk_fma_f32 v[36:37], v[40:41], v[46:47], v[36:37] op_sel:[0,1,0]
	s_wait_loadcnt 0x7
	s_delay_alu instid0(VALU_DEP_2) | instskip(NEXT) | instid1(VALU_DEP_2)
	v_pk_fma_f32 v[34:35], v[62:63], v[66:67], v[34:35] op_sel_hi:[1,0,1]
	v_pk_fma_f32 v[36:37], v[52:53], v[48:49], v[36:37] op_sel_hi:[1,0,1]
	s_delay_alu instid0(VALU_DEP_2) | instskip(NEXT) | instid1(VALU_DEP_2)
	v_pk_fma_f32 v[34:35], v[58:59], v[66:67], v[34:35] op_sel:[0,1,0]
	v_pk_fma_f32 v[36:37], v[56:57], v[38:39], v[36:37] op_sel_hi:[1,0,1]
	v_mov_b32_e32 v38, v69
	s_wait_loadcnt 0x5
	s_delay_alu instid0(VALU_DEP_3) | instskip(NEXT) | instid1(VALU_DEP_3)
	v_pk_fma_f32 v[34:35], v[74:75], v[68:69], v[34:35] op_sel_hi:[1,0,1]
	v_pk_fma_f32 v[36:37], v[64:65], v[66:67], v[36:37] op_sel_hi:[1,0,1]
	s_delay_alu instid0(VALU_DEP_2) | instskip(NEXT) | instid1(VALU_DEP_2)
	v_pk_fma_f32 v[34:35], v[70:71], v[38:39], v[34:35] op_sel_hi:[1,0,1]
	v_pk_fma_f32 v[36:37], v[60:61], v[66:67], v[36:37] op_sel:[0,1,0]
	s_delay_alu instid0(VALU_DEP_1) | instskip(NEXT) | instid1(VALU_DEP_1)
	v_pk_fma_f32 v[36:37], v[76:77], v[68:69], v[36:37] op_sel_hi:[1,0,1]
	v_pk_fma_f32 v[36:37], v[72:73], v[38:39], v[36:37] op_sel_hi:[1,0,1]
	s_wait_loadcnt 0x2
	v_pk_fma_f32 v[22:23], v[22:23], v[18:19], v[34:35] op_sel_hi:[1,0,1]
	s_delay_alu instid0(VALU_DEP_2) | instskip(NEXT) | instid1(VALU_DEP_2)
	v_pk_fma_f32 v[24:25], v[24:25], v[18:19], v[36:37] op_sel_hi:[1,0,1]
	v_pk_fma_f32 v[12:13], v[12:13], v[18:19], v[22:23] op_sel:[0,1,0]
	s_delay_alu instid0(VALU_DEP_2) | instskip(SKIP_2) | instid1(VALU_DEP_3)
	v_pk_fma_f32 v[14:15], v[14:15], v[18:19], v[24:25] op_sel:[0,1,0]
	v_mov_b32_e32 v18, v21
	s_wait_loadcnt 0x1
	v_pk_fma_f32 v[12:13], v[26:27], v[20:21], v[12:13] op_sel_hi:[1,0,1]
	s_delay_alu instid0(VALU_DEP_3) | instskip(SKIP_1) | instid1(VALU_DEP_2)
	v_pk_fma_f32 v[14:15], v[28:29], v[20:21], v[14:15] op_sel_hi:[1,0,1]
	s_wait_loadcnt 0x0
	v_pk_fma_f32 v[12:13], v[30:31], v[18:19], v[12:13] op_sel_hi:[1,0,1]
	s_delay_alu instid0(VALU_DEP_2)
	v_pk_fma_f32 v[14:15], v[32:33], v[18:19], v[14:15] op_sel_hi:[1,0,1]
	s_and_not1_b32 exec_lo, exec_lo, s6
	s_cbranch_execnz .LBB40_35
; %bb.36:
	s_or_b32 exec_lo, exec_lo, s6
.LBB40_37:
	s_delay_alu instid0(SALU_CYCLE_1)
	s_or_b32 exec_lo, exec_lo, s2
.LBB40_38:
	s_delay_alu instid0(SALU_CYCLE_1)
	s_or_b32 exec_lo, exec_lo, s3
.LBB40_39:
	v_mbcnt_lo_u32_b32 v1, -1, 0
	s_mov_b32 s2, -1
	s_delay_alu instid0(VALU_DEP_1) | instskip(SKIP_1) | instid1(VALU_DEP_1)
	v_xor_b32_e32 v8, 1, v1
	v_xor_b32_e32 v4, 2, v1
	v_cmp_gt_i32_e32 vcc_lo, 32, v4
	v_cndmask_b32_e32 v4, v1, v4, vcc_lo
	s_delay_alu instid0(VALU_DEP_4) | instskip(SKIP_2) | instid1(VALU_DEP_2)
	v_cmp_gt_i32_e32 vcc_lo, 32, v8
	v_cndmask_b32_e32 v1, v1, v8, vcc_lo
	v_cmp_eq_u32_e32 vcc_lo, 3, v0
	v_dual_lshlrev_b32 v1, 2, v1 :: v_dual_lshlrev_b32 v7, 2, v4
	ds_bpermute_b32 v4, v7, v12
	ds_bpermute_b32 v5, v7, v13
	;; [unrolled: 1-line block ×4, first 2 shown]
	s_wait_dscnt 0x2
	v_pk_add_f32 v[4:5], v[12:13], v[4:5]
	s_wait_dscnt 0x0
	v_pk_add_f32 v[8:9], v[14:15], v[6:7]
	ds_bpermute_b32 v6, v1, v4
	ds_bpermute_b32 v7, v1, v5
	;; [unrolled: 1-line block ×4, first 2 shown]
	s_and_b32 exec_lo, exec_lo, vcc_lo
	s_cbranch_execz .LBB40_10
; %bb.40:
	s_load_b64 s[0:1], s[0:1], 0x58
	s_wait_dscnt 0x2
	v_pk_add_f32 v[6:7], v[4:5], v[6:7]
	s_wait_dscnt 0x0
	v_pk_add_f32 v[4:5], v[8:9], v[10:11]
	s_cmp_eq_f32 s16, 0
	s_wait_kmcnt 0x0
	v_lshl_add_u64 v[0:1], v[2:3], 4, s[0:1]
	s_cbranch_scc0 .LBB40_42
; %bb.41:
	v_pk_mul_f32 v[8:9], s[12:13], v[6:7] op_sel_hi:[0,1]
	v_pk_mul_f32 v[10:11], s[12:13], v[4:5] op_sel_hi:[0,1]
	s_mov_b32 s2, 0
	global_store_b128 v[0:1], v[8:11], off
.LBB40_42:
	s_and_not1_b32 vcc_lo, exec_lo, s2
	s_cbranch_vccnz .LBB40_10
; %bb.43:
	global_load_b128 v[8:11], v[0:1], off
	v_pk_mul_f32 v[2:3], s[12:13], v[6:7] op_sel_hi:[0,1]
	v_pk_mul_f32 v[4:5], s[12:13], v[4:5] op_sel_hi:[0,1]
	s_wait_loadcnt 0x0
	s_delay_alu instid0(VALU_DEP_2) | instskip(NEXT) | instid1(VALU_DEP_2)
	v_pk_fma_f32 v[2:3], s[16:17], v[8:9], v[2:3] op_sel_hi:[0,1,1]
	v_pk_fma_f32 v[4:5], s[16:17], v[10:11], v[4:5] op_sel_hi:[0,1,1]
	global_store_b128 v[0:1], v[2:5], off
	s_sendmsg sendmsg(MSG_DEALLOC_VGPRS)
	s_endpgm
	.section	.rodata,"a",@progbits
	.p2align	6, 0x0
	.amdhsa_kernel _ZN9rocsparseL18bsrxmvn_4x4_kernelILj128ELj4EfllfffEEvT3_20rocsparse_direction_NS_24const_host_device_scalarIT1_EES1_PKS1_PKT2_SA_S7_PKT4_PKT5_S5_PT6_21rocsparse_index_base_b
		.amdhsa_group_segment_fixed_size 0
		.amdhsa_private_segment_fixed_size 0
		.amdhsa_kernarg_size 104
		.amdhsa_user_sgpr_count 2
		.amdhsa_user_sgpr_dispatch_ptr 0
		.amdhsa_user_sgpr_queue_ptr 0
		.amdhsa_user_sgpr_kernarg_segment_ptr 1
		.amdhsa_user_sgpr_dispatch_id 0
		.amdhsa_user_sgpr_kernarg_preload_length 0
		.amdhsa_user_sgpr_kernarg_preload_offset 0
		.amdhsa_user_sgpr_private_segment_size 0
		.amdhsa_wavefront_size32 1
		.amdhsa_uses_dynamic_stack 0
		.amdhsa_enable_private_segment 0
		.amdhsa_system_sgpr_workgroup_id_x 1
		.amdhsa_system_sgpr_workgroup_id_y 0
		.amdhsa_system_sgpr_workgroup_id_z 0
		.amdhsa_system_sgpr_workgroup_info 0
		.amdhsa_system_vgpr_workitem_id 0
		.amdhsa_next_free_vgpr 106
		.amdhsa_next_free_sgpr 18
		.amdhsa_named_barrier_count 0
		.amdhsa_reserve_vcc 1
		.amdhsa_float_round_mode_32 0
		.amdhsa_float_round_mode_16_64 0
		.amdhsa_float_denorm_mode_32 3
		.amdhsa_float_denorm_mode_16_64 3
		.amdhsa_fp16_overflow 0
		.amdhsa_memory_ordered 1
		.amdhsa_forward_progress 1
		.amdhsa_inst_pref_size 29
		.amdhsa_round_robin_scheduling 0
		.amdhsa_exception_fp_ieee_invalid_op 0
		.amdhsa_exception_fp_denorm_src 0
		.amdhsa_exception_fp_ieee_div_zero 0
		.amdhsa_exception_fp_ieee_overflow 0
		.amdhsa_exception_fp_ieee_underflow 0
		.amdhsa_exception_fp_ieee_inexact 0
		.amdhsa_exception_int_div_zero 0
	.end_amdhsa_kernel
	.section	.text._ZN9rocsparseL18bsrxmvn_4x4_kernelILj128ELj4EfllfffEEvT3_20rocsparse_direction_NS_24const_host_device_scalarIT1_EES1_PKS1_PKT2_SA_S7_PKT4_PKT5_S5_PT6_21rocsparse_index_base_b,"axG",@progbits,_ZN9rocsparseL18bsrxmvn_4x4_kernelILj128ELj4EfllfffEEvT3_20rocsparse_direction_NS_24const_host_device_scalarIT1_EES1_PKS1_PKT2_SA_S7_PKT4_PKT5_S5_PT6_21rocsparse_index_base_b,comdat
.Lfunc_end40:
	.size	_ZN9rocsparseL18bsrxmvn_4x4_kernelILj128ELj4EfllfffEEvT3_20rocsparse_direction_NS_24const_host_device_scalarIT1_EES1_PKS1_PKT2_SA_S7_PKT4_PKT5_S5_PT6_21rocsparse_index_base_b, .Lfunc_end40-_ZN9rocsparseL18bsrxmvn_4x4_kernelILj128ELj4EfllfffEEvT3_20rocsparse_direction_NS_24const_host_device_scalarIT1_EES1_PKS1_PKT2_SA_S7_PKT4_PKT5_S5_PT6_21rocsparse_index_base_b
                                        ; -- End function
	.set _ZN9rocsparseL18bsrxmvn_4x4_kernelILj128ELj4EfllfffEEvT3_20rocsparse_direction_NS_24const_host_device_scalarIT1_EES1_PKS1_PKT2_SA_S7_PKT4_PKT5_S5_PT6_21rocsparse_index_base_b.num_vgpr, 106
	.set _ZN9rocsparseL18bsrxmvn_4x4_kernelILj128ELj4EfllfffEEvT3_20rocsparse_direction_NS_24const_host_device_scalarIT1_EES1_PKS1_PKT2_SA_S7_PKT4_PKT5_S5_PT6_21rocsparse_index_base_b.num_agpr, 0
	.set _ZN9rocsparseL18bsrxmvn_4x4_kernelILj128ELj4EfllfffEEvT3_20rocsparse_direction_NS_24const_host_device_scalarIT1_EES1_PKS1_PKT2_SA_S7_PKT4_PKT5_S5_PT6_21rocsparse_index_base_b.numbered_sgpr, 18
	.set _ZN9rocsparseL18bsrxmvn_4x4_kernelILj128ELj4EfllfffEEvT3_20rocsparse_direction_NS_24const_host_device_scalarIT1_EES1_PKS1_PKT2_SA_S7_PKT4_PKT5_S5_PT6_21rocsparse_index_base_b.num_named_barrier, 0
	.set _ZN9rocsparseL18bsrxmvn_4x4_kernelILj128ELj4EfllfffEEvT3_20rocsparse_direction_NS_24const_host_device_scalarIT1_EES1_PKS1_PKT2_SA_S7_PKT4_PKT5_S5_PT6_21rocsparse_index_base_b.private_seg_size, 0
	.set _ZN9rocsparseL18bsrxmvn_4x4_kernelILj128ELj4EfllfffEEvT3_20rocsparse_direction_NS_24const_host_device_scalarIT1_EES1_PKS1_PKT2_SA_S7_PKT4_PKT5_S5_PT6_21rocsparse_index_base_b.uses_vcc, 1
	.set _ZN9rocsparseL18bsrxmvn_4x4_kernelILj128ELj4EfllfffEEvT3_20rocsparse_direction_NS_24const_host_device_scalarIT1_EES1_PKS1_PKT2_SA_S7_PKT4_PKT5_S5_PT6_21rocsparse_index_base_b.uses_flat_scratch, 0
	.set _ZN9rocsparseL18bsrxmvn_4x4_kernelILj128ELj4EfllfffEEvT3_20rocsparse_direction_NS_24const_host_device_scalarIT1_EES1_PKS1_PKT2_SA_S7_PKT4_PKT5_S5_PT6_21rocsparse_index_base_b.has_dyn_sized_stack, 0
	.set _ZN9rocsparseL18bsrxmvn_4x4_kernelILj128ELj4EfllfffEEvT3_20rocsparse_direction_NS_24const_host_device_scalarIT1_EES1_PKS1_PKT2_SA_S7_PKT4_PKT5_S5_PT6_21rocsparse_index_base_b.has_recursion, 0
	.set _ZN9rocsparseL18bsrxmvn_4x4_kernelILj128ELj4EfllfffEEvT3_20rocsparse_direction_NS_24const_host_device_scalarIT1_EES1_PKS1_PKT2_SA_S7_PKT4_PKT5_S5_PT6_21rocsparse_index_base_b.has_indirect_call, 0
	.section	.AMDGPU.csdata,"",@progbits
; Kernel info:
; codeLenInByte = 3672
; TotalNumSgprs: 20
; NumVgprs: 106
; ScratchSize: 0
; MemoryBound: 1
; FloatMode: 240
; IeeeMode: 1
; LDSByteSize: 0 bytes/workgroup (compile time only)
; SGPRBlocks: 0
; VGPRBlocks: 6
; NumSGPRsForWavesPerEU: 20
; NumVGPRsForWavesPerEU: 106
; NamedBarCnt: 0
; Occupancy: 9
; WaveLimiterHint : 1
; COMPUTE_PGM_RSRC2:SCRATCH_EN: 0
; COMPUTE_PGM_RSRC2:USER_SGPR: 2
; COMPUTE_PGM_RSRC2:TRAP_HANDLER: 0
; COMPUTE_PGM_RSRC2:TGID_X_EN: 1
; COMPUTE_PGM_RSRC2:TGID_Y_EN: 0
; COMPUTE_PGM_RSRC2:TGID_Z_EN: 0
; COMPUTE_PGM_RSRC2:TIDIG_COMP_CNT: 0
	.section	.text._ZN9rocsparseL18bsrxmvn_4x4_kernelILj128ELj8EfllfffEEvT3_20rocsparse_direction_NS_24const_host_device_scalarIT1_EES1_PKS1_PKT2_SA_S7_PKT4_PKT5_S5_PT6_21rocsparse_index_base_b,"axG",@progbits,_ZN9rocsparseL18bsrxmvn_4x4_kernelILj128ELj8EfllfffEEvT3_20rocsparse_direction_NS_24const_host_device_scalarIT1_EES1_PKS1_PKT2_SA_S7_PKT4_PKT5_S5_PT6_21rocsparse_index_base_b,comdat
	.globl	_ZN9rocsparseL18bsrxmvn_4x4_kernelILj128ELj8EfllfffEEvT3_20rocsparse_direction_NS_24const_host_device_scalarIT1_EES1_PKS1_PKT2_SA_S7_PKT4_PKT5_S5_PT6_21rocsparse_index_base_b ; -- Begin function _ZN9rocsparseL18bsrxmvn_4x4_kernelILj128ELj8EfllfffEEvT3_20rocsparse_direction_NS_24const_host_device_scalarIT1_EES1_PKS1_PKT2_SA_S7_PKT4_PKT5_S5_PT6_21rocsparse_index_base_b
	.p2align	8
	.type	_ZN9rocsparseL18bsrxmvn_4x4_kernelILj128ELj8EfllfffEEvT3_20rocsparse_direction_NS_24const_host_device_scalarIT1_EES1_PKS1_PKT2_SA_S7_PKT4_PKT5_S5_PT6_21rocsparse_index_base_b,@function
_ZN9rocsparseL18bsrxmvn_4x4_kernelILj128ELj8EfllfffEEvT3_20rocsparse_direction_NS_24const_host_device_scalarIT1_EES1_PKS1_PKT2_SA_S7_PKT4_PKT5_S5_PT6_21rocsparse_index_base_b: ; @_ZN9rocsparseL18bsrxmvn_4x4_kernelILj128ELj8EfllfffEEvT3_20rocsparse_direction_NS_24const_host_device_scalarIT1_EES1_PKS1_PKT2_SA_S7_PKT4_PKT5_S5_PT6_21rocsparse_index_base_b
; %bb.0:
	s_clause 0x2
	s_load_b64 s[2:3], s[0:1], 0x60
	s_load_b128 s[12:15], s[0:1], 0x10
	s_load_b64 s[16:17], s[0:1], 0x50
	s_wait_kmcnt 0x0
	s_bitcmp1_b32 s3, 0
	s_cselect_b32 s3, -1, 0
	s_delay_alu instid0(SALU_CYCLE_1)
	s_and_b32 vcc_lo, exec_lo, s3
	s_xor_b32 s3, s3, -1
	s_cbranch_vccnz .LBB41_2
; %bb.1:
	s_load_b32 s12, s[12:13], 0x0
.LBB41_2:
	s_and_not1_b32 vcc_lo, exec_lo, s3
	s_cbranch_vccnz .LBB41_4
; %bb.3:
	s_load_b32 s16, s[16:17], 0x0
.LBB41_4:
	s_wait_kmcnt 0x0
	s_cmp_neq_f32 s12, 0
	s_mov_b32 s6, 0
	s_cselect_b32 s3, -1, 0
	s_cmp_neq_f32 s16, 1.0
	s_cselect_b32 s4, -1, 0
	s_delay_alu instid0(SALU_CYCLE_1) | instskip(NEXT) | instid1(SALU_CYCLE_1)
	s_or_b32 s3, s3, s4
	s_and_not1_b32 vcc_lo, exec_lo, s3
	s_cbranch_vccnz .LBB41_10
; %bb.5:
	s_load_b64 s[4:5], s[0:1], 0x20
	s_bfe_u32 s3, ttmp6, 0x4000c
	s_and_b32 s7, ttmp6, 15
	s_add_co_i32 s3, s3, 1
	s_getreg_b32 s8, hwreg(HW_REG_IB_STS2, 6, 4)
	s_mul_i32 s3, ttmp9, s3
	v_dual_lshrrev_b32 v1, 3, v0 :: v_dual_mov_b32 v7, 0
	s_add_co_i32 s7, s7, s3
	s_cmp_eq_u32 s8, 0
	s_cselect_b32 s3, ttmp9, s7
	s_delay_alu instid0(VALU_DEP_1) | instid1(SALU_CYCLE_1)
	v_lshl_or_b32 v6, s3, 4, v1
	s_wait_kmcnt 0x0
	s_cmp_lg_u64 s[4:5], 0
	s_cbranch_scc0 .LBB41_11
; %bb.6:
	s_mov_b32 s7, 0
                                        ; implicit-def: $vgpr2_vgpr3
                                        ; implicit-def: $vgpr4_vgpr5
	s_mov_b32 s3, exec_lo
	v_cmpx_gt_i64_e64 s[14:15], v[6:7]
	s_xor_b32 s8, exec_lo, s3
	s_cbranch_execz .LBB41_8
; %bb.7:
	v_lshl_add_u64 v[2:3], v[6:7], 3, s[4:5]
	s_mov_b32 s3, 0
	s_mov_b32 s6, exec_lo
	v_mov_b64_e32 v[4:5], s[2:3]
	global_load_b64 v[2:3], v[2:3], off
	s_wait_loadcnt 0x0
	v_sub_nc_u64_e64 v[2:3], v[2:3], s[2:3]
.LBB41_8:
	s_or_b32 exec_lo, exec_lo, s8
	s_delay_alu instid0(SALU_CYCLE_1)
	s_and_b32 vcc_lo, exec_lo, s7
	s_cbranch_vccnz .LBB41_12
.LBB41_9:
	s_and_saveexec_b32 s2, s6
	s_cbranch_execnz .LBB41_15
.LBB41_10:
	s_sendmsg sendmsg(MSG_DEALLOC_VGPRS)
	s_endpgm
.LBB41_11:
                                        ; implicit-def: $vgpr2_vgpr3
                                        ; implicit-def: $vgpr4_vgpr5
	s_cbranch_execz .LBB41_9
.LBB41_12:
	s_load_b64 s[4:5], s[0:1], 0x0
	s_wait_kmcnt 0x0
	v_cmp_gt_i64_e32 vcc_lo, s[4:5], v[6:7]
	s_and_saveexec_b32 s4, vcc_lo
; %bb.13:
	s_mov_b32 s3, 0
	s_or_b32 s6, s6, exec_lo
; %bb.14:
	s_or_b32 exec_lo, exec_lo, s4
	v_mov_b64_e32 v[4:5], s[2:3]
	v_mov_b64_e32 v[2:3], v[6:7]
	s_and_saveexec_b32 s2, s6
	s_cbranch_execz .LBB41_10
.LBB41_15:
	s_load_b256 s[4:11], s[0:1], 0x28
	s_delay_alu instid0(VALU_DEP_1) | instskip(SKIP_3) | instid1(VALU_DEP_2)
	v_lshlrev_b64_e32 v[6:7], 3, v[2:3]
	v_dual_mov_b32 v1, 0 :: v_dual_bitop2_b32 v0, 7, v0 bitop3:0x40
	s_load_b32 s3, s[0:1], 0x8
	s_wait_kmcnt 0x0
	v_add_nc_u64_e32 v[8:9], s[4:5], v[6:7]
	v_add_nc_u64_e32 v[6:7], s[6:7], v[6:7]
	s_cmp_eq_u64 s[6:7], 0
	s_load_b64 s[4:5], s[0:1], 0x48
	s_cselect_b32 vcc_lo, -1, 0
	s_cmp_eq_u32 s3, 1
	global_load_b64 v[16:17], v[8:9], off
	s_wait_xcnt 0x0
	v_add_nc_u64_e32 v[8:9], 8, v[8:9]
	s_delay_alu instid0(VALU_DEP_1) | instskip(SKIP_4) | instid1(VALU_DEP_1)
	v_dual_cndmask_b32 v7, v7, v9 :: v_dual_cndmask_b32 v6, v6, v8
	global_load_b64 v[8:9], v[6:7], off
	s_wait_loadcnt 0x1
	s_wait_xcnt 0x0
	v_sub_nc_u64_e32 v[6:7], v[16:17], v[4:5]
	v_add_nc_u64_e32 v[6:7], v[6:7], v[0:1]
	s_wait_loadcnt 0x0
	v_sub_nc_u64_e32 v[8:9], v[8:9], v[4:5]
	s_delay_alu instid0(VALU_DEP_2) | instskip(NEXT) | instid1(VALU_DEP_2)
	v_lshlrev_b64_e32 v[10:11], 6, v[6:7]
	v_cmp_lt_i64_e64 s2, v[6:7], v[8:9]
	s_delay_alu instid0(VALU_DEP_2)
	v_add_nc_u64_e32 v[10:11], s[10:11], v[10:11]
	s_cbranch_scc1 .LBB41_27
; %bb.16:
	v_dual_mov_b32 v13, v1 :: v_dual_mov_b32 v12, v1
	v_dual_mov_b32 v15, v1 :: v_dual_mov_b32 v14, v1
	s_and_saveexec_b32 s3, s2
	s_cbranch_execz .LBB41_26
; %bb.17:
	v_dual_mov_b32 v13, v1 :: v_dual_bitop2_b32 v12, 8, v0 bitop3:0x54
	v_sub_nc_u64_e32 v[14:15], v[4:5], v[0:1]
	v_not_b32_e32 v19, v17
	v_not_b32_e32 v18, v16
	v_mov_b64_e32 v[20:21], v[10:11]
	v_sub_nc_u64_e32 v[12:13], v[12:13], v[4:5]
	s_delay_alu instid0(VALU_DEP_3) | instskip(SKIP_1) | instid1(VALU_DEP_3)
	v_add_nc_u64_e32 v[14:15], v[14:15], v[18:19]
	v_mov_b64_e32 v[18:19], v[6:7]
	v_add_nc_u64_e32 v[12:13], v[12:13], v[16:17]
	s_delay_alu instid0(VALU_DEP_1) | instskip(NEXT) | instid1(VALU_DEP_1)
	v_max_i64 v[12:13], v[12:13], v[8:9]
	v_add_nc_u64_e32 v[22:23], v[14:15], v[12:13]
	s_delay_alu instid0(VALU_DEP_1) | instskip(NEXT) | instid1(VALU_DEP_1)
	v_dual_mov_b32 v15, 0 :: v_dual_bitop2_b32 v14, 24, v22 bitop3:0x40
	v_dual_mov_b32 v12, v15 :: v_dual_mov_b32 v13, v15
	s_delay_alu instid0(VALU_DEP_2)
	v_cmp_ne_u64_e32 vcc_lo, 24, v[14:15]
	v_mov_b32_e32 v14, v15
	s_and_saveexec_b32 s6, vcc_lo
	s_cbranch_execz .LBB41_21
; %bb.18:
	v_dual_mov_b32 v13, 0 :: v_dual_lshrrev_b32 v12, 3, v22
	v_mov_b64_e32 v[20:21], v[10:11]
	v_mov_b64_e32 v[18:19], v[6:7]
	v_lshl_add_u64 v[24:25], v[6:7], 3, s[8:9]
	s_delay_alu instid0(VALU_DEP_4) | instskip(SKIP_1) | instid1(VALU_DEP_1)
	v_dual_mov_b32 v15, v13 :: v_dual_add_nc_u32 v12, 1, v12
	s_mov_b32 s7, 0
	v_dual_mov_b32 v14, v13 :: v_dual_bitop2_b32 v12, 3, v12 bitop3:0x40
	s_delay_alu instid0(VALU_DEP_1)
	v_sub_nc_u64_e32 v[26:27], 0, v[12:13]
	v_mov_b32_e32 v12, v13
.LBB41_19:                              ; =>This Inner Loop Header: Depth=1
	global_load_b64 v[28:29], v[24:25], off
	v_add_nc_u64_e32 v[26:27], 1, v[26:27]
	v_add_nc_u64_e32 v[18:19], 8, v[18:19]
	s_wait_xcnt 0x0
	v_add_nc_u64_e32 v[24:25], 64, v[24:25]
	s_delay_alu instid0(VALU_DEP_3)
	v_cmp_eq_u64_e32 vcc_lo, 0, v[26:27]
	s_or_b32 s7, vcc_lo, s7
	s_wait_loadcnt 0x0
	v_sub_nc_u64_e32 v[44:45], v[28:29], v[4:5]
	s_clause 0x3
	global_load_b128 v[28:31], v[20:21], off offset:16
	global_load_b128 v[32:35], v[20:21], off
	global_load_b128 v[36:39], v[20:21], off offset:48
	global_load_b128 v[40:43], v[20:21], off offset:32
	s_wait_xcnt 0x0
	v_add_nc_u64_e32 v[20:21], 0x200, v[20:21]
	s_wait_kmcnt 0x0
	v_lshl_add_u64 v[44:45], v[44:45], 4, s[4:5]
	global_load_b128 v[44:47], v[44:45], off
	s_wait_loadcnt 0x3
	v_dual_mov_b32 v49, v28 :: v_dual_mov_b32 v48, v32
	s_wait_loadcnt 0x1
	v_dual_mov_b32 v51, v36 :: v_dual_mov_b32 v50, v40
	v_dual_mov_b32 v28, v33 :: v_dual_mov_b32 v32, v34
	v_dual_mov_b32 v36, v41 :: v_dual_mov_b32 v33, v30
	v_dual_mov_b32 v40, v42 :: v_dual_mov_b32 v41, v38
	v_dual_mov_b32 v30, v35 :: v_dual_mov_b32 v38, v43
	s_wait_loadcnt 0x0
	v_pk_fma_f32 v[14:15], v[48:49], v[44:45], v[14:15] op_sel_hi:[1,0,1]
	v_pk_fma_f32 v[12:13], v[50:51], v[44:45], v[12:13] op_sel_hi:[1,0,1]
	s_delay_alu instid0(VALU_DEP_2) | instskip(NEXT) | instid1(VALU_DEP_2)
	v_pk_fma_f32 v[14:15], v[28:29], v[44:45], v[14:15] op_sel:[0,1,0]
	v_pk_fma_f32 v[12:13], v[36:37], v[44:45], v[12:13] op_sel:[0,1,0]
	v_mov_b32_e32 v28, v47
	s_delay_alu instid0(VALU_DEP_3) | instskip(NEXT) | instid1(VALU_DEP_3)
	v_pk_fma_f32 v[14:15], v[32:33], v[46:47], v[14:15] op_sel_hi:[1,0,1]
	v_pk_fma_f32 v[12:13], v[40:41], v[46:47], v[12:13] op_sel_hi:[1,0,1]
	s_delay_alu instid0(VALU_DEP_2) | instskip(NEXT) | instid1(VALU_DEP_2)
	v_pk_fma_f32 v[14:15], v[30:31], v[28:29], v[14:15] op_sel_hi:[1,0,1]
	v_pk_fma_f32 v[12:13], v[38:39], v[28:29], v[12:13] op_sel_hi:[1,0,1]
	s_and_not1_b32 exec_lo, exec_lo, s7
	s_cbranch_execnz .LBB41_19
; %bb.20:
	s_or_b32 exec_lo, exec_lo, s7
.LBB41_21:
	s_delay_alu instid0(SALU_CYCLE_1) | instskip(NEXT) | instid1(SALU_CYCLE_1)
	s_or_b32 exec_lo, exec_lo, s6
	s_mov_b32 s6, exec_lo
	v_cmpx_lt_u64_e32 23, v[22:23]
	s_cbranch_execz .LBB41_25
; %bb.22:
	v_lshl_add_u64 v[22:23], v[18:19], 3, s[8:9]
	s_mov_b32 s7, 0
	s_delay_alu instid0(VALU_DEP_1)
	v_add_nc_u64_e32 v[22:23], 0x80, v[22:23]
.LBB41_23:                              ; =>This Inner Loop Header: Depth=1
	s_clause 0x2
	global_load_b64 v[40:41], v[22:23], off offset:-128
	global_load_b64 v[48:49], v[22:23], off offset:-64
	global_load_b64 v[68:69], v[22:23], off
	s_clause 0x3
	global_load_b128 v[24:27], v[20:21], off
	global_load_b128 v[28:31], v[20:21], off offset:16
	global_load_b128 v[32:35], v[20:21], off offset:32
	;; [unrolled: 1-line block ×3, first 2 shown]
	global_load_b64 v[96:97], v[22:23], off offset:64
	v_add_nc_u64_e32 v[18:19], 32, v[18:19]
	s_wait_xcnt 0x0
	v_add_nc_u64_e32 v[22:23], 0x100, v[22:23]
	s_delay_alu instid0(VALU_DEP_2)
	v_cmp_ge_i64_e32 vcc_lo, v[18:19], v[8:9]
	s_or_b32 s7, vcc_lo, s7
	s_wait_loadcnt 0x7
	v_sub_nc_u64_e32 v[40:41], v[40:41], v[4:5]
	s_wait_loadcnt 0x6
	v_sub_nc_u64_e32 v[60:61], v[48:49], v[4:5]
	;; [unrolled: 2-line block ×3, first 2 shown]
	s_wait_loadcnt 0x3
	v_dual_mov_b32 v98, v24 :: v_dual_mov_b32 v99, v28
	v_dual_mov_b32 v28, v25 :: v_dual_mov_b32 v100, v26
	s_wait_kmcnt 0x0
	v_lshl_add_u64 v[50:51], v[40:41], 4, s[4:5]
	v_lshl_add_u64 v[70:71], v[60:61], 4, s[4:5]
	v_lshl_add_u64 v[92:93], v[84:85], 4, s[4:5]
	s_wait_loadcnt 0x0
	v_sub_nc_u64_e32 v[96:97], v[96:97], v[4:5]
	v_dual_mov_b32 v101, v30 :: v_dual_mov_b32 v30, v27
	global_load_b128 v[40:43], v[50:51], off
	s_clause 0x3
	global_load_b128 v[44:47], v[20:21], off offset:512
	global_load_b128 v[48:51], v[20:21], off offset:528
	global_load_b128 v[52:55], v[20:21], off offset:544
	global_load_b128 v[56:59], v[20:21], off offset:560
	global_load_b128 v[60:63], v[70:71], off
	s_clause 0x6
	global_load_b128 v[64:67], v[20:21], off offset:1024
	global_load_b128 v[68:71], v[20:21], off offset:1040
	;; [unrolled: 1-line block ×7, first 2 shown]
	global_load_b128 v[92:95], v[92:93], off
	v_dual_mov_b32 v102, v32 :: v_dual_mov_b32 v103, v36
	v_dual_mov_b32 v36, v33 :: v_dual_mov_b32 v104, v34
	global_load_b128 v[24:27], v[20:21], off offset:1584
	v_lshl_add_u64 v[32:33], v[96:97], 4, s[4:5]
	v_dual_mov_b32 v105, v38 :: v_dual_mov_b32 v38, v35
	s_wait_xcnt 0x0
	v_add_nc_u64_e32 v[20:21], 0x800, v[20:21]
	global_load_b128 v[32:35], v[32:33], off
	s_wait_loadcnt 0xf
	v_pk_fma_f32 v[14:15], v[98:99], v[40:41], v[14:15] op_sel_hi:[1,0,1]
	v_pk_fma_f32 v[12:13], v[102:103], v[40:41], v[12:13] op_sel_hi:[1,0,1]
	s_wait_loadcnt 0xd
	v_dual_mov_b32 v96, v44 :: v_dual_mov_b32 v97, v48
	v_mov_b32_e32 v48, v45
	v_pk_fma_f32 v[14:15], v[28:29], v[40:41], v[14:15] op_sel:[0,1,0]
	v_pk_fma_f32 v[12:13], v[36:37], v[40:41], v[12:13] op_sel:[0,1,0]
	v_dual_mov_b32 v28, v43 :: v_dual_mov_b32 v36, v46
	s_wait_loadcnt 0xc
	v_mov_b32_e32 v40, v52
	v_pk_fma_f32 v[14:15], v[100:101], v[42:43], v[14:15] op_sel_hi:[1,0,1]
	v_pk_fma_f32 v[12:13], v[104:105], v[42:43], v[12:13] op_sel_hi:[1,0,1]
	s_wait_loadcnt 0xb
	v_dual_mov_b32 v41, v56 :: v_dual_mov_b32 v37, v50
	v_dual_mov_b32 v50, v47 :: v_dual_mov_b32 v56, v53
	v_pk_fma_f32 v[14:15], v[30:31], v[28:29], v[14:15] op_sel_hi:[1,0,1]
	v_pk_fma_f32 v[12:13], v[38:39], v[28:29], v[12:13] op_sel_hi:[1,0,1]
	v_dual_mov_b32 v28, v54 :: v_dual_mov_b32 v29, v58
	s_wait_loadcnt 0x9
	v_dual_mov_b32 v58, v55 :: v_dual_mov_b32 v30, v64
	v_pk_fma_f32 v[14:15], v[96:97], v[60:61], v[14:15] op_sel_hi:[1,0,1]
	v_pk_fma_f32 v[12:13], v[40:41], v[60:61], v[12:13] op_sel_hi:[1,0,1]
	s_wait_loadcnt 0x8
	v_dual_mov_b32 v31, v68 :: v_dual_mov_b32 v38, v63
	v_mov_b32_e32 v68, v65
	v_pk_fma_f32 v[14:15], v[48:49], v[60:61], v[14:15] op_sel:[0,1,0]
	v_pk_fma_f32 v[12:13], v[56:57], v[60:61], v[12:13] op_sel:[0,1,0]
	s_delay_alu instid0(VALU_DEP_2) | instskip(NEXT) | instid1(VALU_DEP_2)
	v_pk_fma_f32 v[14:15], v[36:37], v[62:63], v[14:15] op_sel_hi:[1,0,1]
	v_pk_fma_f32 v[12:13], v[28:29], v[62:63], v[12:13] op_sel_hi:[1,0,1]
	s_wait_loadcnt 0x6
	v_dual_mov_b32 v28, v76 :: v_dual_mov_b32 v29, v72
	v_mov_b32_e32 v36, v66
	v_pk_fma_f32 v[14:15], v[50:51], v[38:39], v[14:15] op_sel_hi:[1,0,1]
	v_pk_fma_f32 v[12:13], v[58:59], v[38:39], v[12:13] op_sel_hi:[1,0,1]
	v_dual_mov_b32 v37, v70 :: v_dual_mov_b32 v72, v77
	v_mov_b32_e32 v70, v67
	s_wait_loadcnt 0x2
	v_pk_fma_f32 v[14:15], v[30:31], v[92:93], v[14:15] op_sel_hi:[1,0,1]
	v_pk_fma_f32 v[12:13], v[28:29], v[92:93], v[12:13] op_sel_hi:[1,0,1]
	v_dual_mov_b32 v28, v78 :: v_dual_mov_b32 v29, v74
	v_dual_mov_b32 v74, v79 :: v_dual_mov_b32 v38, v95
	s_delay_alu instid0(VALU_DEP_4) | instskip(NEXT) | instid1(VALU_DEP_4)
	v_pk_fma_f32 v[14:15], v[68:69], v[92:93], v[14:15] op_sel:[0,1,0]
	v_pk_fma_f32 v[12:13], v[72:73], v[92:93], v[12:13] op_sel:[0,1,0]
	v_dual_mov_b32 v30, v84 :: v_dual_mov_b32 v31, v80
	v_mov_b32_e32 v80, v85
	s_delay_alu instid0(VALU_DEP_4) | instskip(NEXT) | instid1(VALU_DEP_4)
	v_pk_fma_f32 v[14:15], v[36:37], v[94:95], v[14:15] op_sel_hi:[1,0,1]
	v_pk_fma_f32 v[12:13], v[28:29], v[94:95], v[12:13] op_sel_hi:[1,0,1]
	s_wait_loadcnt 0x1
	v_dual_mov_b32 v28, v88 :: v_dual_mov_b32 v29, v24
	v_dual_mov_b32 v36, v86 :: v_dual_mov_b32 v24, v89
	v_pk_fma_f32 v[14:15], v[70:71], v[38:39], v[14:15] op_sel_hi:[1,0,1]
	v_pk_fma_f32 v[12:13], v[74:75], v[38:39], v[12:13] op_sel_hi:[1,0,1]
	v_dual_mov_b32 v37, v82 :: v_dual_mov_b32 v82, v87
	s_wait_loadcnt 0x0
	s_delay_alu instid0(VALU_DEP_3) | instskip(NEXT) | instid1(VALU_DEP_3)
	v_pk_fma_f32 v[14:15], v[30:31], v[32:33], v[14:15] op_sel_hi:[1,0,1]
	v_pk_fma_f32 v[12:13], v[28:29], v[32:33], v[12:13] op_sel_hi:[1,0,1]
	v_dual_mov_b32 v28, v90 :: v_dual_mov_b32 v29, v26
	v_mov_b32_e32 v26, v91
	s_delay_alu instid0(VALU_DEP_4) | instskip(NEXT) | instid1(VALU_DEP_4)
	v_pk_fma_f32 v[14:15], v[80:81], v[32:33], v[14:15] op_sel:[0,1,0]
	v_pk_fma_f32 v[12:13], v[24:25], v[32:33], v[12:13] op_sel:[0,1,0]
	v_mov_b32_e32 v24, v35
	s_delay_alu instid0(VALU_DEP_3) | instskip(NEXT) | instid1(VALU_DEP_3)
	v_pk_fma_f32 v[14:15], v[36:37], v[34:35], v[14:15] op_sel_hi:[1,0,1]
	v_pk_fma_f32 v[12:13], v[28:29], v[34:35], v[12:13] op_sel_hi:[1,0,1]
	s_delay_alu instid0(VALU_DEP_2) | instskip(NEXT) | instid1(VALU_DEP_2)
	v_pk_fma_f32 v[14:15], v[82:83], v[24:25], v[14:15] op_sel_hi:[1,0,1]
	v_pk_fma_f32 v[12:13], v[26:27], v[24:25], v[12:13] op_sel_hi:[1,0,1]
	s_and_not1_b32 exec_lo, exec_lo, s7
	s_cbranch_execnz .LBB41_23
; %bb.24:
	s_or_b32 exec_lo, exec_lo, s7
.LBB41_25:
	s_delay_alu instid0(SALU_CYCLE_1)
	s_or_b32 exec_lo, exec_lo, s6
.LBB41_26:
	s_delay_alu instid0(SALU_CYCLE_1)
	s_or_b32 exec_lo, exec_lo, s3
	s_cbranch_execz .LBB41_28
	s_branch .LBB41_39
.LBB41_27:
                                        ; implicit-def: $vgpr13
                                        ; implicit-def: $vgpr15
.LBB41_28:
	v_dual_mov_b32 v13, 0 :: v_dual_mov_b32 v12, 0
	v_dual_mov_b32 v15, 0 :: v_dual_mov_b32 v14, 0
	s_and_saveexec_b32 s3, s2
	s_cbranch_execz .LBB41_38
; %bb.29:
	v_dual_mov_b32 v13, v1 :: v_dual_bitop2_b32 v12, 8, v0 bitop3:0x54
	v_sub_nc_u64_e32 v[14:15], v[4:5], v[0:1]
	s_delay_alu instid0(VALU_DEP_2) | instskip(NEXT) | instid1(VALU_DEP_1)
	v_sub_nc_u64_e32 v[12:13], v[12:13], v[4:5]
	v_add_nc_u64_e32 v[12:13], v[12:13], v[16:17]
	v_not_b32_e32 v17, v17
	v_not_b32_e32 v16, v16
	s_delay_alu instid0(VALU_DEP_1) | instskip(NEXT) | instid1(VALU_DEP_4)
	v_add_nc_u64_e32 v[14:15], v[14:15], v[16:17]
	v_max_i64 v[12:13], v[12:13], v[8:9]
	s_delay_alu instid0(VALU_DEP_1) | instskip(NEXT) | instid1(VALU_DEP_1)
	v_add_nc_u64_e32 v[16:17], v[14:15], v[12:13]
	v_dual_mov_b32 v15, 0 :: v_dual_bitop2_b32 v14, 24, v16 bitop3:0x40
	s_delay_alu instid0(VALU_DEP_1) | instskip(NEXT) | instid1(VALU_DEP_2)
	v_dual_mov_b32 v13, v15 :: v_dual_mov_b32 v12, v15
	v_cmp_ne_u64_e32 vcc_lo, 24, v[14:15]
	v_mov_b32_e32 v14, v15
	s_and_saveexec_b32 s2, vcc_lo
	s_cbranch_execz .LBB41_33
; %bb.30:
	v_dual_lshrrev_b32 v1, 3, v16 :: v_dual_mov_b32 v13, 0
	v_lshl_add_u64 v[18:19], v[6:7], 3, s[8:9]
	s_mov_b32 s6, 0
	s_delay_alu instid0(VALU_DEP_2) | instskip(NEXT) | instid1(VALU_DEP_1)
	v_dual_mov_b32 v14, v13 :: v_dual_add_nc_u32 v1, 1, v1
	v_dual_mov_b32 v15, v13 :: v_dual_bitop2_b32 v12, 3, v1 bitop3:0x40
	s_delay_alu instid0(VALU_DEP_1)
	v_sub_nc_u64_e32 v[20:21], 0, v[12:13]
	v_mov_b32_e32 v12, v13
.LBB41_31:                              ; =>This Inner Loop Header: Depth=1
	global_load_b64 v[22:23], v[18:19], off
	v_add_nc_u64_e32 v[20:21], 1, v[20:21]
	v_add_nc_u64_e32 v[6:7], 8, v[6:7]
	s_wait_xcnt 0x0
	v_add_nc_u64_e32 v[18:19], 64, v[18:19]
	s_delay_alu instid0(VALU_DEP_3) | instskip(SKIP_4) | instid1(VALU_DEP_1)
	v_cmp_eq_u64_e32 vcc_lo, 0, v[20:21]
	s_or_b32 s6, vcc_lo, s6
	s_wait_loadcnt 0x0
	v_sub_nc_u64_e32 v[22:23], v[22:23], v[4:5]
	s_wait_kmcnt 0x0
	v_lshl_add_u64 v[42:43], v[22:23], 4, s[4:5]
	s_clause 0x1
	global_load_b128 v[22:25], v[10:11], off offset:16
	global_load_b128 v[26:29], v[10:11], off
	global_load_b128 v[30:33], v[42:43], off
	s_clause 0x1
	global_load_b128 v[34:37], v[10:11], off offset:32
	global_load_b128 v[38:41], v[10:11], off offset:48
	s_wait_xcnt 0x0
	v_add_nc_u64_e32 v[10:11], 0x200, v[10:11]
	s_wait_loadcnt 0x2
	v_pk_fma_f32 v[14:15], v[26:27], v[30:31], v[14:15] op_sel_hi:[1,0,1]
	v_pk_fma_f32 v[12:13], v[28:29], v[30:31], v[12:13] op_sel_hi:[1,0,1]
	s_delay_alu instid0(VALU_DEP_2) | instskip(NEXT) | instid1(VALU_DEP_2)
	v_pk_fma_f32 v[14:15], v[22:23], v[30:31], v[14:15] op_sel:[0,1,0]
	v_pk_fma_f32 v[12:13], v[24:25], v[30:31], v[12:13] op_sel:[0,1,0]
	v_mov_b32_e32 v22, v33
	s_wait_loadcnt 0x1
	s_delay_alu instid0(VALU_DEP_3) | instskip(NEXT) | instid1(VALU_DEP_3)
	v_pk_fma_f32 v[14:15], v[34:35], v[32:33], v[14:15] op_sel_hi:[1,0,1]
	v_pk_fma_f32 v[12:13], v[36:37], v[32:33], v[12:13] op_sel_hi:[1,0,1]
	s_wait_loadcnt 0x0
	s_delay_alu instid0(VALU_DEP_2) | instskip(NEXT) | instid1(VALU_DEP_2)
	v_pk_fma_f32 v[14:15], v[38:39], v[22:23], v[14:15] op_sel_hi:[1,0,1]
	v_pk_fma_f32 v[12:13], v[40:41], v[22:23], v[12:13] op_sel_hi:[1,0,1]
	s_and_not1_b32 exec_lo, exec_lo, s6
	s_cbranch_execnz .LBB41_31
; %bb.32:
	s_or_b32 exec_lo, exec_lo, s6
.LBB41_33:
	s_delay_alu instid0(SALU_CYCLE_1) | instskip(NEXT) | instid1(SALU_CYCLE_1)
	s_or_b32 exec_lo, exec_lo, s2
	s_mov_b32 s2, exec_lo
	v_cmpx_lt_u64_e32 23, v[16:17]
	s_cbranch_execz .LBB41_37
; %bb.34:
	v_lshl_add_u64 v[16:17], v[6:7], 3, s[8:9]
	s_mov_b32 s6, 0
	s_delay_alu instid0(VALU_DEP_1)
	v_add_nc_u64_e32 v[16:17], 0x80, v[16:17]
.LBB41_35:                              ; =>This Inner Loop Header: Depth=1
	s_clause 0x2
	global_load_b64 v[30:31], v[16:17], off offset:-128
	global_load_b64 v[32:33], v[16:17], off offset:-64
	global_load_b64 v[50:51], v[16:17], off
	s_clause 0x2
	global_load_b128 v[18:21], v[10:11], off offset:32
	global_load_b128 v[22:25], v[10:11], off offset:16
	global_load_b128 v[26:29], v[10:11], off
	global_load_b64 v[78:79], v[16:17], off offset:64
	v_add_nc_u64_e32 v[6:7], 32, v[6:7]
	s_wait_xcnt 0x0
	v_add_nc_u64_e32 v[16:17], 0x100, v[16:17]
	s_delay_alu instid0(VALU_DEP_2)
	v_cmp_ge_i64_e32 vcc_lo, v[6:7], v[8:9]
	s_or_b32 s6, vcc_lo, s6
	s_wait_loadcnt 0x6
	v_sub_nc_u64_e32 v[30:31], v[30:31], v[4:5]
	s_wait_loadcnt 0x5
	v_sub_nc_u64_e32 v[38:39], v[32:33], v[4:5]
	;; [unrolled: 2-line block ×4, first 2 shown]
	s_wait_kmcnt 0x0
	v_lshl_add_u64 v[40:41], v[30:31], 4, s[4:5]
	v_lshl_add_u64 v[52:53], v[38:39], 4, s[4:5]
	s_delay_alu instid0(VALU_DEP_4)
	v_lshl_add_u64 v[80:81], v[58:59], 4, s[4:5]
	global_load_b128 v[30:33], v[40:41], off
	s_clause 0x2
	global_load_b128 v[34:37], v[10:11], off offset:48
	global_load_b128 v[38:41], v[10:11], off offset:528
	;; [unrolled: 1-line block ×3, first 2 shown]
	global_load_b128 v[46:49], v[52:53], off
	s_clause 0x3
	global_load_b128 v[50:53], v[10:11], off offset:544
	global_load_b128 v[54:57], v[10:11], off offset:560
	;; [unrolled: 1-line block ×4, first 2 shown]
	global_load_b128 v[66:69], v[80:81], off
	s_clause 0x1
	global_load_b128 v[70:73], v[10:11], off offset:1072
	global_load_b128 v[74:77], v[10:11], off offset:1056
	s_wait_loadcnt 0xb
	v_pk_fma_f32 v[26:27], v[26:27], v[30:31], v[14:15] op_sel_hi:[1,0,1]
	v_pk_fma_f32 v[28:29], v[28:29], v[30:31], v[12:13] op_sel_hi:[1,0,1]
	global_load_b128 v[12:15], v[10:11], off offset:1552
	v_pk_fma_f32 v[26:27], v[22:23], v[30:31], v[26:27] op_sel:[0,1,0]
	v_pk_fma_f32 v[28:29], v[24:25], v[30:31], v[28:29] op_sel:[0,1,0]
	v_lshl_add_u64 v[30:31], v[78:79], 4, s[4:5]
	global_load_b128 v[22:25], v[10:11], off offset:1536
	v_pk_fma_f32 v[78:79], v[18:19], v[32:33], v[26:27] op_sel_hi:[1,0,1]
	s_wait_xcnt 0x4
	v_pk_fma_f32 v[80:81], v[20:21], v[32:33], v[28:29] op_sel_hi:[1,0,1]
	global_load_b128 v[18:21], v[30:31], off
	s_wait_xcnt 0x0
	v_mov_b32_e32 v30, v33
	global_load_b128 v[26:29], v[10:11], off offset:1568
	s_wait_loadcnt 0xe
	v_pk_fma_f32 v[34:35], v[34:35], v[30:31], v[78:79] op_sel_hi:[1,0,1]
	s_wait_loadcnt 0xb
	s_delay_alu instid0(VALU_DEP_1) | instskip(NEXT) | instid1(VALU_DEP_1)
	v_pk_fma_f32 v[34:35], v[42:43], v[46:47], v[34:35] op_sel_hi:[1,0,1]
	v_pk_fma_f32 v[34:35], v[38:39], v[46:47], v[34:35] op_sel:[0,1,0]
	v_mov_b32_e32 v38, v49
	v_pk_fma_f32 v[36:37], v[36:37], v[30:31], v[80:81] op_sel_hi:[1,0,1]
	global_load_b128 v[30:33], v[10:11], off offset:1584
	s_wait_xcnt 0x0
	v_add_nc_u64_e32 v[10:11], 0x800, v[10:11]
	s_wait_loadcnt 0xb
	v_pk_fma_f32 v[34:35], v[50:51], v[48:49], v[34:35] op_sel_hi:[1,0,1]
	v_pk_fma_f32 v[36:37], v[44:45], v[46:47], v[36:37] op_sel_hi:[1,0,1]
	s_wait_loadcnt 0xa
	s_delay_alu instid0(VALU_DEP_2) | instskip(NEXT) | instid1(VALU_DEP_2)
	v_pk_fma_f32 v[34:35], v[54:55], v[38:39], v[34:35] op_sel_hi:[1,0,1]
	v_pk_fma_f32 v[36:37], v[40:41], v[46:47], v[36:37] op_sel:[0,1,0]
	s_wait_loadcnt 0x7
	s_delay_alu instid0(VALU_DEP_2) | instskip(NEXT) | instid1(VALU_DEP_2)
	v_pk_fma_f32 v[34:35], v[62:63], v[66:67], v[34:35] op_sel_hi:[1,0,1]
	v_pk_fma_f32 v[36:37], v[52:53], v[48:49], v[36:37] op_sel_hi:[1,0,1]
	s_delay_alu instid0(VALU_DEP_2) | instskip(NEXT) | instid1(VALU_DEP_2)
	v_pk_fma_f32 v[34:35], v[58:59], v[66:67], v[34:35] op_sel:[0,1,0]
	v_pk_fma_f32 v[36:37], v[56:57], v[38:39], v[36:37] op_sel_hi:[1,0,1]
	v_mov_b32_e32 v38, v69
	s_wait_loadcnt 0x5
	s_delay_alu instid0(VALU_DEP_3) | instskip(NEXT) | instid1(VALU_DEP_3)
	v_pk_fma_f32 v[34:35], v[74:75], v[68:69], v[34:35] op_sel_hi:[1,0,1]
	v_pk_fma_f32 v[36:37], v[64:65], v[66:67], v[36:37] op_sel_hi:[1,0,1]
	s_delay_alu instid0(VALU_DEP_2) | instskip(NEXT) | instid1(VALU_DEP_2)
	v_pk_fma_f32 v[34:35], v[70:71], v[38:39], v[34:35] op_sel_hi:[1,0,1]
	v_pk_fma_f32 v[36:37], v[60:61], v[66:67], v[36:37] op_sel:[0,1,0]
	s_delay_alu instid0(VALU_DEP_1) | instskip(NEXT) | instid1(VALU_DEP_1)
	v_pk_fma_f32 v[36:37], v[76:77], v[68:69], v[36:37] op_sel_hi:[1,0,1]
	v_pk_fma_f32 v[36:37], v[72:73], v[38:39], v[36:37] op_sel_hi:[1,0,1]
	s_wait_loadcnt 0x2
	v_pk_fma_f32 v[22:23], v[22:23], v[18:19], v[34:35] op_sel_hi:[1,0,1]
	s_delay_alu instid0(VALU_DEP_2) | instskip(NEXT) | instid1(VALU_DEP_2)
	v_pk_fma_f32 v[24:25], v[24:25], v[18:19], v[36:37] op_sel_hi:[1,0,1]
	v_pk_fma_f32 v[12:13], v[12:13], v[18:19], v[22:23] op_sel:[0,1,0]
	s_delay_alu instid0(VALU_DEP_2) | instskip(SKIP_2) | instid1(VALU_DEP_3)
	v_pk_fma_f32 v[14:15], v[14:15], v[18:19], v[24:25] op_sel:[0,1,0]
	v_mov_b32_e32 v18, v21
	s_wait_loadcnt 0x1
	v_pk_fma_f32 v[12:13], v[26:27], v[20:21], v[12:13] op_sel_hi:[1,0,1]
	s_delay_alu instid0(VALU_DEP_3) | instskip(SKIP_1) | instid1(VALU_DEP_2)
	v_pk_fma_f32 v[20:21], v[28:29], v[20:21], v[14:15] op_sel_hi:[1,0,1]
	s_wait_loadcnt 0x0
	v_pk_fma_f32 v[14:15], v[30:31], v[18:19], v[12:13] op_sel_hi:[1,0,1]
	s_delay_alu instid0(VALU_DEP_2)
	v_pk_fma_f32 v[12:13], v[32:33], v[18:19], v[20:21] op_sel_hi:[1,0,1]
	s_and_not1_b32 exec_lo, exec_lo, s6
	s_cbranch_execnz .LBB41_35
; %bb.36:
	s_or_b32 exec_lo, exec_lo, s6
.LBB41_37:
	s_delay_alu instid0(SALU_CYCLE_1)
	s_or_b32 exec_lo, exec_lo, s2
.LBB41_38:
	s_delay_alu instid0(SALU_CYCLE_1)
	s_or_b32 exec_lo, exec_lo, s3
.LBB41_39:
	v_mbcnt_lo_u32_b32 v1, -1, 0
	s_mov_b32 s2, -1
	s_delay_alu instid0(VALU_DEP_1) | instskip(SKIP_1) | instid1(VALU_DEP_1)
	v_xor_b32_e32 v8, 2, v1
	v_xor_b32_e32 v4, 4, v1
	v_cmp_gt_i32_e32 vcc_lo, 32, v4
	v_cndmask_b32_e32 v4, v1, v4, vcc_lo
	s_delay_alu instid0(VALU_DEP_4) | instskip(NEXT) | instid1(VALU_DEP_2)
	v_cmp_gt_i32_e32 vcc_lo, 32, v8
	v_lshlrev_b32_e32 v7, 2, v4
	v_cndmask_b32_e32 v8, v1, v8, vcc_lo
	ds_bpermute_b32 v4, v7, v14
	ds_bpermute_b32 v5, v7, v15
	;; [unrolled: 1-line block ×4, first 2 shown]
	v_lshlrev_b32_e32 v11, 2, v8
	s_wait_dscnt 0x2
	v_pk_add_f32 v[4:5], v[14:15], v[4:5]
	s_wait_dscnt 0x0
	v_pk_add_f32 v[6:7], v[12:13], v[6:7]
	v_xor_b32_e32 v12, 1, v1
	ds_bpermute_b32 v8, v11, v4
	ds_bpermute_b32 v9, v11, v5
	;; [unrolled: 1-line block ×4, first 2 shown]
	v_cmp_gt_i32_e32 vcc_lo, 32, v12
	v_cndmask_b32_e32 v1, v1, v12, vcc_lo
	v_cmp_eq_u32_e32 vcc_lo, 7, v0
	s_delay_alu instid0(VALU_DEP_2)
	v_lshlrev_b32_e32 v1, 2, v1
	s_wait_dscnt 0x2
	v_pk_add_f32 v[4:5], v[4:5], v[8:9]
	s_wait_dscnt 0x0
	v_pk_add_f32 v[8:9], v[6:7], v[10:11]
	ds_bpermute_b32 v6, v1, v4
	ds_bpermute_b32 v7, v1, v5
	;; [unrolled: 1-line block ×4, first 2 shown]
	s_and_b32 exec_lo, exec_lo, vcc_lo
	s_cbranch_execz .LBB41_10
; %bb.40:
	s_load_b64 s[0:1], s[0:1], 0x58
	s_wait_dscnt 0x2
	v_pk_add_f32 v[6:7], v[4:5], v[6:7]
	s_wait_dscnt 0x0
	v_pk_add_f32 v[4:5], v[8:9], v[10:11]
	s_cmp_eq_f32 s16, 0
	s_wait_kmcnt 0x0
	v_lshl_add_u64 v[0:1], v[2:3], 4, s[0:1]
	s_cbranch_scc0 .LBB41_42
; %bb.41:
	v_pk_mul_f32 v[8:9], s[12:13], v[6:7] op_sel_hi:[0,1]
	v_pk_mul_f32 v[10:11], s[12:13], v[4:5] op_sel_hi:[0,1]
	s_mov_b32 s2, 0
	global_store_b128 v[0:1], v[8:11], off
.LBB41_42:
	s_and_not1_b32 vcc_lo, exec_lo, s2
	s_cbranch_vccnz .LBB41_10
; %bb.43:
	global_load_b128 v[8:11], v[0:1], off
	v_pk_mul_f32 v[2:3], s[12:13], v[6:7] op_sel_hi:[0,1]
	v_pk_mul_f32 v[4:5], s[12:13], v[4:5] op_sel_hi:[0,1]
	s_wait_loadcnt 0x0
	s_delay_alu instid0(VALU_DEP_2) | instskip(NEXT) | instid1(VALU_DEP_2)
	v_pk_fma_f32 v[2:3], s[16:17], v[8:9], v[2:3] op_sel_hi:[0,1,1]
	v_pk_fma_f32 v[4:5], s[16:17], v[10:11], v[4:5] op_sel_hi:[0,1,1]
	global_store_b128 v[0:1], v[2:5], off
	s_sendmsg sendmsg(MSG_DEALLOC_VGPRS)
	s_endpgm
	.section	.rodata,"a",@progbits
	.p2align	6, 0x0
	.amdhsa_kernel _ZN9rocsparseL18bsrxmvn_4x4_kernelILj128ELj8EfllfffEEvT3_20rocsparse_direction_NS_24const_host_device_scalarIT1_EES1_PKS1_PKT2_SA_S7_PKT4_PKT5_S5_PT6_21rocsparse_index_base_b
		.amdhsa_group_segment_fixed_size 0
		.amdhsa_private_segment_fixed_size 0
		.amdhsa_kernarg_size 104
		.amdhsa_user_sgpr_count 2
		.amdhsa_user_sgpr_dispatch_ptr 0
		.amdhsa_user_sgpr_queue_ptr 0
		.amdhsa_user_sgpr_kernarg_segment_ptr 1
		.amdhsa_user_sgpr_dispatch_id 0
		.amdhsa_user_sgpr_kernarg_preload_length 0
		.amdhsa_user_sgpr_kernarg_preload_offset 0
		.amdhsa_user_sgpr_private_segment_size 0
		.amdhsa_wavefront_size32 1
		.amdhsa_uses_dynamic_stack 0
		.amdhsa_enable_private_segment 0
		.amdhsa_system_sgpr_workgroup_id_x 1
		.amdhsa_system_sgpr_workgroup_id_y 0
		.amdhsa_system_sgpr_workgroup_id_z 0
		.amdhsa_system_sgpr_workgroup_info 0
		.amdhsa_system_vgpr_workitem_id 0
		.amdhsa_next_free_vgpr 106
		.amdhsa_next_free_sgpr 18
		.amdhsa_named_barrier_count 0
		.amdhsa_reserve_vcc 1
		.amdhsa_float_round_mode_32 0
		.amdhsa_float_round_mode_16_64 0
		.amdhsa_float_denorm_mode_32 3
		.amdhsa_float_denorm_mode_16_64 3
		.amdhsa_fp16_overflow 0
		.amdhsa_memory_ordered 1
		.amdhsa_forward_progress 1
		.amdhsa_inst_pref_size 30
		.amdhsa_round_robin_scheduling 0
		.amdhsa_exception_fp_ieee_invalid_op 0
		.amdhsa_exception_fp_denorm_src 0
		.amdhsa_exception_fp_ieee_div_zero 0
		.amdhsa_exception_fp_ieee_overflow 0
		.amdhsa_exception_fp_ieee_underflow 0
		.amdhsa_exception_fp_ieee_inexact 0
		.amdhsa_exception_int_div_zero 0
	.end_amdhsa_kernel
	.section	.text._ZN9rocsparseL18bsrxmvn_4x4_kernelILj128ELj8EfllfffEEvT3_20rocsparse_direction_NS_24const_host_device_scalarIT1_EES1_PKS1_PKT2_SA_S7_PKT4_PKT5_S5_PT6_21rocsparse_index_base_b,"axG",@progbits,_ZN9rocsparseL18bsrxmvn_4x4_kernelILj128ELj8EfllfffEEvT3_20rocsparse_direction_NS_24const_host_device_scalarIT1_EES1_PKS1_PKT2_SA_S7_PKT4_PKT5_S5_PT6_21rocsparse_index_base_b,comdat
.Lfunc_end41:
	.size	_ZN9rocsparseL18bsrxmvn_4x4_kernelILj128ELj8EfllfffEEvT3_20rocsparse_direction_NS_24const_host_device_scalarIT1_EES1_PKS1_PKT2_SA_S7_PKT4_PKT5_S5_PT6_21rocsparse_index_base_b, .Lfunc_end41-_ZN9rocsparseL18bsrxmvn_4x4_kernelILj128ELj8EfllfffEEvT3_20rocsparse_direction_NS_24const_host_device_scalarIT1_EES1_PKS1_PKT2_SA_S7_PKT4_PKT5_S5_PT6_21rocsparse_index_base_b
                                        ; -- End function
	.set _ZN9rocsparseL18bsrxmvn_4x4_kernelILj128ELj8EfllfffEEvT3_20rocsparse_direction_NS_24const_host_device_scalarIT1_EES1_PKS1_PKT2_SA_S7_PKT4_PKT5_S5_PT6_21rocsparse_index_base_b.num_vgpr, 106
	.set _ZN9rocsparseL18bsrxmvn_4x4_kernelILj128ELj8EfllfffEEvT3_20rocsparse_direction_NS_24const_host_device_scalarIT1_EES1_PKS1_PKT2_SA_S7_PKT4_PKT5_S5_PT6_21rocsparse_index_base_b.num_agpr, 0
	.set _ZN9rocsparseL18bsrxmvn_4x4_kernelILj128ELj8EfllfffEEvT3_20rocsparse_direction_NS_24const_host_device_scalarIT1_EES1_PKS1_PKT2_SA_S7_PKT4_PKT5_S5_PT6_21rocsparse_index_base_b.numbered_sgpr, 18
	.set _ZN9rocsparseL18bsrxmvn_4x4_kernelILj128ELj8EfllfffEEvT3_20rocsparse_direction_NS_24const_host_device_scalarIT1_EES1_PKS1_PKT2_SA_S7_PKT4_PKT5_S5_PT6_21rocsparse_index_base_b.num_named_barrier, 0
	.set _ZN9rocsparseL18bsrxmvn_4x4_kernelILj128ELj8EfllfffEEvT3_20rocsparse_direction_NS_24const_host_device_scalarIT1_EES1_PKS1_PKT2_SA_S7_PKT4_PKT5_S5_PT6_21rocsparse_index_base_b.private_seg_size, 0
	.set _ZN9rocsparseL18bsrxmvn_4x4_kernelILj128ELj8EfllfffEEvT3_20rocsparse_direction_NS_24const_host_device_scalarIT1_EES1_PKS1_PKT2_SA_S7_PKT4_PKT5_S5_PT6_21rocsparse_index_base_b.uses_vcc, 1
	.set _ZN9rocsparseL18bsrxmvn_4x4_kernelILj128ELj8EfllfffEEvT3_20rocsparse_direction_NS_24const_host_device_scalarIT1_EES1_PKS1_PKT2_SA_S7_PKT4_PKT5_S5_PT6_21rocsparse_index_base_b.uses_flat_scratch, 0
	.set _ZN9rocsparseL18bsrxmvn_4x4_kernelILj128ELj8EfllfffEEvT3_20rocsparse_direction_NS_24const_host_device_scalarIT1_EES1_PKS1_PKT2_SA_S7_PKT4_PKT5_S5_PT6_21rocsparse_index_base_b.has_dyn_sized_stack, 0
	.set _ZN9rocsparseL18bsrxmvn_4x4_kernelILj128ELj8EfllfffEEvT3_20rocsparse_direction_NS_24const_host_device_scalarIT1_EES1_PKS1_PKT2_SA_S7_PKT4_PKT5_S5_PT6_21rocsparse_index_base_b.has_recursion, 0
	.set _ZN9rocsparseL18bsrxmvn_4x4_kernelILj128ELj8EfllfffEEvT3_20rocsparse_direction_NS_24const_host_device_scalarIT1_EES1_PKS1_PKT2_SA_S7_PKT4_PKT5_S5_PT6_21rocsparse_index_base_b.has_indirect_call, 0
	.section	.AMDGPU.csdata,"",@progbits
; Kernel info:
; codeLenInByte = 3744
; TotalNumSgprs: 20
; NumVgprs: 106
; ScratchSize: 0
; MemoryBound: 1
; FloatMode: 240
; IeeeMode: 1
; LDSByteSize: 0 bytes/workgroup (compile time only)
; SGPRBlocks: 0
; VGPRBlocks: 6
; NumSGPRsForWavesPerEU: 20
; NumVGPRsForWavesPerEU: 106
; NamedBarCnt: 0
; Occupancy: 9
; WaveLimiterHint : 1
; COMPUTE_PGM_RSRC2:SCRATCH_EN: 0
; COMPUTE_PGM_RSRC2:USER_SGPR: 2
; COMPUTE_PGM_RSRC2:TRAP_HANDLER: 0
; COMPUTE_PGM_RSRC2:TGID_X_EN: 1
; COMPUTE_PGM_RSRC2:TGID_Y_EN: 0
; COMPUTE_PGM_RSRC2:TGID_Z_EN: 0
; COMPUTE_PGM_RSRC2:TIDIG_COMP_CNT: 0
	.section	.text._ZN9rocsparseL18bsrxmvn_4x4_kernelILj128ELj16EfllfffEEvT3_20rocsparse_direction_NS_24const_host_device_scalarIT1_EES1_PKS1_PKT2_SA_S7_PKT4_PKT5_S5_PT6_21rocsparse_index_base_b,"axG",@progbits,_ZN9rocsparseL18bsrxmvn_4x4_kernelILj128ELj16EfllfffEEvT3_20rocsparse_direction_NS_24const_host_device_scalarIT1_EES1_PKS1_PKT2_SA_S7_PKT4_PKT5_S5_PT6_21rocsparse_index_base_b,comdat
	.globl	_ZN9rocsparseL18bsrxmvn_4x4_kernelILj128ELj16EfllfffEEvT3_20rocsparse_direction_NS_24const_host_device_scalarIT1_EES1_PKS1_PKT2_SA_S7_PKT4_PKT5_S5_PT6_21rocsparse_index_base_b ; -- Begin function _ZN9rocsparseL18bsrxmvn_4x4_kernelILj128ELj16EfllfffEEvT3_20rocsparse_direction_NS_24const_host_device_scalarIT1_EES1_PKS1_PKT2_SA_S7_PKT4_PKT5_S5_PT6_21rocsparse_index_base_b
	.p2align	8
	.type	_ZN9rocsparseL18bsrxmvn_4x4_kernelILj128ELj16EfllfffEEvT3_20rocsparse_direction_NS_24const_host_device_scalarIT1_EES1_PKS1_PKT2_SA_S7_PKT4_PKT5_S5_PT6_21rocsparse_index_base_b,@function
_ZN9rocsparseL18bsrxmvn_4x4_kernelILj128ELj16EfllfffEEvT3_20rocsparse_direction_NS_24const_host_device_scalarIT1_EES1_PKS1_PKT2_SA_S7_PKT4_PKT5_S5_PT6_21rocsparse_index_base_b: ; @_ZN9rocsparseL18bsrxmvn_4x4_kernelILj128ELj16EfllfffEEvT3_20rocsparse_direction_NS_24const_host_device_scalarIT1_EES1_PKS1_PKT2_SA_S7_PKT4_PKT5_S5_PT6_21rocsparse_index_base_b
; %bb.0:
	s_clause 0x2
	s_load_b64 s[2:3], s[0:1], 0x60
	s_load_b128 s[12:15], s[0:1], 0x10
	s_load_b64 s[16:17], s[0:1], 0x50
	s_wait_kmcnt 0x0
	s_bitcmp1_b32 s3, 0
	s_cselect_b32 s3, -1, 0
	s_delay_alu instid0(SALU_CYCLE_1)
	s_and_b32 vcc_lo, exec_lo, s3
	s_xor_b32 s3, s3, -1
	s_cbranch_vccnz .LBB42_2
; %bb.1:
	s_load_b32 s12, s[12:13], 0x0
.LBB42_2:
	s_and_not1_b32 vcc_lo, exec_lo, s3
	s_cbranch_vccnz .LBB42_4
; %bb.3:
	s_load_b32 s16, s[16:17], 0x0
.LBB42_4:
	s_wait_kmcnt 0x0
	s_cmp_neq_f32 s12, 0
	s_mov_b32 s6, 0
	s_cselect_b32 s3, -1, 0
	s_cmp_neq_f32 s16, 1.0
	s_cselect_b32 s4, -1, 0
	s_delay_alu instid0(SALU_CYCLE_1) | instskip(NEXT) | instid1(SALU_CYCLE_1)
	s_or_b32 s3, s3, s4
	s_and_not1_b32 vcc_lo, exec_lo, s3
	s_cbranch_vccnz .LBB42_10
; %bb.5:
	s_load_b64 s[4:5], s[0:1], 0x20
	s_bfe_u32 s3, ttmp6, 0x4000c
	s_and_b32 s7, ttmp6, 15
	s_add_co_i32 s3, s3, 1
	s_getreg_b32 s8, hwreg(HW_REG_IB_STS2, 6, 4)
	s_mul_i32 s3, ttmp9, s3
	v_dual_lshrrev_b32 v1, 4, v0 :: v_dual_mov_b32 v7, 0
	s_add_co_i32 s7, s7, s3
	s_cmp_eq_u32 s8, 0
	s_cselect_b32 s3, ttmp9, s7
	s_delay_alu instid0(VALU_DEP_1) | instid1(SALU_CYCLE_1)
	v_lshl_or_b32 v6, s3, 3, v1
	s_wait_kmcnt 0x0
	s_cmp_lg_u64 s[4:5], 0
	s_cbranch_scc0 .LBB42_11
; %bb.6:
	s_mov_b32 s7, 0
                                        ; implicit-def: $vgpr2_vgpr3
                                        ; implicit-def: $vgpr4_vgpr5
	s_mov_b32 s3, exec_lo
	v_cmpx_gt_i64_e64 s[14:15], v[6:7]
	s_xor_b32 s8, exec_lo, s3
	s_cbranch_execz .LBB42_8
; %bb.7:
	v_lshl_add_u64 v[2:3], v[6:7], 3, s[4:5]
	s_mov_b32 s3, 0
	s_mov_b32 s6, exec_lo
	v_mov_b64_e32 v[4:5], s[2:3]
	global_load_b64 v[2:3], v[2:3], off
	s_wait_loadcnt 0x0
	v_sub_nc_u64_e64 v[2:3], v[2:3], s[2:3]
.LBB42_8:
	s_or_b32 exec_lo, exec_lo, s8
	s_delay_alu instid0(SALU_CYCLE_1)
	s_and_b32 vcc_lo, exec_lo, s7
	s_cbranch_vccnz .LBB42_12
.LBB42_9:
	s_and_saveexec_b32 s2, s6
	s_cbranch_execnz .LBB42_15
.LBB42_10:
	s_sendmsg sendmsg(MSG_DEALLOC_VGPRS)
	s_endpgm
.LBB42_11:
                                        ; implicit-def: $vgpr2_vgpr3
                                        ; implicit-def: $vgpr4_vgpr5
	s_cbranch_execz .LBB42_9
.LBB42_12:
	s_load_b64 s[4:5], s[0:1], 0x0
	s_wait_kmcnt 0x0
	v_cmp_gt_i64_e32 vcc_lo, s[4:5], v[6:7]
	s_and_saveexec_b32 s4, vcc_lo
; %bb.13:
	s_mov_b32 s3, 0
	s_or_b32 s6, s6, exec_lo
; %bb.14:
	s_or_b32 exec_lo, exec_lo, s4
	v_mov_b64_e32 v[4:5], s[2:3]
	v_mov_b64_e32 v[2:3], v[6:7]
	s_and_saveexec_b32 s2, s6
	s_cbranch_execz .LBB42_10
.LBB42_15:
	s_load_b256 s[4:11], s[0:1], 0x28
	s_delay_alu instid0(VALU_DEP_1) | instskip(SKIP_3) | instid1(VALU_DEP_2)
	v_lshlrev_b64_e32 v[6:7], 3, v[2:3]
	v_dual_mov_b32 v1, 0 :: v_dual_bitop2_b32 v0, 15, v0 bitop3:0x40
	s_load_b32 s3, s[0:1], 0x8
	s_wait_kmcnt 0x0
	v_add_nc_u64_e32 v[8:9], s[4:5], v[6:7]
	v_add_nc_u64_e32 v[6:7], s[6:7], v[6:7]
	s_cmp_eq_u64 s[6:7], 0
	s_load_b64 s[4:5], s[0:1], 0x48
	s_cselect_b32 vcc_lo, -1, 0
	s_cmp_eq_u32 s3, 1
	global_load_b64 v[14:15], v[8:9], off
	s_wait_xcnt 0x0
	v_add_nc_u64_e32 v[8:9], 8, v[8:9]
	s_delay_alu instid0(VALU_DEP_1) | instskip(SKIP_4) | instid1(VALU_DEP_1)
	v_dual_cndmask_b32 v7, v7, v9 :: v_dual_cndmask_b32 v6, v6, v8
	global_load_b64 v[8:9], v[6:7], off
	s_wait_loadcnt 0x1
	s_wait_xcnt 0x0
	v_sub_nc_u64_e32 v[6:7], v[14:15], v[4:5]
	v_add_nc_u64_e32 v[6:7], v[6:7], v[0:1]
	s_wait_loadcnt 0x0
	v_sub_nc_u64_e32 v[8:9], v[8:9], v[4:5]
	s_delay_alu instid0(VALU_DEP_2) | instskip(NEXT) | instid1(VALU_DEP_2)
	v_lshlrev_b64_e32 v[10:11], 6, v[6:7]
	v_cmp_lt_i64_e64 s2, v[6:7], v[8:9]
	s_delay_alu instid0(VALU_DEP_2)
	v_add_nc_u64_e32 v[10:11], s[10:11], v[10:11]
	s_cbranch_scc1 .LBB42_27
; %bb.16:
	v_dual_mov_b32 v21, v1 :: v_dual_mov_b32 v20, v1
	v_dual_mov_b32 v13, v1 :: v_dual_mov_b32 v12, v1
	s_and_saveexec_b32 s3, s2
	s_cbranch_execz .LBB42_26
; %bb.17:
	v_dual_mov_b32 v13, v1 :: v_dual_bitop2_b32 v12, 16, v0 bitop3:0x54
	v_sub_nc_u64_e32 v[16:17], v[4:5], v[0:1]
	v_not_b32_e32 v19, v15
	v_not_b32_e32 v18, v14
	v_mov_b64_e32 v[22:23], 0
	v_sub_nc_u64_e32 v[12:13], v[12:13], v[4:5]
	s_delay_alu instid0(VALU_DEP_3) | instskip(SKIP_1) | instid1(VALU_DEP_3)
	v_add_nc_u64_e32 v[16:17], v[16:17], v[18:19]
	v_mov_b64_e32 v[18:19], v[10:11]
	v_add_nc_u64_e32 v[12:13], v[12:13], v[14:15]
	s_delay_alu instid0(VALU_DEP_1) | instskip(NEXT) | instid1(VALU_DEP_1)
	v_max_i64 v[12:13], v[12:13], v[8:9]
	v_add_nc_u64_e32 v[24:25], v[16:17], v[12:13]
	v_mov_b32_e32 v20, 0
	v_mov_b64_e32 v[12:13], 0
	s_delay_alu instid0(VALU_DEP_2) | instskip(NEXT) | instid1(VALU_DEP_1)
	v_dual_mov_b32 v17, v20 :: v_dual_bitop2_b32 v16, 48, v24 bitop3:0x40
	v_cmp_ne_u64_e32 vcc_lo, 48, v[16:17]
	v_mov_b64_e32 v[16:17], v[6:7]
	s_and_saveexec_b32 s6, vcc_lo
	s_cbranch_execz .LBB42_21
; %bb.18:
	v_dual_mov_b32 v13, v20 :: v_dual_lshrrev_b32 v12, 4, v24
	v_mov_b64_e32 v[18:19], v[10:11]
	v_mov_b64_e32 v[16:17], v[6:7]
	v_lshl_add_u64 v[22:23], v[6:7], 3, s[8:9]
	s_delay_alu instid0(VALU_DEP_4) | instskip(SKIP_1) | instid1(VALU_DEP_1)
	v_dual_mov_b32 v21, v20 :: v_dual_add_nc_u32 v12, 1, v12
	s_mov_b32 s7, 0
	v_and_b32_e32 v12, 3, v12
	s_delay_alu instid0(VALU_DEP_1)
	v_sub_nc_u64_e32 v[26:27], 0, v[12:13]
	v_mov_b32_e32 v12, v20
.LBB42_19:                              ; =>This Inner Loop Header: Depth=1
	global_load_b64 v[28:29], v[22:23], off
	v_add_nc_u64_e32 v[26:27], 1, v[26:27]
	v_add_nc_u64_e32 v[16:17], 16, v[16:17]
	s_wait_xcnt 0x0
	v_add_nc_u64_e32 v[22:23], 0x80, v[22:23]
	s_delay_alu instid0(VALU_DEP_3)
	v_cmp_eq_u64_e32 vcc_lo, 0, v[26:27]
	s_or_b32 s7, vcc_lo, s7
	s_wait_loadcnt 0x0
	v_sub_nc_u64_e32 v[44:45], v[28:29], v[4:5]
	s_clause 0x3
	global_load_b128 v[28:31], v[18:19], off offset:16
	global_load_b128 v[32:35], v[18:19], off
	global_load_b128 v[36:39], v[18:19], off offset:48
	global_load_b128 v[40:43], v[18:19], off offset:32
	s_wait_xcnt 0x0
	v_add_nc_u64_e32 v[18:19], 0x400, v[18:19]
	s_wait_kmcnt 0x0
	v_lshl_add_u64 v[44:45], v[44:45], 4, s[4:5]
	global_load_b128 v[44:47], v[44:45], off
	s_wait_loadcnt 0x3
	v_dual_mov_b32 v49, v28 :: v_dual_mov_b32 v48, v32
	s_wait_loadcnt 0x1
	v_dual_mov_b32 v51, v36 :: v_dual_mov_b32 v50, v40
	v_dual_mov_b32 v28, v33 :: v_dual_mov_b32 v32, v34
	;; [unrolled: 1-line block ×5, first 2 shown]
	s_wait_loadcnt 0x0
	v_pk_fma_f32 v[12:13], v[48:49], v[44:45], v[12:13] op_sel_hi:[1,0,1]
	v_pk_fma_f32 v[20:21], v[50:51], v[44:45], v[20:21] op_sel_hi:[1,0,1]
	s_delay_alu instid0(VALU_DEP_2) | instskip(NEXT) | instid1(VALU_DEP_2)
	v_pk_fma_f32 v[12:13], v[28:29], v[44:45], v[12:13] op_sel:[0,1,0]
	v_pk_fma_f32 v[20:21], v[36:37], v[44:45], v[20:21] op_sel:[0,1,0]
	v_mov_b32_e32 v28, v47
	s_delay_alu instid0(VALU_DEP_3) | instskip(NEXT) | instid1(VALU_DEP_3)
	v_pk_fma_f32 v[12:13], v[32:33], v[46:47], v[12:13] op_sel_hi:[1,0,1]
	v_pk_fma_f32 v[20:21], v[40:41], v[46:47], v[20:21] op_sel_hi:[1,0,1]
	s_delay_alu instid0(VALU_DEP_2) | instskip(NEXT) | instid1(VALU_DEP_2)
	v_pk_fma_f32 v[12:13], v[30:31], v[28:29], v[12:13] op_sel_hi:[1,0,1]
	v_pk_fma_f32 v[20:21], v[38:39], v[28:29], v[20:21] op_sel_hi:[1,0,1]
	s_and_not1_b32 exec_lo, exec_lo, s7
	s_cbranch_execnz .LBB42_19
; %bb.20:
	s_or_b32 exec_lo, exec_lo, s7
	s_delay_alu instid0(VALU_DEP_1)
	v_mov_b64_e32 v[22:23], v[20:21]
.LBB42_21:
	s_or_b32 exec_lo, exec_lo, s6
	s_delay_alu instid0(SALU_CYCLE_1)
	s_mov_b32 s6, exec_lo
	v_cmpx_lt_u64_e32 47, v[24:25]
	s_cbranch_execz .LBB42_25
; %bb.22:
	v_lshl_add_u64 v[20:21], v[16:17], 3, s[8:9]
	s_mov_b32 s7, 0
	s_delay_alu instid0(VALU_DEP_1)
	v_add_nc_u64_e32 v[20:21], 0x100, v[20:21]
.LBB42_23:                              ; =>This Inner Loop Header: Depth=1
	s_clause 0x2
	global_load_b64 v[40:41], v[20:21], off offset:-256
	global_load_b64 v[48:49], v[20:21], off offset:-128
	global_load_b64 v[68:69], v[20:21], off
	s_clause 0x3
	global_load_b128 v[24:27], v[18:19], off
	global_load_b128 v[28:31], v[18:19], off offset:16
	global_load_b128 v[32:35], v[18:19], off offset:32
	;; [unrolled: 1-line block ×3, first 2 shown]
	global_load_b64 v[96:97], v[20:21], off offset:128
	v_add_nc_u64_e32 v[16:17], 64, v[16:17]
	s_wait_xcnt 0x0
	v_add_nc_u64_e32 v[20:21], 0x200, v[20:21]
	s_delay_alu instid0(VALU_DEP_2)
	v_cmp_ge_i64_e32 vcc_lo, v[16:17], v[8:9]
	s_or_b32 s7, vcc_lo, s7
	s_wait_loadcnt 0x7
	v_sub_nc_u64_e32 v[40:41], v[40:41], v[4:5]
	s_wait_loadcnt 0x6
	v_sub_nc_u64_e32 v[60:61], v[48:49], v[4:5]
	;; [unrolled: 2-line block ×3, first 2 shown]
	s_wait_loadcnt 0x3
	v_dual_mov_b32 v98, v24 :: v_dual_mov_b32 v99, v28
	v_dual_mov_b32 v28, v25 :: v_dual_mov_b32 v100, v26
	s_wait_kmcnt 0x0
	v_lshl_add_u64 v[50:51], v[40:41], 4, s[4:5]
	v_lshl_add_u64 v[70:71], v[60:61], 4, s[4:5]
	;; [unrolled: 1-line block ×3, first 2 shown]
	s_wait_loadcnt 0x0
	v_sub_nc_u64_e32 v[96:97], v[96:97], v[4:5]
	v_dual_mov_b32 v101, v30 :: v_dual_mov_b32 v30, v27
	global_load_b128 v[40:43], v[50:51], off
	s_clause 0x3
	global_load_b128 v[44:47], v[18:19], off offset:1024
	global_load_b128 v[48:51], v[18:19], off offset:1040
	;; [unrolled: 1-line block ×4, first 2 shown]
	global_load_b128 v[60:63], v[70:71], off
	s_clause 0x6
	global_load_b128 v[64:67], v[18:19], off offset:2048
	global_load_b128 v[68:71], v[18:19], off offset:2064
	;; [unrolled: 1-line block ×7, first 2 shown]
	global_load_b128 v[92:95], v[92:93], off
	v_dual_mov_b32 v102, v32 :: v_dual_mov_b32 v103, v36
	v_dual_mov_b32 v36, v33 :: v_dual_mov_b32 v104, v34
	global_load_b128 v[24:27], v[18:19], off offset:3120
	v_lshl_add_u64 v[32:33], v[96:97], 4, s[4:5]
	v_dual_mov_b32 v105, v38 :: v_dual_mov_b32 v38, v35
	s_wait_xcnt 0x0
	v_add_nc_u64_e32 v[18:19], 0x1000, v[18:19]
	global_load_b128 v[32:35], v[32:33], off
	s_wait_loadcnt 0xf
	v_pk_fma_f32 v[12:13], v[98:99], v[40:41], v[12:13] op_sel_hi:[1,0,1]
	v_pk_fma_f32 v[22:23], v[102:103], v[40:41], v[22:23] op_sel_hi:[1,0,1]
	s_wait_loadcnt 0xd
	v_dual_mov_b32 v96, v44 :: v_dual_mov_b32 v97, v48
	v_mov_b32_e32 v48, v45
	v_pk_fma_f32 v[12:13], v[28:29], v[40:41], v[12:13] op_sel:[0,1,0]
	v_pk_fma_f32 v[22:23], v[36:37], v[40:41], v[22:23] op_sel:[0,1,0]
	v_dual_mov_b32 v28, v43 :: v_dual_mov_b32 v36, v46
	s_wait_loadcnt 0xc
	v_mov_b32_e32 v40, v52
	v_pk_fma_f32 v[12:13], v[100:101], v[42:43], v[12:13] op_sel_hi:[1,0,1]
	v_pk_fma_f32 v[22:23], v[104:105], v[42:43], v[22:23] op_sel_hi:[1,0,1]
	s_wait_loadcnt 0xb
	v_dual_mov_b32 v41, v56 :: v_dual_mov_b32 v37, v50
	v_dual_mov_b32 v50, v47 :: v_dual_mov_b32 v56, v53
	v_pk_fma_f32 v[12:13], v[30:31], v[28:29], v[12:13] op_sel_hi:[1,0,1]
	v_pk_fma_f32 v[22:23], v[38:39], v[28:29], v[22:23] op_sel_hi:[1,0,1]
	v_dual_mov_b32 v28, v54 :: v_dual_mov_b32 v29, v58
	s_wait_loadcnt 0x9
	v_dual_mov_b32 v58, v55 :: v_dual_mov_b32 v30, v64
	v_pk_fma_f32 v[12:13], v[96:97], v[60:61], v[12:13] op_sel_hi:[1,0,1]
	v_pk_fma_f32 v[22:23], v[40:41], v[60:61], v[22:23] op_sel_hi:[1,0,1]
	s_wait_loadcnt 0x8
	v_dual_mov_b32 v31, v68 :: v_dual_mov_b32 v38, v63
	v_mov_b32_e32 v68, v65
	v_pk_fma_f32 v[12:13], v[48:49], v[60:61], v[12:13] op_sel:[0,1,0]
	v_pk_fma_f32 v[22:23], v[56:57], v[60:61], v[22:23] op_sel:[0,1,0]
	s_delay_alu instid0(VALU_DEP_2) | instskip(NEXT) | instid1(VALU_DEP_2)
	v_pk_fma_f32 v[12:13], v[36:37], v[62:63], v[12:13] op_sel_hi:[1,0,1]
	v_pk_fma_f32 v[22:23], v[28:29], v[62:63], v[22:23] op_sel_hi:[1,0,1]
	s_wait_loadcnt 0x6
	v_dual_mov_b32 v28, v76 :: v_dual_mov_b32 v29, v72
	v_mov_b32_e32 v36, v66
	v_pk_fma_f32 v[12:13], v[50:51], v[38:39], v[12:13] op_sel_hi:[1,0,1]
	v_pk_fma_f32 v[22:23], v[58:59], v[38:39], v[22:23] op_sel_hi:[1,0,1]
	v_dual_mov_b32 v37, v70 :: v_dual_mov_b32 v72, v77
	v_mov_b32_e32 v70, v67
	s_wait_loadcnt 0x2
	v_pk_fma_f32 v[12:13], v[30:31], v[92:93], v[12:13] op_sel_hi:[1,0,1]
	v_pk_fma_f32 v[22:23], v[28:29], v[92:93], v[22:23] op_sel_hi:[1,0,1]
	v_dual_mov_b32 v28, v78 :: v_dual_mov_b32 v29, v74
	v_mov_b32_e32 v74, v79
	s_delay_alu instid0(VALU_DEP_4) | instskip(NEXT) | instid1(VALU_DEP_4)
	v_pk_fma_f32 v[12:13], v[68:69], v[92:93], v[12:13] op_sel:[0,1,0]
	v_pk_fma_f32 v[22:23], v[72:73], v[92:93], v[22:23] op_sel:[0,1,0]
	v_dual_mov_b32 v30, v84 :: v_dual_mov_b32 v38, v95
	v_mov_b32_e32 v31, v80
	s_delay_alu instid0(VALU_DEP_4) | instskip(NEXT) | instid1(VALU_DEP_4)
	v_pk_fma_f32 v[12:13], v[36:37], v[94:95], v[12:13] op_sel_hi:[1,0,1]
	v_pk_fma_f32 v[22:23], v[28:29], v[94:95], v[22:23] op_sel_hi:[1,0,1]
	s_wait_loadcnt 0x1
	v_dual_mov_b32 v28, v88 :: v_dual_mov_b32 v29, v24
	v_mov_b32_e32 v80, v85
	v_pk_fma_f32 v[12:13], v[70:71], v[38:39], v[12:13] op_sel_hi:[1,0,1]
	v_pk_fma_f32 v[22:23], v[74:75], v[38:39], v[22:23] op_sel_hi:[1,0,1]
	v_dual_mov_b32 v36, v86 :: v_dual_mov_b32 v24, v89
	v_mov_b32_e32 v37, v82
	s_wait_loadcnt 0x0
	v_pk_fma_f32 v[12:13], v[30:31], v[32:33], v[12:13] op_sel_hi:[1,0,1]
	v_pk_fma_f32 v[22:23], v[28:29], v[32:33], v[22:23] op_sel_hi:[1,0,1]
	v_dual_mov_b32 v28, v90 :: v_dual_mov_b32 v29, v26
	v_mov_b32_e32 v82, v87
	s_delay_alu instid0(VALU_DEP_4) | instskip(NEXT) | instid1(VALU_DEP_4)
	v_pk_fma_f32 v[12:13], v[80:81], v[32:33], v[12:13] op_sel:[0,1,0]
	v_pk_fma_f32 v[22:23], v[24:25], v[32:33], v[22:23] op_sel:[0,1,0]
	v_dual_mov_b32 v26, v91 :: v_dual_mov_b32 v24, v35
	s_delay_alu instid0(VALU_DEP_3) | instskip(NEXT) | instid1(VALU_DEP_3)
	v_pk_fma_f32 v[12:13], v[36:37], v[34:35], v[12:13] op_sel_hi:[1,0,1]
	v_pk_fma_f32 v[22:23], v[28:29], v[34:35], v[22:23] op_sel_hi:[1,0,1]
	s_delay_alu instid0(VALU_DEP_2) | instskip(NEXT) | instid1(VALU_DEP_2)
	v_pk_fma_f32 v[12:13], v[82:83], v[24:25], v[12:13] op_sel_hi:[1,0,1]
	v_pk_fma_f32 v[22:23], v[26:27], v[24:25], v[22:23] op_sel_hi:[1,0,1]
	s_and_not1_b32 exec_lo, exec_lo, s7
	s_cbranch_execnz .LBB42_23
; %bb.24:
	s_or_b32 exec_lo, exec_lo, s7
	s_delay_alu instid0(VALU_DEP_1)
	v_dual_mov_b32 v21, v23 :: v_dual_mov_b32 v20, v22
.LBB42_25:
	s_or_b32 exec_lo, exec_lo, s6
.LBB42_26:
	s_delay_alu instid0(SALU_CYCLE_1)
	s_or_b32 exec_lo, exec_lo, s3
	s_cbranch_execz .LBB42_28
	s_branch .LBB42_39
.LBB42_27:
                                        ; implicit-def: $vgpr21
                                        ; implicit-def: $vgpr13
.LBB42_28:
	v_dual_mov_b32 v21, 0 :: v_dual_mov_b32 v20, 0
	v_dual_mov_b32 v13, 0 :: v_dual_mov_b32 v12, 0
	s_and_saveexec_b32 s3, s2
	s_cbranch_execz .LBB42_38
; %bb.29:
	v_dual_mov_b32 v13, v1 :: v_dual_bitop2_b32 v12, 16, v0 bitop3:0x54
	v_sub_nc_u64_e32 v[16:17], v[4:5], v[0:1]
	s_delay_alu instid0(VALU_DEP_2) | instskip(NEXT) | instid1(VALU_DEP_1)
	v_sub_nc_u64_e32 v[12:13], v[12:13], v[4:5]
	v_add_nc_u64_e32 v[12:13], v[12:13], v[14:15]
	v_not_b32_e32 v15, v15
	v_not_b32_e32 v14, v14
	s_delay_alu instid0(VALU_DEP_1) | instskip(NEXT) | instid1(VALU_DEP_4)
	v_add_nc_u64_e32 v[14:15], v[16:17], v[14:15]
	v_max_i64 v[12:13], v[12:13], v[8:9]
	s_delay_alu instid0(VALU_DEP_1) | instskip(SKIP_2) | instid1(VALU_DEP_2)
	v_add_nc_u64_e32 v[14:15], v[14:15], v[12:13]
	v_mov_b32_e32 v20, 0
	v_mov_b64_e32 v[12:13], 0
	v_dual_mov_b32 v17, v20 :: v_dual_bitop2_b32 v16, 48, v14 bitop3:0x40
	s_delay_alu instid0(VALU_DEP_1)
	v_cmp_ne_u64_e32 vcc_lo, 48, v[16:17]
	v_mov_b64_e32 v[16:17], 0
	s_and_saveexec_b32 s2, vcc_lo
	s_cbranch_execz .LBB42_33
; %bb.30:
	v_dual_lshrrev_b32 v1, 4, v14 :: v_dual_mov_b32 v13, v20
	v_lshl_add_u64 v[16:17], v[6:7], 3, s[8:9]
	s_mov_b32 s6, 0
	s_delay_alu instid0(VALU_DEP_2) | instskip(NEXT) | instid1(VALU_DEP_1)
	v_dual_mov_b32 v21, v20 :: v_dual_add_nc_u32 v1, 1, v1
	v_and_b32_e32 v12, 3, v1
	s_delay_alu instid0(VALU_DEP_1)
	v_sub_nc_u64_e32 v[18:19], 0, v[12:13]
	v_mov_b32_e32 v12, v20
.LBB42_31:                              ; =>This Inner Loop Header: Depth=1
	global_load_b64 v[22:23], v[16:17], off
	v_add_nc_u64_e32 v[18:19], 1, v[18:19]
	v_add_nc_u64_e32 v[6:7], 16, v[6:7]
	s_wait_xcnt 0x0
	v_add_nc_u64_e32 v[16:17], 0x80, v[16:17]
	s_delay_alu instid0(VALU_DEP_3) | instskip(SKIP_4) | instid1(VALU_DEP_1)
	v_cmp_eq_u64_e32 vcc_lo, 0, v[18:19]
	s_or_b32 s6, vcc_lo, s6
	s_wait_loadcnt 0x0
	v_sub_nc_u64_e32 v[22:23], v[22:23], v[4:5]
	s_wait_kmcnt 0x0
	v_lshl_add_u64 v[42:43], v[22:23], 4, s[4:5]
	s_clause 0x1
	global_load_b128 v[22:25], v[10:11], off offset:16
	global_load_b128 v[26:29], v[10:11], off
	global_load_b128 v[30:33], v[42:43], off
	s_clause 0x1
	global_load_b128 v[34:37], v[10:11], off offset:32
	global_load_b128 v[38:41], v[10:11], off offset:48
	s_wait_xcnt 0x0
	v_add_nc_u64_e32 v[10:11], 0x400, v[10:11]
	s_wait_loadcnt 0x2
	v_pk_fma_f32 v[12:13], v[26:27], v[30:31], v[12:13] op_sel_hi:[1,0,1]
	v_pk_fma_f32 v[20:21], v[28:29], v[30:31], v[20:21] op_sel_hi:[1,0,1]
	s_delay_alu instid0(VALU_DEP_2) | instskip(NEXT) | instid1(VALU_DEP_2)
	v_pk_fma_f32 v[12:13], v[22:23], v[30:31], v[12:13] op_sel:[0,1,0]
	v_pk_fma_f32 v[20:21], v[24:25], v[30:31], v[20:21] op_sel:[0,1,0]
	v_mov_b32_e32 v22, v33
	s_wait_loadcnt 0x1
	s_delay_alu instid0(VALU_DEP_3) | instskip(NEXT) | instid1(VALU_DEP_3)
	v_pk_fma_f32 v[12:13], v[34:35], v[32:33], v[12:13] op_sel_hi:[1,0,1]
	v_pk_fma_f32 v[20:21], v[36:37], v[32:33], v[20:21] op_sel_hi:[1,0,1]
	s_wait_loadcnt 0x0
	s_delay_alu instid0(VALU_DEP_2) | instskip(NEXT) | instid1(VALU_DEP_2)
	v_pk_fma_f32 v[12:13], v[38:39], v[22:23], v[12:13] op_sel_hi:[1,0,1]
	v_pk_fma_f32 v[20:21], v[40:41], v[22:23], v[20:21] op_sel_hi:[1,0,1]
	s_and_not1_b32 exec_lo, exec_lo, s6
	s_cbranch_execnz .LBB42_31
; %bb.32:
	s_or_b32 exec_lo, exec_lo, s6
	s_delay_alu instid0(VALU_DEP_1)
	v_mov_b64_e32 v[16:17], v[20:21]
.LBB42_33:
	s_or_b32 exec_lo, exec_lo, s2
	s_delay_alu instid0(SALU_CYCLE_1)
	s_mov_b32 s2, exec_lo
	v_cmpx_lt_u64_e32 47, v[14:15]
	s_cbranch_execz .LBB42_37
; %bb.34:
	v_lshl_add_u64 v[14:15], v[6:7], 3, s[8:9]
	s_mov_b32 s6, 0
	s_delay_alu instid0(VALU_DEP_1)
	v_add_nc_u64_e32 v[14:15], 0x100, v[14:15]
.LBB42_35:                              ; =>This Inner Loop Header: Depth=1
	s_clause 0x2
	global_load_b64 v[30:31], v[14:15], off offset:-256
	global_load_b64 v[32:33], v[14:15], off offset:-128
	global_load_b64 v[50:51], v[14:15], off
	s_clause 0x2
	global_load_b128 v[18:21], v[10:11], off offset:32
	global_load_b128 v[22:25], v[10:11], off offset:16
	global_load_b128 v[26:29], v[10:11], off
	global_load_b64 v[78:79], v[14:15], off offset:128
	v_add_nc_u64_e32 v[6:7], 64, v[6:7]
	s_wait_xcnt 0x0
	v_add_nc_u64_e32 v[14:15], 0x200, v[14:15]
	s_delay_alu instid0(VALU_DEP_2)
	v_cmp_ge_i64_e32 vcc_lo, v[6:7], v[8:9]
	s_or_b32 s6, vcc_lo, s6
	s_wait_loadcnt 0x6
	v_sub_nc_u64_e32 v[30:31], v[30:31], v[4:5]
	s_wait_loadcnt 0x5
	v_sub_nc_u64_e32 v[38:39], v[32:33], v[4:5]
	;; [unrolled: 2-line block ×4, first 2 shown]
	s_wait_kmcnt 0x0
	v_lshl_add_u64 v[40:41], v[30:31], 4, s[4:5]
	v_lshl_add_u64 v[52:53], v[38:39], 4, s[4:5]
	s_delay_alu instid0(VALU_DEP_4)
	v_lshl_add_u64 v[80:81], v[58:59], 4, s[4:5]
	global_load_b128 v[30:33], v[40:41], off
	s_clause 0x2
	global_load_b128 v[34:37], v[10:11], off offset:48
	global_load_b128 v[38:41], v[10:11], off offset:1040
	;; [unrolled: 1-line block ×3, first 2 shown]
	global_load_b128 v[46:49], v[52:53], off
	s_clause 0x3
	global_load_b128 v[50:53], v[10:11], off offset:1056
	global_load_b128 v[54:57], v[10:11], off offset:1072
	global_load_b128 v[58:61], v[10:11], off offset:2064
	global_load_b128 v[62:65], v[10:11], off offset:2048
	global_load_b128 v[66:69], v[80:81], off
	s_clause 0x1
	global_load_b128 v[70:73], v[10:11], off offset:2096
	global_load_b128 v[74:77], v[10:11], off offset:2080
	s_wait_loadcnt 0xb
	v_pk_fma_f32 v[12:13], v[26:27], v[30:31], v[12:13] op_sel_hi:[1,0,1]
	v_pk_fma_f32 v[16:17], v[28:29], v[30:31], v[16:17] op_sel_hi:[1,0,1]
	global_load_b128 v[26:29], v[10:11], off offset:3088
	v_pk_fma_f32 v[12:13], v[22:23], v[30:31], v[12:13] op_sel:[0,1,0]
	v_pk_fma_f32 v[16:17], v[24:25], v[30:31], v[16:17] op_sel:[0,1,0]
	v_lshl_add_u64 v[30:31], v[78:79], 4, s[4:5]
	global_load_b128 v[22:25], v[10:11], off offset:3072
	v_mov_b32_e32 v78, v33
	v_pk_fma_f32 v[12:13], v[18:19], v[32:33], v[12:13] op_sel_hi:[1,0,1]
	v_pk_fma_f32 v[20:21], v[20:21], v[32:33], v[16:17] op_sel_hi:[1,0,1]
	global_load_b128 v[16:19], v[30:31], off
	global_load_b128 v[30:33], v[10:11], off offset:3104
	s_wait_loadcnt 0xe
	v_pk_fma_f32 v[12:13], v[34:35], v[78:79], v[12:13] op_sel_hi:[1,0,1]
	s_wait_loadcnt 0xb
	s_delay_alu instid0(VALU_DEP_1) | instskip(NEXT) | instid1(VALU_DEP_1)
	v_pk_fma_f32 v[12:13], v[42:43], v[46:47], v[12:13] op_sel_hi:[1,0,1]
	v_pk_fma_f32 v[12:13], v[38:39], v[46:47], v[12:13] op_sel:[0,1,0]
	v_mov_b32_e32 v38, v49
	v_pk_fma_f32 v[20:21], v[36:37], v[78:79], v[20:21] op_sel_hi:[1,0,1]
	global_load_b128 v[34:37], v[10:11], off offset:3120
	s_wait_xcnt 0x0
	v_add_nc_u64_e32 v[10:11], 0x1000, v[10:11]
	s_wait_loadcnt 0xb
	v_pk_fma_f32 v[12:13], v[50:51], v[48:49], v[12:13] op_sel_hi:[1,0,1]
	v_pk_fma_f32 v[20:21], v[44:45], v[46:47], v[20:21] op_sel_hi:[1,0,1]
	s_wait_loadcnt 0xa
	s_delay_alu instid0(VALU_DEP_2) | instskip(NEXT) | instid1(VALU_DEP_2)
	v_pk_fma_f32 v[12:13], v[54:55], v[38:39], v[12:13] op_sel_hi:[1,0,1]
	v_pk_fma_f32 v[20:21], v[40:41], v[46:47], v[20:21] op_sel:[0,1,0]
	s_wait_loadcnt 0x7
	s_delay_alu instid0(VALU_DEP_2) | instskip(NEXT) | instid1(VALU_DEP_2)
	v_pk_fma_f32 v[12:13], v[62:63], v[66:67], v[12:13] op_sel_hi:[1,0,1]
	v_pk_fma_f32 v[20:21], v[52:53], v[48:49], v[20:21] op_sel_hi:[1,0,1]
	s_delay_alu instid0(VALU_DEP_2) | instskip(NEXT) | instid1(VALU_DEP_2)
	v_pk_fma_f32 v[12:13], v[58:59], v[66:67], v[12:13] op_sel:[0,1,0]
	v_pk_fma_f32 v[20:21], v[56:57], v[38:39], v[20:21] op_sel_hi:[1,0,1]
	v_mov_b32_e32 v38, v69
	s_wait_loadcnt 0x5
	s_delay_alu instid0(VALU_DEP_3) | instskip(NEXT) | instid1(VALU_DEP_3)
	v_pk_fma_f32 v[12:13], v[74:75], v[68:69], v[12:13] op_sel_hi:[1,0,1]
	v_pk_fma_f32 v[20:21], v[64:65], v[66:67], v[20:21] op_sel_hi:[1,0,1]
	s_delay_alu instid0(VALU_DEP_2) | instskip(NEXT) | instid1(VALU_DEP_2)
	v_pk_fma_f32 v[12:13], v[70:71], v[38:39], v[12:13] op_sel_hi:[1,0,1]
	v_pk_fma_f32 v[20:21], v[60:61], v[66:67], v[20:21] op_sel:[0,1,0]
	s_delay_alu instid0(VALU_DEP_1) | instskip(NEXT) | instid1(VALU_DEP_1)
	v_pk_fma_f32 v[20:21], v[76:77], v[68:69], v[20:21] op_sel_hi:[1,0,1]
	v_pk_fma_f32 v[20:21], v[72:73], v[38:39], v[20:21] op_sel_hi:[1,0,1]
	s_wait_loadcnt 0x2
	v_pk_fma_f32 v[12:13], v[22:23], v[16:17], v[12:13] op_sel_hi:[1,0,1]
	s_delay_alu instid0(VALU_DEP_2) | instskip(NEXT) | instid1(VALU_DEP_2)
	v_pk_fma_f32 v[20:21], v[24:25], v[16:17], v[20:21] op_sel_hi:[1,0,1]
	v_pk_fma_f32 v[12:13], v[26:27], v[16:17], v[12:13] op_sel:[0,1,0]
	s_delay_alu instid0(VALU_DEP_2) | instskip(SKIP_2) | instid1(VALU_DEP_3)
	v_pk_fma_f32 v[16:17], v[28:29], v[16:17], v[20:21] op_sel:[0,1,0]
	v_mov_b32_e32 v20, v19
	s_wait_loadcnt 0x1
	v_pk_fma_f32 v[12:13], v[30:31], v[18:19], v[12:13] op_sel_hi:[1,0,1]
	s_delay_alu instid0(VALU_DEP_3) | instskip(SKIP_1) | instid1(VALU_DEP_2)
	v_pk_fma_f32 v[16:17], v[32:33], v[18:19], v[16:17] op_sel_hi:[1,0,1]
	s_wait_loadcnt 0x0
	v_pk_fma_f32 v[12:13], v[34:35], v[20:21], v[12:13] op_sel_hi:[1,0,1]
	s_delay_alu instid0(VALU_DEP_2)
	v_pk_fma_f32 v[16:17], v[36:37], v[20:21], v[16:17] op_sel_hi:[1,0,1]
	s_and_not1_b32 exec_lo, exec_lo, s6
	s_cbranch_execnz .LBB42_35
; %bb.36:
	s_or_b32 exec_lo, exec_lo, s6
	s_delay_alu instid0(VALU_DEP_1)
	v_dual_mov_b32 v21, v17 :: v_dual_mov_b32 v20, v16
.LBB42_37:
	s_or_b32 exec_lo, exec_lo, s2
.LBB42_38:
	s_delay_alu instid0(SALU_CYCLE_1)
	s_or_b32 exec_lo, exec_lo, s3
.LBB42_39:
	v_mbcnt_lo_u32_b32 v1, -1, 0
	s_mov_b32 s2, -1
	s_delay_alu instid0(VALU_DEP_1) | instskip(SKIP_1) | instid1(VALU_DEP_1)
	v_xor_b32_e32 v8, 4, v1
	v_xor_b32_e32 v4, 8, v1
	v_cmp_gt_i32_e32 vcc_lo, 32, v4
	v_cndmask_b32_e32 v4, v1, v4, vcc_lo
	s_delay_alu instid0(VALU_DEP_4) | instskip(NEXT) | instid1(VALU_DEP_2)
	v_cmp_gt_i32_e32 vcc_lo, 32, v8
	v_lshlrev_b32_e32 v7, 2, v4
	v_cndmask_b32_e32 v8, v1, v8, vcc_lo
	ds_bpermute_b32 v4, v7, v12
	ds_bpermute_b32 v5, v7, v13
	;; [unrolled: 1-line block ×4, first 2 shown]
	v_lshlrev_b32_e32 v11, 2, v8
	s_wait_dscnt 0x2
	v_pk_add_f32 v[4:5], v[12:13], v[4:5]
	v_xor_b32_e32 v12, 2, v1
	s_wait_dscnt 0x0
	v_pk_add_f32 v[6:7], v[20:21], v[6:7]
	ds_bpermute_b32 v8, v11, v4
	ds_bpermute_b32 v9, v11, v5
	;; [unrolled: 1-line block ×4, first 2 shown]
	v_cmp_gt_i32_e32 vcc_lo, 32, v12
	v_cndmask_b32_e32 v12, v1, v12, vcc_lo
	s_delay_alu instid0(VALU_DEP_1)
	v_lshlrev_b32_e32 v12, 2, v12
	s_wait_dscnt 0x2
	v_pk_add_f32 v[4:5], v[4:5], v[8:9]
	s_wait_dscnt 0x0
	v_pk_add_f32 v[6:7], v[6:7], v[10:11]
	ds_bpermute_b32 v8, v12, v4
	ds_bpermute_b32 v9, v12, v5
	;; [unrolled: 1-line block ×4, first 2 shown]
	v_xor_b32_e32 v12, 1, v1
	s_delay_alu instid0(VALU_DEP_1) | instskip(SKIP_2) | instid1(VALU_DEP_2)
	v_cmp_gt_i32_e32 vcc_lo, 32, v12
	v_cndmask_b32_e32 v1, v1, v12, vcc_lo
	v_cmp_eq_u32_e32 vcc_lo, 15, v0
	v_lshlrev_b32_e32 v1, 2, v1
	s_wait_dscnt 0x2
	v_pk_add_f32 v[4:5], v[4:5], v[8:9]
	s_wait_dscnt 0x0
	v_pk_add_f32 v[8:9], v[6:7], v[10:11]
	ds_bpermute_b32 v6, v1, v4
	ds_bpermute_b32 v7, v1, v5
	ds_bpermute_b32 v10, v1, v8
	ds_bpermute_b32 v11, v1, v9
	s_and_b32 exec_lo, exec_lo, vcc_lo
	s_cbranch_execz .LBB42_10
; %bb.40:
	s_load_b64 s[0:1], s[0:1], 0x58
	s_wait_dscnt 0x2
	v_pk_add_f32 v[6:7], v[4:5], v[6:7]
	s_wait_dscnt 0x0
	v_pk_add_f32 v[4:5], v[8:9], v[10:11]
	s_cmp_eq_f32 s16, 0
	s_wait_kmcnt 0x0
	v_lshl_add_u64 v[0:1], v[2:3], 4, s[0:1]
	s_cbranch_scc0 .LBB42_42
; %bb.41:
	v_pk_mul_f32 v[8:9], s[12:13], v[6:7] op_sel_hi:[0,1]
	v_pk_mul_f32 v[10:11], s[12:13], v[4:5] op_sel_hi:[0,1]
	s_mov_b32 s2, 0
	global_store_b128 v[0:1], v[8:11], off
.LBB42_42:
	s_and_not1_b32 vcc_lo, exec_lo, s2
	s_cbranch_vccnz .LBB42_10
; %bb.43:
	global_load_b128 v[8:11], v[0:1], off
	v_pk_mul_f32 v[2:3], s[12:13], v[6:7] op_sel_hi:[0,1]
	v_pk_mul_f32 v[4:5], s[12:13], v[4:5] op_sel_hi:[0,1]
	s_wait_loadcnt 0x0
	s_delay_alu instid0(VALU_DEP_2) | instskip(NEXT) | instid1(VALU_DEP_2)
	v_pk_fma_f32 v[2:3], s[16:17], v[8:9], v[2:3] op_sel_hi:[0,1,1]
	v_pk_fma_f32 v[4:5], s[16:17], v[10:11], v[4:5] op_sel_hi:[0,1,1]
	global_store_b128 v[0:1], v[2:5], off
	s_sendmsg sendmsg(MSG_DEALLOC_VGPRS)
	s_endpgm
	.section	.rodata,"a",@progbits
	.p2align	6, 0x0
	.amdhsa_kernel _ZN9rocsparseL18bsrxmvn_4x4_kernelILj128ELj16EfllfffEEvT3_20rocsparse_direction_NS_24const_host_device_scalarIT1_EES1_PKS1_PKT2_SA_S7_PKT4_PKT5_S5_PT6_21rocsparse_index_base_b
		.amdhsa_group_segment_fixed_size 0
		.amdhsa_private_segment_fixed_size 0
		.amdhsa_kernarg_size 104
		.amdhsa_user_sgpr_count 2
		.amdhsa_user_sgpr_dispatch_ptr 0
		.amdhsa_user_sgpr_queue_ptr 0
		.amdhsa_user_sgpr_kernarg_segment_ptr 1
		.amdhsa_user_sgpr_dispatch_id 0
		.amdhsa_user_sgpr_kernarg_preload_length 0
		.amdhsa_user_sgpr_kernarg_preload_offset 0
		.amdhsa_user_sgpr_private_segment_size 0
		.amdhsa_wavefront_size32 1
		.amdhsa_uses_dynamic_stack 0
		.amdhsa_enable_private_segment 0
		.amdhsa_system_sgpr_workgroup_id_x 1
		.amdhsa_system_sgpr_workgroup_id_y 0
		.amdhsa_system_sgpr_workgroup_id_z 0
		.amdhsa_system_sgpr_workgroup_info 0
		.amdhsa_system_vgpr_workitem_id 0
		.amdhsa_next_free_vgpr 106
		.amdhsa_next_free_sgpr 18
		.amdhsa_named_barrier_count 0
		.amdhsa_reserve_vcc 1
		.amdhsa_float_round_mode_32 0
		.amdhsa_float_round_mode_16_64 0
		.amdhsa_float_denorm_mode_32 3
		.amdhsa_float_denorm_mode_16_64 3
		.amdhsa_fp16_overflow 0
		.amdhsa_memory_ordered 1
		.amdhsa_forward_progress 1
		.amdhsa_inst_pref_size 30
		.amdhsa_round_robin_scheduling 0
		.amdhsa_exception_fp_ieee_invalid_op 0
		.amdhsa_exception_fp_denorm_src 0
		.amdhsa_exception_fp_ieee_div_zero 0
		.amdhsa_exception_fp_ieee_overflow 0
		.amdhsa_exception_fp_ieee_underflow 0
		.amdhsa_exception_fp_ieee_inexact 0
		.amdhsa_exception_int_div_zero 0
	.end_amdhsa_kernel
	.section	.text._ZN9rocsparseL18bsrxmvn_4x4_kernelILj128ELj16EfllfffEEvT3_20rocsparse_direction_NS_24const_host_device_scalarIT1_EES1_PKS1_PKT2_SA_S7_PKT4_PKT5_S5_PT6_21rocsparse_index_base_b,"axG",@progbits,_ZN9rocsparseL18bsrxmvn_4x4_kernelILj128ELj16EfllfffEEvT3_20rocsparse_direction_NS_24const_host_device_scalarIT1_EES1_PKS1_PKT2_SA_S7_PKT4_PKT5_S5_PT6_21rocsparse_index_base_b,comdat
.Lfunc_end42:
	.size	_ZN9rocsparseL18bsrxmvn_4x4_kernelILj128ELj16EfllfffEEvT3_20rocsparse_direction_NS_24const_host_device_scalarIT1_EES1_PKS1_PKT2_SA_S7_PKT4_PKT5_S5_PT6_21rocsparse_index_base_b, .Lfunc_end42-_ZN9rocsparseL18bsrxmvn_4x4_kernelILj128ELj16EfllfffEEvT3_20rocsparse_direction_NS_24const_host_device_scalarIT1_EES1_PKS1_PKT2_SA_S7_PKT4_PKT5_S5_PT6_21rocsparse_index_base_b
                                        ; -- End function
	.set _ZN9rocsparseL18bsrxmvn_4x4_kernelILj128ELj16EfllfffEEvT3_20rocsparse_direction_NS_24const_host_device_scalarIT1_EES1_PKS1_PKT2_SA_S7_PKT4_PKT5_S5_PT6_21rocsparse_index_base_b.num_vgpr, 106
	.set _ZN9rocsparseL18bsrxmvn_4x4_kernelILj128ELj16EfllfffEEvT3_20rocsparse_direction_NS_24const_host_device_scalarIT1_EES1_PKS1_PKT2_SA_S7_PKT4_PKT5_S5_PT6_21rocsparse_index_base_b.num_agpr, 0
	.set _ZN9rocsparseL18bsrxmvn_4x4_kernelILj128ELj16EfllfffEEvT3_20rocsparse_direction_NS_24const_host_device_scalarIT1_EES1_PKS1_PKT2_SA_S7_PKT4_PKT5_S5_PT6_21rocsparse_index_base_b.numbered_sgpr, 18
	.set _ZN9rocsparseL18bsrxmvn_4x4_kernelILj128ELj16EfllfffEEvT3_20rocsparse_direction_NS_24const_host_device_scalarIT1_EES1_PKS1_PKT2_SA_S7_PKT4_PKT5_S5_PT6_21rocsparse_index_base_b.num_named_barrier, 0
	.set _ZN9rocsparseL18bsrxmvn_4x4_kernelILj128ELj16EfllfffEEvT3_20rocsparse_direction_NS_24const_host_device_scalarIT1_EES1_PKS1_PKT2_SA_S7_PKT4_PKT5_S5_PT6_21rocsparse_index_base_b.private_seg_size, 0
	.set _ZN9rocsparseL18bsrxmvn_4x4_kernelILj128ELj16EfllfffEEvT3_20rocsparse_direction_NS_24const_host_device_scalarIT1_EES1_PKS1_PKT2_SA_S7_PKT4_PKT5_S5_PT6_21rocsparse_index_base_b.uses_vcc, 1
	.set _ZN9rocsparseL18bsrxmvn_4x4_kernelILj128ELj16EfllfffEEvT3_20rocsparse_direction_NS_24const_host_device_scalarIT1_EES1_PKS1_PKT2_SA_S7_PKT4_PKT5_S5_PT6_21rocsparse_index_base_b.uses_flat_scratch, 0
	.set _ZN9rocsparseL18bsrxmvn_4x4_kernelILj128ELj16EfllfffEEvT3_20rocsparse_direction_NS_24const_host_device_scalarIT1_EES1_PKS1_PKT2_SA_S7_PKT4_PKT5_S5_PT6_21rocsparse_index_base_b.has_dyn_sized_stack, 0
	.set _ZN9rocsparseL18bsrxmvn_4x4_kernelILj128ELj16EfllfffEEvT3_20rocsparse_direction_NS_24const_host_device_scalarIT1_EES1_PKS1_PKT2_SA_S7_PKT4_PKT5_S5_PT6_21rocsparse_index_base_b.has_recursion, 0
	.set _ZN9rocsparseL18bsrxmvn_4x4_kernelILj128ELj16EfllfffEEvT3_20rocsparse_direction_NS_24const_host_device_scalarIT1_EES1_PKS1_PKT2_SA_S7_PKT4_PKT5_S5_PT6_21rocsparse_index_base_b.has_indirect_call, 0
	.section	.AMDGPU.csdata,"",@progbits
; Kernel info:
; codeLenInByte = 3836
; TotalNumSgprs: 20
; NumVgprs: 106
; ScratchSize: 0
; MemoryBound: 1
; FloatMode: 240
; IeeeMode: 1
; LDSByteSize: 0 bytes/workgroup (compile time only)
; SGPRBlocks: 0
; VGPRBlocks: 6
; NumSGPRsForWavesPerEU: 20
; NumVGPRsForWavesPerEU: 106
; NamedBarCnt: 0
; Occupancy: 9
; WaveLimiterHint : 1
; COMPUTE_PGM_RSRC2:SCRATCH_EN: 0
; COMPUTE_PGM_RSRC2:USER_SGPR: 2
; COMPUTE_PGM_RSRC2:TRAP_HANDLER: 0
; COMPUTE_PGM_RSRC2:TGID_X_EN: 1
; COMPUTE_PGM_RSRC2:TGID_Y_EN: 0
; COMPUTE_PGM_RSRC2:TGID_Z_EN: 0
; COMPUTE_PGM_RSRC2:TIDIG_COMP_CNT: 0
	.section	.text._ZN9rocsparseL18bsrxmvn_4x4_kernelILj128ELj32EfllfffEEvT3_20rocsparse_direction_NS_24const_host_device_scalarIT1_EES1_PKS1_PKT2_SA_S7_PKT4_PKT5_S5_PT6_21rocsparse_index_base_b,"axG",@progbits,_ZN9rocsparseL18bsrxmvn_4x4_kernelILj128ELj32EfllfffEEvT3_20rocsparse_direction_NS_24const_host_device_scalarIT1_EES1_PKS1_PKT2_SA_S7_PKT4_PKT5_S5_PT6_21rocsparse_index_base_b,comdat
	.globl	_ZN9rocsparseL18bsrxmvn_4x4_kernelILj128ELj32EfllfffEEvT3_20rocsparse_direction_NS_24const_host_device_scalarIT1_EES1_PKS1_PKT2_SA_S7_PKT4_PKT5_S5_PT6_21rocsparse_index_base_b ; -- Begin function _ZN9rocsparseL18bsrxmvn_4x4_kernelILj128ELj32EfllfffEEvT3_20rocsparse_direction_NS_24const_host_device_scalarIT1_EES1_PKS1_PKT2_SA_S7_PKT4_PKT5_S5_PT6_21rocsparse_index_base_b
	.p2align	8
	.type	_ZN9rocsparseL18bsrxmvn_4x4_kernelILj128ELj32EfllfffEEvT3_20rocsparse_direction_NS_24const_host_device_scalarIT1_EES1_PKS1_PKT2_SA_S7_PKT4_PKT5_S5_PT6_21rocsparse_index_base_b,@function
_ZN9rocsparseL18bsrxmvn_4x4_kernelILj128ELj32EfllfffEEvT3_20rocsparse_direction_NS_24const_host_device_scalarIT1_EES1_PKS1_PKT2_SA_S7_PKT4_PKT5_S5_PT6_21rocsparse_index_base_b: ; @_ZN9rocsparseL18bsrxmvn_4x4_kernelILj128ELj32EfllfffEEvT3_20rocsparse_direction_NS_24const_host_device_scalarIT1_EES1_PKS1_PKT2_SA_S7_PKT4_PKT5_S5_PT6_21rocsparse_index_base_b
; %bb.0:
	s_clause 0x2
	s_load_b64 s[2:3], s[0:1], 0x60
	s_load_b128 s[12:15], s[0:1], 0x10
	s_load_b64 s[16:17], s[0:1], 0x50
	s_wait_kmcnt 0x0
	s_bitcmp1_b32 s3, 0
	s_cselect_b32 s3, -1, 0
	s_delay_alu instid0(SALU_CYCLE_1)
	s_and_b32 vcc_lo, exec_lo, s3
	s_xor_b32 s3, s3, -1
	s_cbranch_vccnz .LBB43_2
; %bb.1:
	s_load_b32 s12, s[12:13], 0x0
.LBB43_2:
	s_and_not1_b32 vcc_lo, exec_lo, s3
	s_cbranch_vccnz .LBB43_4
; %bb.3:
	s_load_b32 s16, s[16:17], 0x0
.LBB43_4:
	s_wait_kmcnt 0x0
	s_cmp_neq_f32 s12, 0
	s_mov_b32 s6, 0
	s_cselect_b32 s3, -1, 0
	s_cmp_neq_f32 s16, 1.0
	s_cselect_b32 s4, -1, 0
	s_delay_alu instid0(SALU_CYCLE_1) | instskip(NEXT) | instid1(SALU_CYCLE_1)
	s_or_b32 s3, s3, s4
	s_and_not1_b32 vcc_lo, exec_lo, s3
	s_cbranch_vccnz .LBB43_10
; %bb.5:
	s_load_b64 s[4:5], s[0:1], 0x20
	s_bfe_u32 s3, ttmp6, 0x4000c
	s_and_b32 s7, ttmp6, 15
	s_add_co_i32 s3, s3, 1
	s_getreg_b32 s8, hwreg(HW_REG_IB_STS2, 6, 4)
	s_mul_i32 s3, ttmp9, s3
	v_dual_lshrrev_b32 v1, 5, v0 :: v_dual_mov_b32 v7, 0
	s_add_co_i32 s7, s7, s3
	s_cmp_eq_u32 s8, 0
	s_cselect_b32 s3, ttmp9, s7
	s_delay_alu instid0(VALU_DEP_1) | instid1(SALU_CYCLE_1)
	v_lshl_or_b32 v6, s3, 2, v1
	s_wait_kmcnt 0x0
	s_cmp_lg_u64 s[4:5], 0
	s_cbranch_scc0 .LBB43_11
; %bb.6:
	s_mov_b32 s7, 0
                                        ; implicit-def: $vgpr2_vgpr3
                                        ; implicit-def: $vgpr4_vgpr5
	s_mov_b32 s3, exec_lo
	v_cmpx_gt_i64_e64 s[14:15], v[6:7]
	s_xor_b32 s8, exec_lo, s3
	s_cbranch_execz .LBB43_8
; %bb.7:
	v_lshl_add_u64 v[2:3], v[6:7], 3, s[4:5]
	s_mov_b32 s3, 0
	s_mov_b32 s6, exec_lo
	v_mov_b64_e32 v[4:5], s[2:3]
	global_load_b64 v[2:3], v[2:3], off
	s_wait_loadcnt 0x0
	v_sub_nc_u64_e64 v[2:3], v[2:3], s[2:3]
.LBB43_8:
	s_or_b32 exec_lo, exec_lo, s8
	s_delay_alu instid0(SALU_CYCLE_1)
	s_and_b32 vcc_lo, exec_lo, s7
	s_cbranch_vccnz .LBB43_12
.LBB43_9:
	s_and_saveexec_b32 s2, s6
	s_cbranch_execnz .LBB43_15
.LBB43_10:
	s_sendmsg sendmsg(MSG_DEALLOC_VGPRS)
	s_endpgm
.LBB43_11:
                                        ; implicit-def: $vgpr2_vgpr3
                                        ; implicit-def: $vgpr4_vgpr5
	s_cbranch_execz .LBB43_9
.LBB43_12:
	s_load_b64 s[4:5], s[0:1], 0x0
	s_wait_kmcnt 0x0
	v_cmp_gt_i64_e32 vcc_lo, s[4:5], v[6:7]
	s_and_saveexec_b32 s4, vcc_lo
; %bb.13:
	s_mov_b32 s3, 0
	s_or_b32 s6, s6, exec_lo
; %bb.14:
	s_or_b32 exec_lo, exec_lo, s4
	v_mov_b64_e32 v[4:5], s[2:3]
	v_mov_b64_e32 v[2:3], v[6:7]
	s_and_saveexec_b32 s2, s6
	s_cbranch_execz .LBB43_10
.LBB43_15:
	s_load_b256 s[4:11], s[0:1], 0x28
	s_delay_alu instid0(VALU_DEP_1) | instskip(SKIP_3) | instid1(VALU_DEP_2)
	v_lshlrev_b64_e32 v[6:7], 3, v[2:3]
	v_dual_mov_b32 v1, 0 :: v_dual_bitop2_b32 v0, 31, v0 bitop3:0x40
	s_load_b32 s3, s[0:1], 0x8
	s_wait_kmcnt 0x0
	v_add_nc_u64_e32 v[8:9], s[4:5], v[6:7]
	v_add_nc_u64_e32 v[6:7], s[6:7], v[6:7]
	s_cmp_eq_u64 s[6:7], 0
	s_load_b64 s[4:5], s[0:1], 0x48
	s_cselect_b32 vcc_lo, -1, 0
	s_cmp_eq_u32 s3, 1
	global_load_b64 v[14:15], v[8:9], off
	s_wait_xcnt 0x0
	v_add_nc_u64_e32 v[8:9], 8, v[8:9]
	s_delay_alu instid0(VALU_DEP_1) | instskip(SKIP_4) | instid1(VALU_DEP_1)
	v_dual_cndmask_b32 v7, v7, v9 :: v_dual_cndmask_b32 v6, v6, v8
	global_load_b64 v[8:9], v[6:7], off
	s_wait_loadcnt 0x1
	s_wait_xcnt 0x0
	v_sub_nc_u64_e32 v[6:7], v[14:15], v[4:5]
	v_add_nc_u64_e32 v[6:7], v[6:7], v[0:1]
	s_wait_loadcnt 0x0
	v_sub_nc_u64_e32 v[8:9], v[8:9], v[4:5]
	s_delay_alu instid0(VALU_DEP_2) | instskip(NEXT) | instid1(VALU_DEP_2)
	v_lshlrev_b64_e32 v[10:11], 6, v[6:7]
	v_cmp_lt_i64_e64 s2, v[6:7], v[8:9]
	s_delay_alu instid0(VALU_DEP_2)
	v_add_nc_u64_e32 v[10:11], s[10:11], v[10:11]
	s_cbranch_scc1 .LBB43_27
; %bb.16:
	v_dual_mov_b32 v21, v1 :: v_dual_mov_b32 v20, v1
	v_dual_mov_b32 v13, v1 :: v_dual_mov_b32 v12, v1
	s_and_saveexec_b32 s3, s2
	s_cbranch_execz .LBB43_26
; %bb.17:
	v_dual_mov_b32 v13, v1 :: v_dual_bitop2_b32 v12, 32, v0 bitop3:0x54
	v_sub_nc_u64_e32 v[16:17], v[4:5], v[0:1]
	v_not_b32_e32 v19, v15
	v_not_b32_e32 v18, v14
	v_mov_b32_e32 v20, 0
	v_sub_nc_u64_e32 v[12:13], v[12:13], v[4:5]
	v_mov_b64_e32 v[22:23], 0
	s_delay_alu instid0(VALU_DEP_4) | instskip(SKIP_1) | instid1(VALU_DEP_4)
	v_add_nc_u64_e32 v[16:17], v[16:17], v[18:19]
	v_mov_b64_e32 v[18:19], v[10:11]
	v_add_nc_u64_e32 v[12:13], v[12:13], v[14:15]
	s_delay_alu instid0(VALU_DEP_1) | instskip(NEXT) | instid1(VALU_DEP_1)
	v_max_i64 v[12:13], v[12:13], v[8:9]
	v_add_nc_u64_e32 v[24:25], v[16:17], v[12:13]
	v_mov_b32_e32 v17, v20
	v_mov_b64_e32 v[12:13], 0
	s_delay_alu instid0(VALU_DEP_3) | instskip(NEXT) | instid1(VALU_DEP_1)
	v_and_b32_e32 v16, 0x60, v24
	v_cmp_ne_u64_e32 vcc_lo, 0x60, v[16:17]
	v_mov_b64_e32 v[16:17], v[6:7]
	s_and_saveexec_b32 s6, vcc_lo
	s_cbranch_execz .LBB43_21
; %bb.18:
	v_dual_mov_b32 v13, v20 :: v_dual_lshrrev_b32 v12, 5, v24
	v_mov_b64_e32 v[18:19], v[10:11]
	v_mov_b64_e32 v[16:17], v[6:7]
	v_lshl_add_u64 v[22:23], v[6:7], 3, s[8:9]
	s_delay_alu instid0(VALU_DEP_4) | instskip(SKIP_1) | instid1(VALU_DEP_1)
	v_dual_mov_b32 v21, v20 :: v_dual_add_nc_u32 v12, 1, v12
	s_mov_b32 s7, 0
	v_and_b32_e32 v12, 3, v12
	s_delay_alu instid0(VALU_DEP_1)
	v_sub_nc_u64_e32 v[26:27], 0, v[12:13]
	v_mov_b32_e32 v12, v20
.LBB43_19:                              ; =>This Inner Loop Header: Depth=1
	global_load_b64 v[28:29], v[22:23], off
	v_add_nc_u64_e32 v[26:27], 1, v[26:27]
	v_add_nc_u64_e32 v[16:17], 32, v[16:17]
	s_wait_xcnt 0x0
	v_add_nc_u64_e32 v[22:23], 0x100, v[22:23]
	s_delay_alu instid0(VALU_DEP_3)
	v_cmp_eq_u64_e32 vcc_lo, 0, v[26:27]
	s_or_b32 s7, vcc_lo, s7
	s_wait_loadcnt 0x0
	v_sub_nc_u64_e32 v[44:45], v[28:29], v[4:5]
	s_clause 0x3
	global_load_b128 v[28:31], v[18:19], off offset:16
	global_load_b128 v[32:35], v[18:19], off
	global_load_b128 v[36:39], v[18:19], off offset:48
	global_load_b128 v[40:43], v[18:19], off offset:32
	s_wait_xcnt 0x0
	v_add_nc_u64_e32 v[18:19], 0x800, v[18:19]
	s_wait_kmcnt 0x0
	v_lshl_add_u64 v[44:45], v[44:45], 4, s[4:5]
	global_load_b128 v[44:47], v[44:45], off
	s_wait_loadcnt 0x3
	v_dual_mov_b32 v49, v28 :: v_dual_mov_b32 v48, v32
	s_wait_loadcnt 0x1
	v_dual_mov_b32 v51, v36 :: v_dual_mov_b32 v50, v40
	v_dual_mov_b32 v28, v33 :: v_dual_mov_b32 v32, v34
	;; [unrolled: 1-line block ×5, first 2 shown]
	s_wait_loadcnt 0x0
	v_pk_fma_f32 v[12:13], v[48:49], v[44:45], v[12:13] op_sel_hi:[1,0,1]
	v_pk_fma_f32 v[20:21], v[50:51], v[44:45], v[20:21] op_sel_hi:[1,0,1]
	s_delay_alu instid0(VALU_DEP_2) | instskip(NEXT) | instid1(VALU_DEP_2)
	v_pk_fma_f32 v[12:13], v[28:29], v[44:45], v[12:13] op_sel:[0,1,0]
	v_pk_fma_f32 v[20:21], v[36:37], v[44:45], v[20:21] op_sel:[0,1,0]
	v_mov_b32_e32 v28, v47
	s_delay_alu instid0(VALU_DEP_3) | instskip(NEXT) | instid1(VALU_DEP_3)
	v_pk_fma_f32 v[12:13], v[32:33], v[46:47], v[12:13] op_sel_hi:[1,0,1]
	v_pk_fma_f32 v[20:21], v[40:41], v[46:47], v[20:21] op_sel_hi:[1,0,1]
	s_delay_alu instid0(VALU_DEP_2) | instskip(NEXT) | instid1(VALU_DEP_2)
	v_pk_fma_f32 v[12:13], v[30:31], v[28:29], v[12:13] op_sel_hi:[1,0,1]
	v_pk_fma_f32 v[20:21], v[38:39], v[28:29], v[20:21] op_sel_hi:[1,0,1]
	s_and_not1_b32 exec_lo, exec_lo, s7
	s_cbranch_execnz .LBB43_19
; %bb.20:
	s_or_b32 exec_lo, exec_lo, s7
	s_delay_alu instid0(VALU_DEP_1)
	v_mov_b64_e32 v[22:23], v[20:21]
.LBB43_21:
	s_or_b32 exec_lo, exec_lo, s6
	s_delay_alu instid0(SALU_CYCLE_1)
	s_mov_b32 s6, exec_lo
	v_cmpx_lt_u64_e32 0x5f, v[24:25]
	s_cbranch_execz .LBB43_25
; %bb.22:
	v_lshl_add_u64 v[20:21], v[16:17], 3, s[8:9]
	s_mov_b32 s7, 0
	s_delay_alu instid0(VALU_DEP_1)
	v_add_nc_u64_e32 v[20:21], 0x200, v[20:21]
.LBB43_23:                              ; =>This Inner Loop Header: Depth=1
	s_clause 0x2
	global_load_b64 v[40:41], v[20:21], off offset:-512
	global_load_b64 v[48:49], v[20:21], off offset:-256
	global_load_b64 v[68:69], v[20:21], off
	s_clause 0x3
	global_load_b128 v[24:27], v[18:19], off
	global_load_b128 v[28:31], v[18:19], off offset:16
	global_load_b128 v[32:35], v[18:19], off offset:32
	;; [unrolled: 1-line block ×3, first 2 shown]
	global_load_b64 v[96:97], v[20:21], off offset:256
	v_add_nc_u64_e32 v[16:17], 0x80, v[16:17]
	s_wait_xcnt 0x0
	v_add_nc_u64_e32 v[20:21], 0x400, v[20:21]
	s_delay_alu instid0(VALU_DEP_2)
	v_cmp_ge_i64_e32 vcc_lo, v[16:17], v[8:9]
	s_or_b32 s7, vcc_lo, s7
	s_wait_loadcnt 0x7
	v_sub_nc_u64_e32 v[40:41], v[40:41], v[4:5]
	s_wait_loadcnt 0x6
	v_sub_nc_u64_e32 v[60:61], v[48:49], v[4:5]
	;; [unrolled: 2-line block ×3, first 2 shown]
	s_wait_loadcnt 0x3
	v_dual_mov_b32 v98, v24 :: v_dual_mov_b32 v99, v28
	v_dual_mov_b32 v28, v25 :: v_dual_mov_b32 v100, v26
	s_wait_kmcnt 0x0
	v_lshl_add_u64 v[50:51], v[40:41], 4, s[4:5]
	v_lshl_add_u64 v[70:71], v[60:61], 4, s[4:5]
	;; [unrolled: 1-line block ×3, first 2 shown]
	s_wait_loadcnt 0x0
	v_sub_nc_u64_e32 v[96:97], v[96:97], v[4:5]
	v_dual_mov_b32 v101, v30 :: v_dual_mov_b32 v30, v27
	global_load_b128 v[40:43], v[50:51], off
	s_clause 0x3
	global_load_b128 v[44:47], v[18:19], off offset:2048
	global_load_b128 v[48:51], v[18:19], off offset:2064
	;; [unrolled: 1-line block ×4, first 2 shown]
	global_load_b128 v[60:63], v[70:71], off
	s_clause 0x6
	global_load_b128 v[64:67], v[18:19], off offset:4096
	global_load_b128 v[68:71], v[18:19], off offset:4112
	;; [unrolled: 1-line block ×7, first 2 shown]
	global_load_b128 v[92:95], v[92:93], off
	v_dual_mov_b32 v102, v32 :: v_dual_mov_b32 v103, v36
	v_dual_mov_b32 v36, v33 :: v_dual_mov_b32 v104, v34
	global_load_b128 v[24:27], v[18:19], off offset:6192
	v_lshl_add_u64 v[32:33], v[96:97], 4, s[4:5]
	v_dual_mov_b32 v105, v38 :: v_dual_mov_b32 v38, v35
	s_wait_xcnt 0x0
	v_add_nc_u64_e32 v[18:19], 0x2000, v[18:19]
	global_load_b128 v[32:35], v[32:33], off
	s_wait_loadcnt 0xf
	v_pk_fma_f32 v[12:13], v[98:99], v[40:41], v[12:13] op_sel_hi:[1,0,1]
	v_pk_fma_f32 v[22:23], v[102:103], v[40:41], v[22:23] op_sel_hi:[1,0,1]
	s_wait_loadcnt 0xd
	v_dual_mov_b32 v96, v44 :: v_dual_mov_b32 v97, v48
	v_mov_b32_e32 v48, v45
	v_pk_fma_f32 v[12:13], v[28:29], v[40:41], v[12:13] op_sel:[0,1,0]
	v_pk_fma_f32 v[22:23], v[36:37], v[40:41], v[22:23] op_sel:[0,1,0]
	v_dual_mov_b32 v28, v43 :: v_dual_mov_b32 v36, v46
	s_wait_loadcnt 0xc
	v_mov_b32_e32 v40, v52
	v_pk_fma_f32 v[12:13], v[100:101], v[42:43], v[12:13] op_sel_hi:[1,0,1]
	v_pk_fma_f32 v[22:23], v[104:105], v[42:43], v[22:23] op_sel_hi:[1,0,1]
	s_wait_loadcnt 0xb
	v_dual_mov_b32 v41, v56 :: v_dual_mov_b32 v37, v50
	v_dual_mov_b32 v50, v47 :: v_dual_mov_b32 v56, v53
	v_pk_fma_f32 v[12:13], v[30:31], v[28:29], v[12:13] op_sel_hi:[1,0,1]
	v_pk_fma_f32 v[22:23], v[38:39], v[28:29], v[22:23] op_sel_hi:[1,0,1]
	v_dual_mov_b32 v28, v54 :: v_dual_mov_b32 v29, v58
	s_wait_loadcnt 0x9
	v_dual_mov_b32 v58, v55 :: v_dual_mov_b32 v30, v64
	v_pk_fma_f32 v[12:13], v[96:97], v[60:61], v[12:13] op_sel_hi:[1,0,1]
	v_pk_fma_f32 v[22:23], v[40:41], v[60:61], v[22:23] op_sel_hi:[1,0,1]
	s_wait_loadcnt 0x8
	v_dual_mov_b32 v31, v68 :: v_dual_mov_b32 v38, v63
	v_mov_b32_e32 v68, v65
	v_pk_fma_f32 v[12:13], v[48:49], v[60:61], v[12:13] op_sel:[0,1,0]
	v_pk_fma_f32 v[22:23], v[56:57], v[60:61], v[22:23] op_sel:[0,1,0]
	s_delay_alu instid0(VALU_DEP_2) | instskip(NEXT) | instid1(VALU_DEP_2)
	v_pk_fma_f32 v[12:13], v[36:37], v[62:63], v[12:13] op_sel_hi:[1,0,1]
	v_pk_fma_f32 v[22:23], v[28:29], v[62:63], v[22:23] op_sel_hi:[1,0,1]
	s_wait_loadcnt 0x5
	v_dual_mov_b32 v28, v76 :: v_dual_mov_b32 v29, v80
	v_mov_b32_e32 v36, v66
	v_pk_fma_f32 v[12:13], v[50:51], v[38:39], v[12:13] op_sel_hi:[1,0,1]
	v_pk_fma_f32 v[22:23], v[58:59], v[38:39], v[22:23] op_sel_hi:[1,0,1]
	v_dual_mov_b32 v37, v70 :: v_dual_mov_b32 v80, v77
	v_mov_b32_e32 v70, v67
	s_wait_loadcnt 0x2
	v_pk_fma_f32 v[12:13], v[30:31], v[92:93], v[12:13] op_sel_hi:[1,0,1]
	v_pk_fma_f32 v[22:23], v[28:29], v[92:93], v[22:23] op_sel_hi:[1,0,1]
	v_dual_mov_b32 v28, v78 :: v_dual_mov_b32 v29, v82
	v_mov_b32_e32 v30, v84
	s_delay_alu instid0(VALU_DEP_4) | instskip(NEXT) | instid1(VALU_DEP_4)
	v_pk_fma_f32 v[12:13], v[68:69], v[92:93], v[12:13] op_sel:[0,1,0]
	v_pk_fma_f32 v[22:23], v[80:81], v[92:93], v[22:23] op_sel:[0,1,0]
	v_dual_mov_b32 v82, v79 :: v_dual_mov_b32 v38, v95
	v_mov_b32_e32 v31, v72
	s_delay_alu instid0(VALU_DEP_4) | instskip(NEXT) | instid1(VALU_DEP_4)
	v_pk_fma_f32 v[12:13], v[36:37], v[94:95], v[12:13] op_sel_hi:[1,0,1]
	v_pk_fma_f32 v[22:23], v[28:29], v[94:95], v[22:23] op_sel_hi:[1,0,1]
	s_wait_loadcnt 0x1
	v_dual_mov_b32 v28, v88 :: v_dual_mov_b32 v29, v24
	v_mov_b32_e32 v72, v85
	v_pk_fma_f32 v[12:13], v[70:71], v[38:39], v[12:13] op_sel_hi:[1,0,1]
	v_pk_fma_f32 v[22:23], v[82:83], v[38:39], v[22:23] op_sel_hi:[1,0,1]
	v_dual_mov_b32 v36, v86 :: v_dual_mov_b32 v24, v89
	v_mov_b32_e32 v37, v74
	s_wait_loadcnt 0x0
	v_pk_fma_f32 v[12:13], v[30:31], v[32:33], v[12:13] op_sel_hi:[1,0,1]
	v_pk_fma_f32 v[22:23], v[28:29], v[32:33], v[22:23] op_sel_hi:[1,0,1]
	v_dual_mov_b32 v28, v90 :: v_dual_mov_b32 v29, v26
	v_mov_b32_e32 v74, v87
	s_delay_alu instid0(VALU_DEP_4) | instskip(NEXT) | instid1(VALU_DEP_4)
	v_pk_fma_f32 v[12:13], v[72:73], v[32:33], v[12:13] op_sel:[0,1,0]
	v_pk_fma_f32 v[22:23], v[24:25], v[32:33], v[22:23] op_sel:[0,1,0]
	v_dual_mov_b32 v26, v91 :: v_dual_mov_b32 v24, v35
	s_delay_alu instid0(VALU_DEP_3) | instskip(NEXT) | instid1(VALU_DEP_3)
	v_pk_fma_f32 v[12:13], v[36:37], v[34:35], v[12:13] op_sel_hi:[1,0,1]
	v_pk_fma_f32 v[22:23], v[28:29], v[34:35], v[22:23] op_sel_hi:[1,0,1]
	s_delay_alu instid0(VALU_DEP_2) | instskip(NEXT) | instid1(VALU_DEP_2)
	v_pk_fma_f32 v[12:13], v[74:75], v[24:25], v[12:13] op_sel_hi:[1,0,1]
	v_pk_fma_f32 v[22:23], v[26:27], v[24:25], v[22:23] op_sel_hi:[1,0,1]
	s_and_not1_b32 exec_lo, exec_lo, s7
	s_cbranch_execnz .LBB43_23
; %bb.24:
	s_or_b32 exec_lo, exec_lo, s7
	s_delay_alu instid0(VALU_DEP_1)
	v_dual_mov_b32 v21, v23 :: v_dual_mov_b32 v20, v22
.LBB43_25:
	s_or_b32 exec_lo, exec_lo, s6
.LBB43_26:
	s_delay_alu instid0(SALU_CYCLE_1)
	s_or_b32 exec_lo, exec_lo, s3
	s_cbranch_execz .LBB43_28
	s_branch .LBB43_39
.LBB43_27:
                                        ; implicit-def: $vgpr21
                                        ; implicit-def: $vgpr13
.LBB43_28:
	v_dual_mov_b32 v21, 0 :: v_dual_mov_b32 v20, 0
	v_dual_mov_b32 v13, 0 :: v_dual_mov_b32 v12, 0
	s_and_saveexec_b32 s3, s2
	s_cbranch_execz .LBB43_38
; %bb.29:
	v_dual_mov_b32 v13, v1 :: v_dual_bitop2_b32 v12, 32, v0 bitop3:0x54
	v_sub_nc_u64_e32 v[16:17], v[4:5], v[0:1]
	v_mov_b32_e32 v20, 0
	s_delay_alu instid0(VALU_DEP_3) | instskip(NEXT) | instid1(VALU_DEP_1)
	v_sub_nc_u64_e32 v[12:13], v[12:13], v[4:5]
	v_add_nc_u64_e32 v[12:13], v[12:13], v[14:15]
	v_not_b32_e32 v15, v15
	v_not_b32_e32 v14, v14
	s_delay_alu instid0(VALU_DEP_1) | instskip(NEXT) | instid1(VALU_DEP_4)
	v_add_nc_u64_e32 v[14:15], v[16:17], v[14:15]
	v_max_i64 v[12:13], v[12:13], v[8:9]
	v_mov_b32_e32 v17, v20
	s_delay_alu instid0(VALU_DEP_2) | instskip(SKIP_1) | instid1(VALU_DEP_2)
	v_add_nc_u64_e32 v[14:15], v[14:15], v[12:13]
	v_mov_b64_e32 v[12:13], 0
	v_and_b32_e32 v16, 0x60, v14
	s_delay_alu instid0(VALU_DEP_1)
	v_cmp_ne_u64_e32 vcc_lo, 0x60, v[16:17]
	v_mov_b64_e32 v[16:17], 0
	s_and_saveexec_b32 s2, vcc_lo
	s_cbranch_execz .LBB43_33
; %bb.30:
	v_dual_lshrrev_b32 v1, 5, v14 :: v_dual_mov_b32 v13, v20
	v_lshl_add_u64 v[16:17], v[6:7], 3, s[8:9]
	s_mov_b32 s6, 0
	s_delay_alu instid0(VALU_DEP_2) | instskip(NEXT) | instid1(VALU_DEP_1)
	v_dual_mov_b32 v21, v20 :: v_dual_add_nc_u32 v1, 1, v1
	v_and_b32_e32 v12, 3, v1
	s_delay_alu instid0(VALU_DEP_1)
	v_sub_nc_u64_e32 v[18:19], 0, v[12:13]
	v_mov_b32_e32 v12, v20
.LBB43_31:                              ; =>This Inner Loop Header: Depth=1
	global_load_b64 v[22:23], v[16:17], off
	v_add_nc_u64_e32 v[18:19], 1, v[18:19]
	v_add_nc_u64_e32 v[6:7], 32, v[6:7]
	s_wait_xcnt 0x0
	v_add_nc_u64_e32 v[16:17], 0x100, v[16:17]
	s_delay_alu instid0(VALU_DEP_3) | instskip(SKIP_4) | instid1(VALU_DEP_1)
	v_cmp_eq_u64_e32 vcc_lo, 0, v[18:19]
	s_or_b32 s6, vcc_lo, s6
	s_wait_loadcnt 0x0
	v_sub_nc_u64_e32 v[22:23], v[22:23], v[4:5]
	s_wait_kmcnt 0x0
	v_lshl_add_u64 v[42:43], v[22:23], 4, s[4:5]
	s_clause 0x1
	global_load_b128 v[22:25], v[10:11], off offset:16
	global_load_b128 v[26:29], v[10:11], off
	global_load_b128 v[30:33], v[42:43], off
	s_clause 0x1
	global_load_b128 v[34:37], v[10:11], off offset:32
	global_load_b128 v[38:41], v[10:11], off offset:48
	s_wait_xcnt 0x0
	v_add_nc_u64_e32 v[10:11], 0x800, v[10:11]
	s_wait_loadcnt 0x2
	v_pk_fma_f32 v[12:13], v[26:27], v[30:31], v[12:13] op_sel_hi:[1,0,1]
	v_pk_fma_f32 v[20:21], v[28:29], v[30:31], v[20:21] op_sel_hi:[1,0,1]
	s_delay_alu instid0(VALU_DEP_2) | instskip(NEXT) | instid1(VALU_DEP_2)
	v_pk_fma_f32 v[12:13], v[22:23], v[30:31], v[12:13] op_sel:[0,1,0]
	v_pk_fma_f32 v[20:21], v[24:25], v[30:31], v[20:21] op_sel:[0,1,0]
	v_mov_b32_e32 v22, v33
	s_wait_loadcnt 0x1
	s_delay_alu instid0(VALU_DEP_3) | instskip(NEXT) | instid1(VALU_DEP_3)
	v_pk_fma_f32 v[12:13], v[34:35], v[32:33], v[12:13] op_sel_hi:[1,0,1]
	v_pk_fma_f32 v[20:21], v[36:37], v[32:33], v[20:21] op_sel_hi:[1,0,1]
	s_wait_loadcnt 0x0
	s_delay_alu instid0(VALU_DEP_2) | instskip(NEXT) | instid1(VALU_DEP_2)
	v_pk_fma_f32 v[12:13], v[38:39], v[22:23], v[12:13] op_sel_hi:[1,0,1]
	v_pk_fma_f32 v[20:21], v[40:41], v[22:23], v[20:21] op_sel_hi:[1,0,1]
	s_and_not1_b32 exec_lo, exec_lo, s6
	s_cbranch_execnz .LBB43_31
; %bb.32:
	s_or_b32 exec_lo, exec_lo, s6
	s_delay_alu instid0(VALU_DEP_1)
	v_mov_b64_e32 v[16:17], v[20:21]
.LBB43_33:
	s_or_b32 exec_lo, exec_lo, s2
	s_delay_alu instid0(SALU_CYCLE_1)
	s_mov_b32 s2, exec_lo
	v_cmpx_lt_u64_e32 0x5f, v[14:15]
	s_cbranch_execz .LBB43_37
; %bb.34:
	v_lshl_add_u64 v[14:15], v[6:7], 3, s[8:9]
	s_mov_b32 s6, 0
	s_delay_alu instid0(VALU_DEP_1)
	v_add_nc_u64_e32 v[14:15], 0x200, v[14:15]
.LBB43_35:                              ; =>This Inner Loop Header: Depth=1
	s_clause 0x2
	global_load_b64 v[30:31], v[14:15], off offset:-512
	global_load_b64 v[32:33], v[14:15], off offset:-256
	global_load_b64 v[50:51], v[14:15], off
	s_clause 0x2
	global_load_b128 v[18:21], v[10:11], off offset:32
	global_load_b128 v[22:25], v[10:11], off offset:16
	global_load_b128 v[26:29], v[10:11], off
	global_load_b64 v[78:79], v[14:15], off offset:256
	v_add_nc_u64_e32 v[6:7], 0x80, v[6:7]
	s_wait_xcnt 0x0
	v_add_nc_u64_e32 v[14:15], 0x400, v[14:15]
	s_delay_alu instid0(VALU_DEP_2)
	v_cmp_ge_i64_e32 vcc_lo, v[6:7], v[8:9]
	s_or_b32 s6, vcc_lo, s6
	s_wait_loadcnt 0x6
	v_sub_nc_u64_e32 v[30:31], v[30:31], v[4:5]
	s_wait_loadcnt 0x5
	v_sub_nc_u64_e32 v[38:39], v[32:33], v[4:5]
	;; [unrolled: 2-line block ×4, first 2 shown]
	s_wait_kmcnt 0x0
	v_lshl_add_u64 v[40:41], v[30:31], 4, s[4:5]
	v_lshl_add_u64 v[52:53], v[38:39], 4, s[4:5]
	s_delay_alu instid0(VALU_DEP_4)
	v_lshl_add_u64 v[80:81], v[58:59], 4, s[4:5]
	global_load_b128 v[30:33], v[40:41], off
	s_clause 0x2
	global_load_b128 v[34:37], v[10:11], off offset:48
	global_load_b128 v[38:41], v[10:11], off offset:2064
	global_load_b128 v[42:45], v[10:11], off offset:2048
	global_load_b128 v[46:49], v[52:53], off
	s_clause 0x3
	global_load_b128 v[50:53], v[10:11], off offset:2080
	global_load_b128 v[54:57], v[10:11], off offset:2096
	;; [unrolled: 1-line block ×4, first 2 shown]
	global_load_b128 v[66:69], v[80:81], off
	s_clause 0x1
	global_load_b128 v[70:73], v[10:11], off offset:4144
	global_load_b128 v[74:77], v[10:11], off offset:4128
	s_wait_loadcnt 0xb
	v_pk_fma_f32 v[12:13], v[26:27], v[30:31], v[12:13] op_sel_hi:[1,0,1]
	v_pk_fma_f32 v[16:17], v[28:29], v[30:31], v[16:17] op_sel_hi:[1,0,1]
	global_load_b128 v[26:29], v[10:11], off offset:6160
	v_pk_fma_f32 v[12:13], v[22:23], v[30:31], v[12:13] op_sel:[0,1,0]
	v_pk_fma_f32 v[16:17], v[24:25], v[30:31], v[16:17] op_sel:[0,1,0]
	v_lshl_add_u64 v[30:31], v[78:79], 4, s[4:5]
	global_load_b128 v[22:25], v[10:11], off offset:6144
	v_mov_b32_e32 v78, v33
	v_pk_fma_f32 v[12:13], v[18:19], v[32:33], v[12:13] op_sel_hi:[1,0,1]
	v_pk_fma_f32 v[20:21], v[20:21], v[32:33], v[16:17] op_sel_hi:[1,0,1]
	global_load_b128 v[16:19], v[30:31], off
	global_load_b128 v[30:33], v[10:11], off offset:6176
	s_wait_loadcnt 0xe
	v_pk_fma_f32 v[12:13], v[34:35], v[78:79], v[12:13] op_sel_hi:[1,0,1]
	s_wait_loadcnt 0xb
	s_delay_alu instid0(VALU_DEP_1) | instskip(NEXT) | instid1(VALU_DEP_1)
	v_pk_fma_f32 v[12:13], v[42:43], v[46:47], v[12:13] op_sel_hi:[1,0,1]
	v_pk_fma_f32 v[12:13], v[38:39], v[46:47], v[12:13] op_sel:[0,1,0]
	v_mov_b32_e32 v38, v49
	v_pk_fma_f32 v[20:21], v[36:37], v[78:79], v[20:21] op_sel_hi:[1,0,1]
	global_load_b128 v[34:37], v[10:11], off offset:6192
	s_wait_xcnt 0x0
	v_add_nc_u64_e32 v[10:11], 0x2000, v[10:11]
	s_wait_loadcnt 0xb
	v_pk_fma_f32 v[12:13], v[50:51], v[48:49], v[12:13] op_sel_hi:[1,0,1]
	v_pk_fma_f32 v[20:21], v[44:45], v[46:47], v[20:21] op_sel_hi:[1,0,1]
	s_wait_loadcnt 0xa
	s_delay_alu instid0(VALU_DEP_2) | instskip(NEXT) | instid1(VALU_DEP_2)
	v_pk_fma_f32 v[12:13], v[54:55], v[38:39], v[12:13] op_sel_hi:[1,0,1]
	v_pk_fma_f32 v[20:21], v[40:41], v[46:47], v[20:21] op_sel:[0,1,0]
	s_wait_loadcnt 0x7
	s_delay_alu instid0(VALU_DEP_2) | instskip(NEXT) | instid1(VALU_DEP_2)
	v_pk_fma_f32 v[12:13], v[62:63], v[66:67], v[12:13] op_sel_hi:[1,0,1]
	v_pk_fma_f32 v[20:21], v[52:53], v[48:49], v[20:21] op_sel_hi:[1,0,1]
	s_delay_alu instid0(VALU_DEP_2) | instskip(NEXT) | instid1(VALU_DEP_2)
	v_pk_fma_f32 v[12:13], v[58:59], v[66:67], v[12:13] op_sel:[0,1,0]
	v_pk_fma_f32 v[20:21], v[56:57], v[38:39], v[20:21] op_sel_hi:[1,0,1]
	v_mov_b32_e32 v38, v69
	s_wait_loadcnt 0x5
	s_delay_alu instid0(VALU_DEP_3) | instskip(NEXT) | instid1(VALU_DEP_3)
	v_pk_fma_f32 v[12:13], v[74:75], v[68:69], v[12:13] op_sel_hi:[1,0,1]
	v_pk_fma_f32 v[20:21], v[64:65], v[66:67], v[20:21] op_sel_hi:[1,0,1]
	s_delay_alu instid0(VALU_DEP_2) | instskip(NEXT) | instid1(VALU_DEP_2)
	v_pk_fma_f32 v[12:13], v[70:71], v[38:39], v[12:13] op_sel_hi:[1,0,1]
	v_pk_fma_f32 v[20:21], v[60:61], v[66:67], v[20:21] op_sel:[0,1,0]
	s_delay_alu instid0(VALU_DEP_1) | instskip(NEXT) | instid1(VALU_DEP_1)
	v_pk_fma_f32 v[20:21], v[76:77], v[68:69], v[20:21] op_sel_hi:[1,0,1]
	v_pk_fma_f32 v[20:21], v[72:73], v[38:39], v[20:21] op_sel_hi:[1,0,1]
	s_wait_loadcnt 0x2
	v_pk_fma_f32 v[12:13], v[22:23], v[16:17], v[12:13] op_sel_hi:[1,0,1]
	s_delay_alu instid0(VALU_DEP_2) | instskip(NEXT) | instid1(VALU_DEP_2)
	v_pk_fma_f32 v[20:21], v[24:25], v[16:17], v[20:21] op_sel_hi:[1,0,1]
	v_pk_fma_f32 v[12:13], v[26:27], v[16:17], v[12:13] op_sel:[0,1,0]
	s_delay_alu instid0(VALU_DEP_2) | instskip(SKIP_2) | instid1(VALU_DEP_3)
	v_pk_fma_f32 v[16:17], v[28:29], v[16:17], v[20:21] op_sel:[0,1,0]
	v_mov_b32_e32 v20, v19
	s_wait_loadcnt 0x1
	v_pk_fma_f32 v[12:13], v[30:31], v[18:19], v[12:13] op_sel_hi:[1,0,1]
	s_delay_alu instid0(VALU_DEP_3) | instskip(SKIP_1) | instid1(VALU_DEP_2)
	v_pk_fma_f32 v[16:17], v[32:33], v[18:19], v[16:17] op_sel_hi:[1,0,1]
	s_wait_loadcnt 0x0
	v_pk_fma_f32 v[12:13], v[34:35], v[20:21], v[12:13] op_sel_hi:[1,0,1]
	s_delay_alu instid0(VALU_DEP_2)
	v_pk_fma_f32 v[16:17], v[36:37], v[20:21], v[16:17] op_sel_hi:[1,0,1]
	s_and_not1_b32 exec_lo, exec_lo, s6
	s_cbranch_execnz .LBB43_35
; %bb.36:
	s_or_b32 exec_lo, exec_lo, s6
	s_delay_alu instid0(VALU_DEP_1)
	v_dual_mov_b32 v21, v17 :: v_dual_mov_b32 v20, v16
.LBB43_37:
	s_or_b32 exec_lo, exec_lo, s2
.LBB43_38:
	s_delay_alu instid0(SALU_CYCLE_1)
	s_or_b32 exec_lo, exec_lo, s3
.LBB43_39:
	v_mbcnt_lo_u32_b32 v1, -1, 0
	s_mov_b32 s2, -1
	s_delay_alu instid0(VALU_DEP_1) | instskip(SKIP_1) | instid1(VALU_DEP_1)
	v_xor_b32_e32 v8, 8, v1
	v_xor_b32_e32 v4, 16, v1
	v_cmp_gt_i32_e32 vcc_lo, 32, v4
	v_cndmask_b32_e32 v4, v1, v4, vcc_lo
	s_delay_alu instid0(VALU_DEP_4) | instskip(NEXT) | instid1(VALU_DEP_2)
	v_cmp_gt_i32_e32 vcc_lo, 32, v8
	v_lshlrev_b32_e32 v7, 2, v4
	v_cndmask_b32_e32 v8, v1, v8, vcc_lo
	ds_bpermute_b32 v4, v7, v12
	ds_bpermute_b32 v5, v7, v13
	;; [unrolled: 1-line block ×4, first 2 shown]
	v_lshlrev_b32_e32 v11, 2, v8
	s_wait_dscnt 0x2
	v_pk_add_f32 v[4:5], v[12:13], v[4:5]
	v_xor_b32_e32 v12, 4, v1
	s_wait_dscnt 0x0
	v_pk_add_f32 v[6:7], v[20:21], v[6:7]
	ds_bpermute_b32 v8, v11, v4
	ds_bpermute_b32 v9, v11, v5
	;; [unrolled: 1-line block ×4, first 2 shown]
	v_cmp_gt_i32_e32 vcc_lo, 32, v12
	v_cndmask_b32_e32 v12, v1, v12, vcc_lo
	s_delay_alu instid0(VALU_DEP_1)
	v_lshlrev_b32_e32 v12, 2, v12
	s_wait_dscnt 0x2
	v_pk_add_f32 v[4:5], v[4:5], v[8:9]
	s_wait_dscnt 0x0
	v_pk_add_f32 v[6:7], v[6:7], v[10:11]
	ds_bpermute_b32 v8, v12, v4
	ds_bpermute_b32 v9, v12, v5
	;; [unrolled: 1-line block ×4, first 2 shown]
	v_xor_b32_e32 v12, 2, v1
	s_delay_alu instid0(VALU_DEP_1) | instskip(SKIP_1) | instid1(VALU_DEP_1)
	v_cmp_gt_i32_e32 vcc_lo, 32, v12
	v_cndmask_b32_e32 v12, v1, v12, vcc_lo
	v_lshlrev_b32_e32 v12, 2, v12
	s_wait_dscnt 0x2
	v_pk_add_f32 v[4:5], v[4:5], v[8:9]
	s_wait_dscnt 0x0
	v_pk_add_f32 v[6:7], v[6:7], v[10:11]
	ds_bpermute_b32 v8, v12, v4
	ds_bpermute_b32 v9, v12, v5
	;; [unrolled: 1-line block ×4, first 2 shown]
	v_xor_b32_e32 v12, 1, v1
	s_delay_alu instid0(VALU_DEP_1) | instskip(SKIP_2) | instid1(VALU_DEP_2)
	v_cmp_gt_i32_e32 vcc_lo, 32, v12
	v_cndmask_b32_e32 v1, v1, v12, vcc_lo
	v_cmp_eq_u32_e32 vcc_lo, 31, v0
	v_lshlrev_b32_e32 v1, 2, v1
	s_wait_dscnt 0x2
	v_pk_add_f32 v[4:5], v[4:5], v[8:9]
	s_wait_dscnt 0x0
	v_pk_add_f32 v[8:9], v[6:7], v[10:11]
	ds_bpermute_b32 v6, v1, v4
	ds_bpermute_b32 v7, v1, v5
	;; [unrolled: 1-line block ×4, first 2 shown]
	s_and_b32 exec_lo, exec_lo, vcc_lo
	s_cbranch_execz .LBB43_10
; %bb.40:
	s_load_b64 s[0:1], s[0:1], 0x58
	s_wait_dscnt 0x2
	v_pk_add_f32 v[6:7], v[4:5], v[6:7]
	s_wait_dscnt 0x0
	v_pk_add_f32 v[4:5], v[8:9], v[10:11]
	s_cmp_eq_f32 s16, 0
	s_wait_kmcnt 0x0
	v_lshl_add_u64 v[0:1], v[2:3], 4, s[0:1]
	s_cbranch_scc0 .LBB43_42
; %bb.41:
	v_pk_mul_f32 v[8:9], s[12:13], v[6:7] op_sel_hi:[0,1]
	v_pk_mul_f32 v[10:11], s[12:13], v[4:5] op_sel_hi:[0,1]
	s_mov_b32 s2, 0
	global_store_b128 v[0:1], v[8:11], off
.LBB43_42:
	s_and_not1_b32 vcc_lo, exec_lo, s2
	s_cbranch_vccnz .LBB43_10
; %bb.43:
	global_load_b128 v[8:11], v[0:1], off
	v_pk_mul_f32 v[2:3], s[12:13], v[6:7] op_sel_hi:[0,1]
	v_pk_mul_f32 v[4:5], s[12:13], v[4:5] op_sel_hi:[0,1]
	s_wait_loadcnt 0x0
	s_delay_alu instid0(VALU_DEP_2) | instskip(NEXT) | instid1(VALU_DEP_2)
	v_pk_fma_f32 v[2:3], s[16:17], v[8:9], v[2:3] op_sel_hi:[0,1,1]
	v_pk_fma_f32 v[4:5], s[16:17], v[10:11], v[4:5] op_sel_hi:[0,1,1]
	global_store_b128 v[0:1], v[2:5], off
	s_sendmsg sendmsg(MSG_DEALLOC_VGPRS)
	s_endpgm
	.section	.rodata,"a",@progbits
	.p2align	6, 0x0
	.amdhsa_kernel _ZN9rocsparseL18bsrxmvn_4x4_kernelILj128ELj32EfllfffEEvT3_20rocsparse_direction_NS_24const_host_device_scalarIT1_EES1_PKS1_PKT2_SA_S7_PKT4_PKT5_S5_PT6_21rocsparse_index_base_b
		.amdhsa_group_segment_fixed_size 0
		.amdhsa_private_segment_fixed_size 0
		.amdhsa_kernarg_size 104
		.amdhsa_user_sgpr_count 2
		.amdhsa_user_sgpr_dispatch_ptr 0
		.amdhsa_user_sgpr_queue_ptr 0
		.amdhsa_user_sgpr_kernarg_segment_ptr 1
		.amdhsa_user_sgpr_dispatch_id 0
		.amdhsa_user_sgpr_kernarg_preload_length 0
		.amdhsa_user_sgpr_kernarg_preload_offset 0
		.amdhsa_user_sgpr_private_segment_size 0
		.amdhsa_wavefront_size32 1
		.amdhsa_uses_dynamic_stack 0
		.amdhsa_enable_private_segment 0
		.amdhsa_system_sgpr_workgroup_id_x 1
		.amdhsa_system_sgpr_workgroup_id_y 0
		.amdhsa_system_sgpr_workgroup_id_z 0
		.amdhsa_system_sgpr_workgroup_info 0
		.amdhsa_system_vgpr_workitem_id 0
		.amdhsa_next_free_vgpr 106
		.amdhsa_next_free_sgpr 18
		.amdhsa_named_barrier_count 0
		.amdhsa_reserve_vcc 1
		.amdhsa_float_round_mode_32 0
		.amdhsa_float_round_mode_16_64 0
		.amdhsa_float_denorm_mode_32 3
		.amdhsa_float_denorm_mode_16_64 3
		.amdhsa_fp16_overflow 0
		.amdhsa_memory_ordered 1
		.amdhsa_forward_progress 1
		.amdhsa_inst_pref_size 31
		.amdhsa_round_robin_scheduling 0
		.amdhsa_exception_fp_ieee_invalid_op 0
		.amdhsa_exception_fp_denorm_src 0
		.amdhsa_exception_fp_ieee_div_zero 0
		.amdhsa_exception_fp_ieee_overflow 0
		.amdhsa_exception_fp_ieee_underflow 0
		.amdhsa_exception_fp_ieee_inexact 0
		.amdhsa_exception_int_div_zero 0
	.end_amdhsa_kernel
	.section	.text._ZN9rocsparseL18bsrxmvn_4x4_kernelILj128ELj32EfllfffEEvT3_20rocsparse_direction_NS_24const_host_device_scalarIT1_EES1_PKS1_PKT2_SA_S7_PKT4_PKT5_S5_PT6_21rocsparse_index_base_b,"axG",@progbits,_ZN9rocsparseL18bsrxmvn_4x4_kernelILj128ELj32EfllfffEEvT3_20rocsparse_direction_NS_24const_host_device_scalarIT1_EES1_PKS1_PKT2_SA_S7_PKT4_PKT5_S5_PT6_21rocsparse_index_base_b,comdat
.Lfunc_end43:
	.size	_ZN9rocsparseL18bsrxmvn_4x4_kernelILj128ELj32EfllfffEEvT3_20rocsparse_direction_NS_24const_host_device_scalarIT1_EES1_PKS1_PKT2_SA_S7_PKT4_PKT5_S5_PT6_21rocsparse_index_base_b, .Lfunc_end43-_ZN9rocsparseL18bsrxmvn_4x4_kernelILj128ELj32EfllfffEEvT3_20rocsparse_direction_NS_24const_host_device_scalarIT1_EES1_PKS1_PKT2_SA_S7_PKT4_PKT5_S5_PT6_21rocsparse_index_base_b
                                        ; -- End function
	.set _ZN9rocsparseL18bsrxmvn_4x4_kernelILj128ELj32EfllfffEEvT3_20rocsparse_direction_NS_24const_host_device_scalarIT1_EES1_PKS1_PKT2_SA_S7_PKT4_PKT5_S5_PT6_21rocsparse_index_base_b.num_vgpr, 106
	.set _ZN9rocsparseL18bsrxmvn_4x4_kernelILj128ELj32EfllfffEEvT3_20rocsparse_direction_NS_24const_host_device_scalarIT1_EES1_PKS1_PKT2_SA_S7_PKT4_PKT5_S5_PT6_21rocsparse_index_base_b.num_agpr, 0
	.set _ZN9rocsparseL18bsrxmvn_4x4_kernelILj128ELj32EfllfffEEvT3_20rocsparse_direction_NS_24const_host_device_scalarIT1_EES1_PKS1_PKT2_SA_S7_PKT4_PKT5_S5_PT6_21rocsparse_index_base_b.numbered_sgpr, 18
	.set _ZN9rocsparseL18bsrxmvn_4x4_kernelILj128ELj32EfllfffEEvT3_20rocsparse_direction_NS_24const_host_device_scalarIT1_EES1_PKS1_PKT2_SA_S7_PKT4_PKT5_S5_PT6_21rocsparse_index_base_b.num_named_barrier, 0
	.set _ZN9rocsparseL18bsrxmvn_4x4_kernelILj128ELj32EfllfffEEvT3_20rocsparse_direction_NS_24const_host_device_scalarIT1_EES1_PKS1_PKT2_SA_S7_PKT4_PKT5_S5_PT6_21rocsparse_index_base_b.private_seg_size, 0
	.set _ZN9rocsparseL18bsrxmvn_4x4_kernelILj128ELj32EfllfffEEvT3_20rocsparse_direction_NS_24const_host_device_scalarIT1_EES1_PKS1_PKT2_SA_S7_PKT4_PKT5_S5_PT6_21rocsparse_index_base_b.uses_vcc, 1
	.set _ZN9rocsparseL18bsrxmvn_4x4_kernelILj128ELj32EfllfffEEvT3_20rocsparse_direction_NS_24const_host_device_scalarIT1_EES1_PKS1_PKT2_SA_S7_PKT4_PKT5_S5_PT6_21rocsparse_index_base_b.uses_flat_scratch, 0
	.set _ZN9rocsparseL18bsrxmvn_4x4_kernelILj128ELj32EfllfffEEvT3_20rocsparse_direction_NS_24const_host_device_scalarIT1_EES1_PKS1_PKT2_SA_S7_PKT4_PKT5_S5_PT6_21rocsparse_index_base_b.has_dyn_sized_stack, 0
	.set _ZN9rocsparseL18bsrxmvn_4x4_kernelILj128ELj32EfllfffEEvT3_20rocsparse_direction_NS_24const_host_device_scalarIT1_EES1_PKS1_PKT2_SA_S7_PKT4_PKT5_S5_PT6_21rocsparse_index_base_b.has_recursion, 0
	.set _ZN9rocsparseL18bsrxmvn_4x4_kernelILj128ELj32EfllfffEEvT3_20rocsparse_direction_NS_24const_host_device_scalarIT1_EES1_PKS1_PKT2_SA_S7_PKT4_PKT5_S5_PT6_21rocsparse_index_base_b.has_indirect_call, 0
	.section	.AMDGPU.csdata,"",@progbits
; Kernel info:
; codeLenInByte = 3936
; TotalNumSgprs: 20
; NumVgprs: 106
; ScratchSize: 0
; MemoryBound: 1
; FloatMode: 240
; IeeeMode: 1
; LDSByteSize: 0 bytes/workgroup (compile time only)
; SGPRBlocks: 0
; VGPRBlocks: 6
; NumSGPRsForWavesPerEU: 20
; NumVGPRsForWavesPerEU: 106
; NamedBarCnt: 0
; Occupancy: 9
; WaveLimiterHint : 1
; COMPUTE_PGM_RSRC2:SCRATCH_EN: 0
; COMPUTE_PGM_RSRC2:USER_SGPR: 2
; COMPUTE_PGM_RSRC2:TRAP_HANDLER: 0
; COMPUTE_PGM_RSRC2:TGID_X_EN: 1
; COMPUTE_PGM_RSRC2:TGID_Y_EN: 0
; COMPUTE_PGM_RSRC2:TGID_Z_EN: 0
; COMPUTE_PGM_RSRC2:TIDIG_COMP_CNT: 0
	.section	.text._ZN9rocsparseL18bsrxmvn_4x4_kernelILj128ELj64EfllfffEEvT3_20rocsparse_direction_NS_24const_host_device_scalarIT1_EES1_PKS1_PKT2_SA_S7_PKT4_PKT5_S5_PT6_21rocsparse_index_base_b,"axG",@progbits,_ZN9rocsparseL18bsrxmvn_4x4_kernelILj128ELj64EfllfffEEvT3_20rocsparse_direction_NS_24const_host_device_scalarIT1_EES1_PKS1_PKT2_SA_S7_PKT4_PKT5_S5_PT6_21rocsparse_index_base_b,comdat
	.globl	_ZN9rocsparseL18bsrxmvn_4x4_kernelILj128ELj64EfllfffEEvT3_20rocsparse_direction_NS_24const_host_device_scalarIT1_EES1_PKS1_PKT2_SA_S7_PKT4_PKT5_S5_PT6_21rocsparse_index_base_b ; -- Begin function _ZN9rocsparseL18bsrxmvn_4x4_kernelILj128ELj64EfllfffEEvT3_20rocsparse_direction_NS_24const_host_device_scalarIT1_EES1_PKS1_PKT2_SA_S7_PKT4_PKT5_S5_PT6_21rocsparse_index_base_b
	.p2align	8
	.type	_ZN9rocsparseL18bsrxmvn_4x4_kernelILj128ELj64EfllfffEEvT3_20rocsparse_direction_NS_24const_host_device_scalarIT1_EES1_PKS1_PKT2_SA_S7_PKT4_PKT5_S5_PT6_21rocsparse_index_base_b,@function
_ZN9rocsparseL18bsrxmvn_4x4_kernelILj128ELj64EfllfffEEvT3_20rocsparse_direction_NS_24const_host_device_scalarIT1_EES1_PKS1_PKT2_SA_S7_PKT4_PKT5_S5_PT6_21rocsparse_index_base_b: ; @_ZN9rocsparseL18bsrxmvn_4x4_kernelILj128ELj64EfllfffEEvT3_20rocsparse_direction_NS_24const_host_device_scalarIT1_EES1_PKS1_PKT2_SA_S7_PKT4_PKT5_S5_PT6_21rocsparse_index_base_b
; %bb.0:
	s_clause 0x2
	s_load_b64 s[2:3], s[0:1], 0x60
	s_load_b128 s[12:15], s[0:1], 0x10
	s_load_b64 s[16:17], s[0:1], 0x50
	s_wait_kmcnt 0x0
	s_bitcmp1_b32 s3, 0
	s_cselect_b32 s3, -1, 0
	s_delay_alu instid0(SALU_CYCLE_1)
	s_and_b32 vcc_lo, exec_lo, s3
	s_xor_b32 s3, s3, -1
	s_cbranch_vccnz .LBB44_2
; %bb.1:
	s_load_b32 s12, s[12:13], 0x0
.LBB44_2:
	s_and_not1_b32 vcc_lo, exec_lo, s3
	s_cbranch_vccnz .LBB44_4
; %bb.3:
	s_load_b32 s16, s[16:17], 0x0
.LBB44_4:
	s_wait_kmcnt 0x0
	s_cmp_neq_f32 s12, 0
	s_mov_b32 s6, 0
	s_cselect_b32 s3, -1, 0
	s_cmp_neq_f32 s16, 1.0
	s_cselect_b32 s4, -1, 0
	s_delay_alu instid0(SALU_CYCLE_1) | instskip(NEXT) | instid1(SALU_CYCLE_1)
	s_or_b32 s3, s3, s4
	s_and_not1_b32 vcc_lo, exec_lo, s3
	s_cbranch_vccnz .LBB44_10
; %bb.5:
	s_load_b64 s[4:5], s[0:1], 0x20
	s_bfe_u32 s3, ttmp6, 0x4000c
	s_and_b32 s7, ttmp6, 15
	s_add_co_i32 s3, s3, 1
	s_getreg_b32 s8, hwreg(HW_REG_IB_STS2, 6, 4)
	s_mul_i32 s3, ttmp9, s3
	v_dual_lshrrev_b32 v1, 6, v0 :: v_dual_mov_b32 v7, 0
	s_add_co_i32 s7, s7, s3
	s_cmp_eq_u32 s8, 0
	s_cselect_b32 s3, ttmp9, s7
	s_delay_alu instid0(VALU_DEP_1) | instid1(SALU_CYCLE_1)
	v_lshl_or_b32 v6, s3, 1, v1
	s_wait_kmcnt 0x0
	s_cmp_lg_u64 s[4:5], 0
	s_cbranch_scc0 .LBB44_11
; %bb.6:
	s_mov_b32 s7, 0
                                        ; implicit-def: $vgpr2_vgpr3
                                        ; implicit-def: $vgpr4_vgpr5
	s_mov_b32 s3, exec_lo
	v_cmpx_gt_i64_e64 s[14:15], v[6:7]
	s_xor_b32 s8, exec_lo, s3
	s_cbranch_execz .LBB44_8
; %bb.7:
	v_lshl_add_u64 v[2:3], v[6:7], 3, s[4:5]
	s_mov_b32 s3, 0
	s_mov_b32 s6, exec_lo
	v_mov_b64_e32 v[4:5], s[2:3]
	global_load_b64 v[2:3], v[2:3], off
	s_wait_loadcnt 0x0
	v_sub_nc_u64_e64 v[2:3], v[2:3], s[2:3]
.LBB44_8:
	s_or_b32 exec_lo, exec_lo, s8
	s_delay_alu instid0(SALU_CYCLE_1)
	s_and_b32 vcc_lo, exec_lo, s7
	s_cbranch_vccnz .LBB44_12
.LBB44_9:
	s_and_saveexec_b32 s2, s6
	s_cbranch_execnz .LBB44_15
.LBB44_10:
	s_sendmsg sendmsg(MSG_DEALLOC_VGPRS)
	s_endpgm
.LBB44_11:
                                        ; implicit-def: $vgpr2_vgpr3
                                        ; implicit-def: $vgpr4_vgpr5
	s_cbranch_execz .LBB44_9
.LBB44_12:
	s_load_b64 s[4:5], s[0:1], 0x0
	s_wait_kmcnt 0x0
	v_cmp_gt_i64_e32 vcc_lo, s[4:5], v[6:7]
	s_and_saveexec_b32 s4, vcc_lo
; %bb.13:
	s_mov_b32 s3, 0
	s_or_b32 s6, s6, exec_lo
; %bb.14:
	s_or_b32 exec_lo, exec_lo, s4
	v_mov_b64_e32 v[4:5], s[2:3]
	v_mov_b64_e32 v[2:3], v[6:7]
	s_and_saveexec_b32 s2, s6
	s_cbranch_execz .LBB44_10
.LBB44_15:
	s_load_b256 s[4:11], s[0:1], 0x28
	s_delay_alu instid0(VALU_DEP_1) | instskip(SKIP_3) | instid1(VALU_DEP_2)
	v_lshlrev_b64_e32 v[6:7], 3, v[2:3]
	v_dual_mov_b32 v1, 0 :: v_dual_bitop2_b32 v0, 63, v0 bitop3:0x40
	s_load_b32 s3, s[0:1], 0x8
	s_wait_kmcnt 0x0
	v_add_nc_u64_e32 v[8:9], s[4:5], v[6:7]
	v_add_nc_u64_e32 v[6:7], s[6:7], v[6:7]
	s_cmp_eq_u64 s[6:7], 0
	s_load_b64 s[4:5], s[0:1], 0x48
	s_cselect_b32 vcc_lo, -1, 0
	s_cmp_eq_u32 s3, 1
	global_load_b64 v[14:15], v[8:9], off
	s_wait_xcnt 0x0
	v_add_nc_u64_e32 v[8:9], 8, v[8:9]
	s_delay_alu instid0(VALU_DEP_1) | instskip(SKIP_4) | instid1(VALU_DEP_1)
	v_dual_cndmask_b32 v7, v7, v9 :: v_dual_cndmask_b32 v6, v6, v8
	global_load_b64 v[8:9], v[6:7], off
	s_wait_loadcnt 0x1
	s_wait_xcnt 0x0
	v_sub_nc_u64_e32 v[6:7], v[14:15], v[4:5]
	v_add_nc_u64_e32 v[6:7], v[6:7], v[0:1]
	s_wait_loadcnt 0x0
	v_sub_nc_u64_e32 v[8:9], v[8:9], v[4:5]
	s_delay_alu instid0(VALU_DEP_2) | instskip(NEXT) | instid1(VALU_DEP_2)
	v_lshlrev_b64_e32 v[10:11], 6, v[6:7]
	v_cmp_lt_i64_e64 s2, v[6:7], v[8:9]
	s_delay_alu instid0(VALU_DEP_2)
	v_add_nc_u64_e32 v[10:11], s[10:11], v[10:11]
	s_cbranch_scc1 .LBB44_27
; %bb.16:
	v_dual_mov_b32 v21, v1 :: v_dual_mov_b32 v20, v1
	v_dual_mov_b32 v13, v1 :: v_dual_mov_b32 v12, v1
	s_and_saveexec_b32 s3, s2
	s_cbranch_execz .LBB44_26
; %bb.17:
	v_dual_mov_b32 v13, v1 :: v_dual_bitop2_b32 v12, 64, v0 bitop3:0x54
	v_sub_nc_u64_e32 v[16:17], v[4:5], v[0:1]
	v_not_b32_e32 v19, v15
	v_not_b32_e32 v18, v14
	v_mov_b32_e32 v20, 0
	v_sub_nc_u64_e32 v[12:13], v[12:13], v[4:5]
	v_mov_b64_e32 v[22:23], 0
	s_delay_alu instid0(VALU_DEP_4) | instskip(SKIP_1) | instid1(VALU_DEP_4)
	v_add_nc_u64_e32 v[16:17], v[16:17], v[18:19]
	v_mov_b64_e32 v[18:19], v[10:11]
	v_add_nc_u64_e32 v[12:13], v[12:13], v[14:15]
	s_delay_alu instid0(VALU_DEP_1) | instskip(NEXT) | instid1(VALU_DEP_1)
	v_max_i64 v[12:13], v[12:13], v[8:9]
	v_add_nc_u64_e32 v[24:25], v[16:17], v[12:13]
	v_mov_b32_e32 v17, v20
	v_mov_b64_e32 v[12:13], 0
	s_delay_alu instid0(VALU_DEP_3) | instskip(NEXT) | instid1(VALU_DEP_1)
	v_and_b32_e32 v16, 0xc0, v24
	v_cmp_ne_u64_e32 vcc_lo, 0xc0, v[16:17]
	v_mov_b64_e32 v[16:17], v[6:7]
	s_and_saveexec_b32 s6, vcc_lo
	s_cbranch_execz .LBB44_21
; %bb.18:
	v_dual_mov_b32 v13, v20 :: v_dual_lshrrev_b32 v12, 6, v24
	v_mov_b64_e32 v[18:19], v[10:11]
	v_mov_b64_e32 v[16:17], v[6:7]
	v_lshl_add_u64 v[22:23], v[6:7], 3, s[8:9]
	s_delay_alu instid0(VALU_DEP_4) | instskip(SKIP_1) | instid1(VALU_DEP_1)
	v_dual_mov_b32 v21, v20 :: v_dual_add_nc_u32 v12, 1, v12
	s_mov_b32 s7, 0
	v_and_b32_e32 v12, 3, v12
	s_delay_alu instid0(VALU_DEP_1)
	v_sub_nc_u64_e32 v[26:27], 0, v[12:13]
	v_mov_b32_e32 v12, v20
.LBB44_19:                              ; =>This Inner Loop Header: Depth=1
	global_load_b64 v[28:29], v[22:23], off
	v_add_nc_u64_e32 v[26:27], 1, v[26:27]
	v_add_nc_u64_e32 v[16:17], 64, v[16:17]
	s_wait_xcnt 0x0
	v_add_nc_u64_e32 v[22:23], 0x200, v[22:23]
	s_delay_alu instid0(VALU_DEP_3)
	v_cmp_eq_u64_e32 vcc_lo, 0, v[26:27]
	s_or_b32 s7, vcc_lo, s7
	s_wait_loadcnt 0x0
	v_sub_nc_u64_e32 v[44:45], v[28:29], v[4:5]
	s_clause 0x3
	global_load_b128 v[28:31], v[18:19], off offset:16
	global_load_b128 v[32:35], v[18:19], off
	global_load_b128 v[36:39], v[18:19], off offset:48
	global_load_b128 v[40:43], v[18:19], off offset:32
	s_wait_xcnt 0x0
	v_add_nc_u64_e32 v[18:19], 0x1000, v[18:19]
	s_wait_kmcnt 0x0
	v_lshl_add_u64 v[44:45], v[44:45], 4, s[4:5]
	global_load_b128 v[44:47], v[44:45], off
	s_wait_loadcnt 0x3
	v_dual_mov_b32 v49, v28 :: v_dual_mov_b32 v48, v32
	s_wait_loadcnt 0x1
	v_dual_mov_b32 v51, v36 :: v_dual_mov_b32 v50, v40
	v_dual_mov_b32 v28, v33 :: v_dual_mov_b32 v32, v34
	v_dual_mov_b32 v36, v41 :: v_dual_mov_b32 v33, v30
	v_dual_mov_b32 v40, v42 :: v_dual_mov_b32 v41, v38
	v_dual_mov_b32 v30, v35 :: v_dual_mov_b32 v38, v43
	s_wait_loadcnt 0x0
	v_pk_fma_f32 v[12:13], v[48:49], v[44:45], v[12:13] op_sel_hi:[1,0,1]
	v_pk_fma_f32 v[20:21], v[50:51], v[44:45], v[20:21] op_sel_hi:[1,0,1]
	s_delay_alu instid0(VALU_DEP_2) | instskip(NEXT) | instid1(VALU_DEP_2)
	v_pk_fma_f32 v[12:13], v[28:29], v[44:45], v[12:13] op_sel:[0,1,0]
	v_pk_fma_f32 v[20:21], v[36:37], v[44:45], v[20:21] op_sel:[0,1,0]
	v_mov_b32_e32 v28, v47
	s_delay_alu instid0(VALU_DEP_3) | instskip(NEXT) | instid1(VALU_DEP_3)
	v_pk_fma_f32 v[12:13], v[32:33], v[46:47], v[12:13] op_sel_hi:[1,0,1]
	v_pk_fma_f32 v[20:21], v[40:41], v[46:47], v[20:21] op_sel_hi:[1,0,1]
	s_delay_alu instid0(VALU_DEP_2) | instskip(NEXT) | instid1(VALU_DEP_2)
	v_pk_fma_f32 v[12:13], v[30:31], v[28:29], v[12:13] op_sel_hi:[1,0,1]
	v_pk_fma_f32 v[20:21], v[38:39], v[28:29], v[20:21] op_sel_hi:[1,0,1]
	s_and_not1_b32 exec_lo, exec_lo, s7
	s_cbranch_execnz .LBB44_19
; %bb.20:
	s_or_b32 exec_lo, exec_lo, s7
	s_delay_alu instid0(VALU_DEP_1)
	v_mov_b64_e32 v[22:23], v[20:21]
.LBB44_21:
	s_or_b32 exec_lo, exec_lo, s6
	s_delay_alu instid0(SALU_CYCLE_1)
	s_mov_b32 s6, exec_lo
	v_cmpx_lt_u64_e32 0xbf, v[24:25]
	s_cbranch_execz .LBB44_25
; %bb.22:
	v_lshl_add_u64 v[20:21], v[16:17], 3, s[8:9]
	s_mov_b32 s7, 0
	s_delay_alu instid0(VALU_DEP_1)
	v_add_nc_u64_e32 v[20:21], 0x400, v[20:21]
.LBB44_23:                              ; =>This Inner Loop Header: Depth=1
	s_clause 0x2
	global_load_b64 v[40:41], v[20:21], off offset:-1024
	global_load_b64 v[48:49], v[20:21], off offset:-512
	global_load_b64 v[68:69], v[20:21], off
	s_clause 0x3
	global_load_b128 v[24:27], v[18:19], off
	global_load_b128 v[28:31], v[18:19], off offset:16
	global_load_b128 v[32:35], v[18:19], off offset:32
	;; [unrolled: 1-line block ×3, first 2 shown]
	global_load_b64 v[96:97], v[20:21], off offset:512
	v_add_nc_u64_e32 v[16:17], 0x100, v[16:17]
	s_wait_xcnt 0x0
	v_add_nc_u64_e32 v[20:21], 0x800, v[20:21]
	s_delay_alu instid0(VALU_DEP_2)
	v_cmp_ge_i64_e32 vcc_lo, v[16:17], v[8:9]
	s_or_b32 s7, vcc_lo, s7
	s_wait_loadcnt 0x7
	v_sub_nc_u64_e32 v[40:41], v[40:41], v[4:5]
	s_wait_loadcnt 0x6
	v_sub_nc_u64_e32 v[60:61], v[48:49], v[4:5]
	;; [unrolled: 2-line block ×3, first 2 shown]
	s_wait_loadcnt 0x3
	v_dual_mov_b32 v98, v24 :: v_dual_mov_b32 v99, v28
	v_dual_mov_b32 v28, v25 :: v_dual_mov_b32 v100, v26
	s_wait_kmcnt 0x0
	v_lshl_add_u64 v[50:51], v[40:41], 4, s[4:5]
	v_lshl_add_u64 v[70:71], v[60:61], 4, s[4:5]
	;; [unrolled: 1-line block ×3, first 2 shown]
	s_wait_loadcnt 0x0
	v_sub_nc_u64_e32 v[96:97], v[96:97], v[4:5]
	v_dual_mov_b32 v101, v30 :: v_dual_mov_b32 v30, v27
	global_load_b128 v[40:43], v[50:51], off
	s_clause 0x3
	global_load_b128 v[44:47], v[18:19], off offset:4096
	global_load_b128 v[48:51], v[18:19], off offset:4112
	;; [unrolled: 1-line block ×4, first 2 shown]
	global_load_b128 v[60:63], v[70:71], off
	s_clause 0x6
	global_load_b128 v[64:67], v[18:19], off offset:8192
	global_load_b128 v[68:71], v[18:19], off offset:8208
	;; [unrolled: 1-line block ×7, first 2 shown]
	global_load_b128 v[92:95], v[92:93], off
	v_dual_mov_b32 v102, v32 :: v_dual_mov_b32 v103, v36
	v_dual_mov_b32 v36, v33 :: v_dual_mov_b32 v104, v34
	global_load_b128 v[24:27], v[18:19], off offset:12336
	v_lshl_add_u64 v[32:33], v[96:97], 4, s[4:5]
	v_dual_mov_b32 v105, v38 :: v_dual_mov_b32 v38, v35
	s_wait_xcnt 0x0
	v_add_nc_u64_e32 v[18:19], 0x4000, v[18:19]
	global_load_b128 v[32:35], v[32:33], off
	s_wait_loadcnt 0xf
	v_pk_fma_f32 v[12:13], v[98:99], v[40:41], v[12:13] op_sel_hi:[1,0,1]
	v_pk_fma_f32 v[22:23], v[102:103], v[40:41], v[22:23] op_sel_hi:[1,0,1]
	s_wait_loadcnt 0xd
	v_dual_mov_b32 v96, v44 :: v_dual_mov_b32 v97, v48
	v_mov_b32_e32 v48, v45
	v_pk_fma_f32 v[12:13], v[28:29], v[40:41], v[12:13] op_sel:[0,1,0]
	v_pk_fma_f32 v[22:23], v[36:37], v[40:41], v[22:23] op_sel:[0,1,0]
	v_dual_mov_b32 v28, v43 :: v_dual_mov_b32 v36, v46
	s_wait_loadcnt 0xc
	v_mov_b32_e32 v40, v52
	v_pk_fma_f32 v[12:13], v[100:101], v[42:43], v[12:13] op_sel_hi:[1,0,1]
	v_pk_fma_f32 v[22:23], v[104:105], v[42:43], v[22:23] op_sel_hi:[1,0,1]
	s_wait_loadcnt 0xb
	v_dual_mov_b32 v41, v56 :: v_dual_mov_b32 v37, v50
	v_dual_mov_b32 v50, v47 :: v_dual_mov_b32 v56, v53
	v_pk_fma_f32 v[12:13], v[30:31], v[28:29], v[12:13] op_sel_hi:[1,0,1]
	v_pk_fma_f32 v[22:23], v[38:39], v[28:29], v[22:23] op_sel_hi:[1,0,1]
	v_dual_mov_b32 v28, v54 :: v_dual_mov_b32 v29, v58
	s_wait_loadcnt 0x9
	v_dual_mov_b32 v58, v55 :: v_dual_mov_b32 v30, v64
	v_pk_fma_f32 v[12:13], v[96:97], v[60:61], v[12:13] op_sel_hi:[1,0,1]
	v_pk_fma_f32 v[22:23], v[40:41], v[60:61], v[22:23] op_sel_hi:[1,0,1]
	s_wait_loadcnt 0x8
	v_dual_mov_b32 v31, v68 :: v_dual_mov_b32 v38, v63
	v_mov_b32_e32 v68, v65
	v_pk_fma_f32 v[12:13], v[48:49], v[60:61], v[12:13] op_sel:[0,1,0]
	v_pk_fma_f32 v[22:23], v[56:57], v[60:61], v[22:23] op_sel:[0,1,0]
	s_delay_alu instid0(VALU_DEP_2) | instskip(NEXT) | instid1(VALU_DEP_2)
	v_pk_fma_f32 v[12:13], v[36:37], v[62:63], v[12:13] op_sel_hi:[1,0,1]
	v_pk_fma_f32 v[22:23], v[28:29], v[62:63], v[22:23] op_sel_hi:[1,0,1]
	s_wait_loadcnt 0x6
	v_dual_mov_b32 v28, v76 :: v_dual_mov_b32 v29, v72
	v_mov_b32_e32 v36, v66
	v_pk_fma_f32 v[12:13], v[50:51], v[38:39], v[12:13] op_sel_hi:[1,0,1]
	v_pk_fma_f32 v[22:23], v[58:59], v[38:39], v[22:23] op_sel_hi:[1,0,1]
	v_dual_mov_b32 v37, v70 :: v_dual_mov_b32 v72, v77
	v_mov_b32_e32 v70, v67
	s_wait_loadcnt 0x2
	v_pk_fma_f32 v[12:13], v[30:31], v[92:93], v[12:13] op_sel_hi:[1,0,1]
	v_pk_fma_f32 v[22:23], v[28:29], v[92:93], v[22:23] op_sel_hi:[1,0,1]
	v_dual_mov_b32 v28, v78 :: v_dual_mov_b32 v29, v74
	v_mov_b32_e32 v30, v84
	s_delay_alu instid0(VALU_DEP_4) | instskip(NEXT) | instid1(VALU_DEP_4)
	v_pk_fma_f32 v[12:13], v[68:69], v[92:93], v[12:13] op_sel:[0,1,0]
	v_pk_fma_f32 v[22:23], v[72:73], v[92:93], v[22:23] op_sel:[0,1,0]
	v_dual_mov_b32 v74, v79 :: v_dual_mov_b32 v38, v95
	v_mov_b32_e32 v31, v80
	s_delay_alu instid0(VALU_DEP_4) | instskip(NEXT) | instid1(VALU_DEP_4)
	v_pk_fma_f32 v[12:13], v[36:37], v[94:95], v[12:13] op_sel_hi:[1,0,1]
	v_pk_fma_f32 v[22:23], v[28:29], v[94:95], v[22:23] op_sel_hi:[1,0,1]
	s_wait_loadcnt 0x1
	v_dual_mov_b32 v28, v88 :: v_dual_mov_b32 v29, v24
	v_mov_b32_e32 v80, v85
	v_pk_fma_f32 v[12:13], v[70:71], v[38:39], v[12:13] op_sel_hi:[1,0,1]
	v_pk_fma_f32 v[22:23], v[74:75], v[38:39], v[22:23] op_sel_hi:[1,0,1]
	v_dual_mov_b32 v36, v86 :: v_dual_mov_b32 v24, v89
	v_mov_b32_e32 v37, v82
	s_wait_loadcnt 0x0
	v_pk_fma_f32 v[12:13], v[30:31], v[32:33], v[12:13] op_sel_hi:[1,0,1]
	v_pk_fma_f32 v[22:23], v[28:29], v[32:33], v[22:23] op_sel_hi:[1,0,1]
	v_dual_mov_b32 v28, v90 :: v_dual_mov_b32 v29, v26
	v_mov_b32_e32 v82, v87
	s_delay_alu instid0(VALU_DEP_4) | instskip(NEXT) | instid1(VALU_DEP_4)
	v_pk_fma_f32 v[12:13], v[80:81], v[32:33], v[12:13] op_sel:[0,1,0]
	v_pk_fma_f32 v[22:23], v[24:25], v[32:33], v[22:23] op_sel:[0,1,0]
	v_dual_mov_b32 v26, v91 :: v_dual_mov_b32 v24, v35
	s_delay_alu instid0(VALU_DEP_3) | instskip(NEXT) | instid1(VALU_DEP_3)
	v_pk_fma_f32 v[12:13], v[36:37], v[34:35], v[12:13] op_sel_hi:[1,0,1]
	v_pk_fma_f32 v[22:23], v[28:29], v[34:35], v[22:23] op_sel_hi:[1,0,1]
	s_delay_alu instid0(VALU_DEP_2) | instskip(NEXT) | instid1(VALU_DEP_2)
	v_pk_fma_f32 v[12:13], v[82:83], v[24:25], v[12:13] op_sel_hi:[1,0,1]
	v_pk_fma_f32 v[22:23], v[26:27], v[24:25], v[22:23] op_sel_hi:[1,0,1]
	s_and_not1_b32 exec_lo, exec_lo, s7
	s_cbranch_execnz .LBB44_23
; %bb.24:
	s_or_b32 exec_lo, exec_lo, s7
	s_delay_alu instid0(VALU_DEP_1)
	v_dual_mov_b32 v21, v23 :: v_dual_mov_b32 v20, v22
.LBB44_25:
	s_or_b32 exec_lo, exec_lo, s6
.LBB44_26:
	s_delay_alu instid0(SALU_CYCLE_1)
	s_or_b32 exec_lo, exec_lo, s3
	s_cbranch_execz .LBB44_28
	s_branch .LBB44_39
.LBB44_27:
                                        ; implicit-def: $vgpr21
                                        ; implicit-def: $vgpr13
.LBB44_28:
	v_dual_mov_b32 v21, 0 :: v_dual_mov_b32 v20, 0
	v_dual_mov_b32 v13, 0 :: v_dual_mov_b32 v12, 0
	s_and_saveexec_b32 s3, s2
	s_cbranch_execz .LBB44_38
; %bb.29:
	v_dual_mov_b32 v13, v1 :: v_dual_bitop2_b32 v12, 64, v0 bitop3:0x54
	v_sub_nc_u64_e32 v[16:17], v[4:5], v[0:1]
	v_mov_b32_e32 v20, 0
	s_delay_alu instid0(VALU_DEP_3) | instskip(NEXT) | instid1(VALU_DEP_1)
	v_sub_nc_u64_e32 v[12:13], v[12:13], v[4:5]
	v_add_nc_u64_e32 v[12:13], v[12:13], v[14:15]
	v_not_b32_e32 v15, v15
	v_not_b32_e32 v14, v14
	s_delay_alu instid0(VALU_DEP_1) | instskip(NEXT) | instid1(VALU_DEP_4)
	v_add_nc_u64_e32 v[14:15], v[16:17], v[14:15]
	v_max_i64 v[12:13], v[12:13], v[8:9]
	v_mov_b32_e32 v17, v20
	s_delay_alu instid0(VALU_DEP_2) | instskip(SKIP_1) | instid1(VALU_DEP_2)
	v_add_nc_u64_e32 v[14:15], v[14:15], v[12:13]
	v_mov_b64_e32 v[12:13], 0
	v_and_b32_e32 v16, 0xc0, v14
	s_delay_alu instid0(VALU_DEP_1)
	v_cmp_ne_u64_e32 vcc_lo, 0xc0, v[16:17]
	v_mov_b64_e32 v[16:17], 0
	s_and_saveexec_b32 s2, vcc_lo
	s_cbranch_execz .LBB44_33
; %bb.30:
	v_dual_lshrrev_b32 v1, 6, v14 :: v_dual_mov_b32 v13, v20
	v_lshl_add_u64 v[16:17], v[6:7], 3, s[8:9]
	s_mov_b32 s6, 0
	s_delay_alu instid0(VALU_DEP_2) | instskip(NEXT) | instid1(VALU_DEP_1)
	v_dual_mov_b32 v21, v20 :: v_dual_add_nc_u32 v1, 1, v1
	v_and_b32_e32 v12, 3, v1
	s_delay_alu instid0(VALU_DEP_1)
	v_sub_nc_u64_e32 v[18:19], 0, v[12:13]
	v_mov_b32_e32 v12, v20
.LBB44_31:                              ; =>This Inner Loop Header: Depth=1
	global_load_b64 v[22:23], v[16:17], off
	v_add_nc_u64_e32 v[18:19], 1, v[18:19]
	v_add_nc_u64_e32 v[6:7], 64, v[6:7]
	s_wait_xcnt 0x0
	v_add_nc_u64_e32 v[16:17], 0x200, v[16:17]
	s_delay_alu instid0(VALU_DEP_3) | instskip(SKIP_4) | instid1(VALU_DEP_1)
	v_cmp_eq_u64_e32 vcc_lo, 0, v[18:19]
	s_or_b32 s6, vcc_lo, s6
	s_wait_loadcnt 0x0
	v_sub_nc_u64_e32 v[22:23], v[22:23], v[4:5]
	s_wait_kmcnt 0x0
	v_lshl_add_u64 v[42:43], v[22:23], 4, s[4:5]
	s_clause 0x1
	global_load_b128 v[22:25], v[10:11], off offset:16
	global_load_b128 v[26:29], v[10:11], off
	global_load_b128 v[30:33], v[42:43], off
	s_clause 0x1
	global_load_b128 v[34:37], v[10:11], off offset:32
	global_load_b128 v[38:41], v[10:11], off offset:48
	s_wait_xcnt 0x0
	v_add_nc_u64_e32 v[10:11], 0x1000, v[10:11]
	s_wait_loadcnt 0x2
	v_pk_fma_f32 v[12:13], v[26:27], v[30:31], v[12:13] op_sel_hi:[1,0,1]
	v_pk_fma_f32 v[20:21], v[28:29], v[30:31], v[20:21] op_sel_hi:[1,0,1]
	s_delay_alu instid0(VALU_DEP_2) | instskip(NEXT) | instid1(VALU_DEP_2)
	v_pk_fma_f32 v[12:13], v[22:23], v[30:31], v[12:13] op_sel:[0,1,0]
	v_pk_fma_f32 v[20:21], v[24:25], v[30:31], v[20:21] op_sel:[0,1,0]
	v_mov_b32_e32 v22, v33
	s_wait_loadcnt 0x1
	s_delay_alu instid0(VALU_DEP_3) | instskip(NEXT) | instid1(VALU_DEP_3)
	v_pk_fma_f32 v[12:13], v[34:35], v[32:33], v[12:13] op_sel_hi:[1,0,1]
	v_pk_fma_f32 v[20:21], v[36:37], v[32:33], v[20:21] op_sel_hi:[1,0,1]
	s_wait_loadcnt 0x0
	s_delay_alu instid0(VALU_DEP_2) | instskip(NEXT) | instid1(VALU_DEP_2)
	v_pk_fma_f32 v[12:13], v[38:39], v[22:23], v[12:13] op_sel_hi:[1,0,1]
	v_pk_fma_f32 v[20:21], v[40:41], v[22:23], v[20:21] op_sel_hi:[1,0,1]
	s_and_not1_b32 exec_lo, exec_lo, s6
	s_cbranch_execnz .LBB44_31
; %bb.32:
	s_or_b32 exec_lo, exec_lo, s6
	s_delay_alu instid0(VALU_DEP_1)
	v_mov_b64_e32 v[16:17], v[20:21]
.LBB44_33:
	s_or_b32 exec_lo, exec_lo, s2
	s_delay_alu instid0(SALU_CYCLE_1)
	s_mov_b32 s2, exec_lo
	v_cmpx_lt_u64_e32 0xbf, v[14:15]
	s_cbranch_execz .LBB44_37
; %bb.34:
	v_lshl_add_u64 v[14:15], v[6:7], 3, s[8:9]
	s_mov_b32 s6, 0
	s_delay_alu instid0(VALU_DEP_1)
	v_add_nc_u64_e32 v[14:15], 0x400, v[14:15]
.LBB44_35:                              ; =>This Inner Loop Header: Depth=1
	s_clause 0x2
	global_load_b64 v[30:31], v[14:15], off offset:-1024
	global_load_b64 v[32:33], v[14:15], off offset:-512
	global_load_b64 v[50:51], v[14:15], off
	s_clause 0x2
	global_load_b128 v[18:21], v[10:11], off offset:32
	global_load_b128 v[22:25], v[10:11], off offset:16
	global_load_b128 v[26:29], v[10:11], off
	global_load_b64 v[78:79], v[14:15], off offset:512
	v_add_nc_u64_e32 v[6:7], 0x100, v[6:7]
	s_wait_xcnt 0x0
	v_add_nc_u64_e32 v[14:15], 0x800, v[14:15]
	s_delay_alu instid0(VALU_DEP_2)
	v_cmp_ge_i64_e32 vcc_lo, v[6:7], v[8:9]
	s_or_b32 s6, vcc_lo, s6
	s_wait_loadcnt 0x6
	v_sub_nc_u64_e32 v[30:31], v[30:31], v[4:5]
	s_wait_loadcnt 0x5
	v_sub_nc_u64_e32 v[38:39], v[32:33], v[4:5]
	;; [unrolled: 2-line block ×4, first 2 shown]
	s_wait_kmcnt 0x0
	v_lshl_add_u64 v[40:41], v[30:31], 4, s[4:5]
	v_lshl_add_u64 v[52:53], v[38:39], 4, s[4:5]
	s_delay_alu instid0(VALU_DEP_4)
	v_lshl_add_u64 v[80:81], v[58:59], 4, s[4:5]
	global_load_b128 v[30:33], v[40:41], off
	s_clause 0x2
	global_load_b128 v[34:37], v[10:11], off offset:48
	global_load_b128 v[38:41], v[10:11], off offset:4112
	;; [unrolled: 1-line block ×3, first 2 shown]
	global_load_b128 v[46:49], v[52:53], off
	s_clause 0x3
	global_load_b128 v[50:53], v[10:11], off offset:4128
	global_load_b128 v[54:57], v[10:11], off offset:4144
	global_load_b128 v[58:61], v[10:11], off offset:8208
	global_load_b128 v[62:65], v[10:11], off offset:8192
	global_load_b128 v[66:69], v[80:81], off
	s_clause 0x1
	global_load_b128 v[70:73], v[10:11], off offset:8240
	global_load_b128 v[74:77], v[10:11], off offset:8224
	s_wait_loadcnt 0xb
	v_pk_fma_f32 v[12:13], v[26:27], v[30:31], v[12:13] op_sel_hi:[1,0,1]
	v_pk_fma_f32 v[16:17], v[28:29], v[30:31], v[16:17] op_sel_hi:[1,0,1]
	global_load_b128 v[26:29], v[10:11], off offset:12304
	v_pk_fma_f32 v[12:13], v[22:23], v[30:31], v[12:13] op_sel:[0,1,0]
	v_pk_fma_f32 v[16:17], v[24:25], v[30:31], v[16:17] op_sel:[0,1,0]
	v_lshl_add_u64 v[30:31], v[78:79], 4, s[4:5]
	global_load_b128 v[22:25], v[10:11], off offset:12288
	v_mov_b32_e32 v78, v33
	v_pk_fma_f32 v[12:13], v[18:19], v[32:33], v[12:13] op_sel_hi:[1,0,1]
	v_pk_fma_f32 v[20:21], v[20:21], v[32:33], v[16:17] op_sel_hi:[1,0,1]
	global_load_b128 v[16:19], v[30:31], off
	global_load_b128 v[30:33], v[10:11], off offset:12320
	s_wait_loadcnt 0xe
	v_pk_fma_f32 v[12:13], v[34:35], v[78:79], v[12:13] op_sel_hi:[1,0,1]
	s_wait_loadcnt 0xb
	s_delay_alu instid0(VALU_DEP_1) | instskip(NEXT) | instid1(VALU_DEP_1)
	v_pk_fma_f32 v[12:13], v[42:43], v[46:47], v[12:13] op_sel_hi:[1,0,1]
	v_pk_fma_f32 v[12:13], v[38:39], v[46:47], v[12:13] op_sel:[0,1,0]
	v_mov_b32_e32 v38, v49
	v_pk_fma_f32 v[20:21], v[36:37], v[78:79], v[20:21] op_sel_hi:[1,0,1]
	global_load_b128 v[34:37], v[10:11], off offset:12336
	s_wait_xcnt 0x0
	v_add_nc_u64_e32 v[10:11], 0x4000, v[10:11]
	s_wait_loadcnt 0xb
	v_pk_fma_f32 v[12:13], v[50:51], v[48:49], v[12:13] op_sel_hi:[1,0,1]
	v_pk_fma_f32 v[20:21], v[44:45], v[46:47], v[20:21] op_sel_hi:[1,0,1]
	s_wait_loadcnt 0xa
	s_delay_alu instid0(VALU_DEP_2) | instskip(NEXT) | instid1(VALU_DEP_2)
	v_pk_fma_f32 v[12:13], v[54:55], v[38:39], v[12:13] op_sel_hi:[1,0,1]
	v_pk_fma_f32 v[20:21], v[40:41], v[46:47], v[20:21] op_sel:[0,1,0]
	s_wait_loadcnt 0x7
	s_delay_alu instid0(VALU_DEP_2) | instskip(NEXT) | instid1(VALU_DEP_2)
	v_pk_fma_f32 v[12:13], v[62:63], v[66:67], v[12:13] op_sel_hi:[1,0,1]
	v_pk_fma_f32 v[20:21], v[52:53], v[48:49], v[20:21] op_sel_hi:[1,0,1]
	s_delay_alu instid0(VALU_DEP_2) | instskip(NEXT) | instid1(VALU_DEP_2)
	v_pk_fma_f32 v[12:13], v[58:59], v[66:67], v[12:13] op_sel:[0,1,0]
	v_pk_fma_f32 v[20:21], v[56:57], v[38:39], v[20:21] op_sel_hi:[1,0,1]
	v_mov_b32_e32 v38, v69
	s_wait_loadcnt 0x5
	s_delay_alu instid0(VALU_DEP_3) | instskip(NEXT) | instid1(VALU_DEP_3)
	v_pk_fma_f32 v[12:13], v[74:75], v[68:69], v[12:13] op_sel_hi:[1,0,1]
	v_pk_fma_f32 v[20:21], v[64:65], v[66:67], v[20:21] op_sel_hi:[1,0,1]
	s_delay_alu instid0(VALU_DEP_2) | instskip(NEXT) | instid1(VALU_DEP_2)
	v_pk_fma_f32 v[12:13], v[70:71], v[38:39], v[12:13] op_sel_hi:[1,0,1]
	v_pk_fma_f32 v[20:21], v[60:61], v[66:67], v[20:21] op_sel:[0,1,0]
	s_delay_alu instid0(VALU_DEP_1) | instskip(NEXT) | instid1(VALU_DEP_1)
	v_pk_fma_f32 v[20:21], v[76:77], v[68:69], v[20:21] op_sel_hi:[1,0,1]
	v_pk_fma_f32 v[20:21], v[72:73], v[38:39], v[20:21] op_sel_hi:[1,0,1]
	s_wait_loadcnt 0x2
	v_pk_fma_f32 v[12:13], v[22:23], v[16:17], v[12:13] op_sel_hi:[1,0,1]
	s_delay_alu instid0(VALU_DEP_2) | instskip(NEXT) | instid1(VALU_DEP_2)
	v_pk_fma_f32 v[20:21], v[24:25], v[16:17], v[20:21] op_sel_hi:[1,0,1]
	v_pk_fma_f32 v[12:13], v[26:27], v[16:17], v[12:13] op_sel:[0,1,0]
	s_delay_alu instid0(VALU_DEP_2) | instskip(SKIP_2) | instid1(VALU_DEP_3)
	v_pk_fma_f32 v[16:17], v[28:29], v[16:17], v[20:21] op_sel:[0,1,0]
	v_mov_b32_e32 v20, v19
	s_wait_loadcnt 0x1
	v_pk_fma_f32 v[12:13], v[30:31], v[18:19], v[12:13] op_sel_hi:[1,0,1]
	s_delay_alu instid0(VALU_DEP_3) | instskip(SKIP_1) | instid1(VALU_DEP_2)
	v_pk_fma_f32 v[16:17], v[32:33], v[18:19], v[16:17] op_sel_hi:[1,0,1]
	s_wait_loadcnt 0x0
	v_pk_fma_f32 v[12:13], v[34:35], v[20:21], v[12:13] op_sel_hi:[1,0,1]
	s_delay_alu instid0(VALU_DEP_2)
	v_pk_fma_f32 v[16:17], v[36:37], v[20:21], v[16:17] op_sel_hi:[1,0,1]
	s_and_not1_b32 exec_lo, exec_lo, s6
	s_cbranch_execnz .LBB44_35
; %bb.36:
	s_or_b32 exec_lo, exec_lo, s6
	s_delay_alu instid0(VALU_DEP_1)
	v_dual_mov_b32 v21, v17 :: v_dual_mov_b32 v20, v16
.LBB44_37:
	s_or_b32 exec_lo, exec_lo, s2
.LBB44_38:
	s_delay_alu instid0(SALU_CYCLE_1)
	s_or_b32 exec_lo, exec_lo, s3
.LBB44_39:
	v_mbcnt_lo_u32_b32 v1, -1, 0
	s_mov_b32 s2, -1
	s_delay_alu instid0(VALU_DEP_1) | instskip(SKIP_1) | instid1(VALU_DEP_1)
	v_xor_b32_e32 v8, 16, v1
	v_or_b32_e32 v4, 32, v1
	v_cmp_gt_i32_e32 vcc_lo, 32, v4
	v_cndmask_b32_e32 v4, v1, v4, vcc_lo
	s_delay_alu instid0(VALU_DEP_4) | instskip(NEXT) | instid1(VALU_DEP_2)
	v_cmp_gt_i32_e32 vcc_lo, 32, v8
	v_lshlrev_b32_e32 v7, 2, v4
	v_cndmask_b32_e32 v8, v1, v8, vcc_lo
	ds_bpermute_b32 v4, v7, v12
	ds_bpermute_b32 v5, v7, v13
	;; [unrolled: 1-line block ×4, first 2 shown]
	v_lshlrev_b32_e32 v11, 2, v8
	s_wait_dscnt 0x2
	v_pk_add_f32 v[4:5], v[12:13], v[4:5]
	v_xor_b32_e32 v12, 8, v1
	s_wait_dscnt 0x0
	v_pk_add_f32 v[6:7], v[20:21], v[6:7]
	ds_bpermute_b32 v8, v11, v4
	ds_bpermute_b32 v9, v11, v5
	;; [unrolled: 1-line block ×4, first 2 shown]
	v_cmp_gt_i32_e32 vcc_lo, 32, v12
	v_cndmask_b32_e32 v12, v1, v12, vcc_lo
	s_delay_alu instid0(VALU_DEP_1)
	v_lshlrev_b32_e32 v12, 2, v12
	s_wait_dscnt 0x2
	v_pk_add_f32 v[4:5], v[4:5], v[8:9]
	s_wait_dscnt 0x0
	v_pk_add_f32 v[6:7], v[6:7], v[10:11]
	ds_bpermute_b32 v8, v12, v4
	ds_bpermute_b32 v9, v12, v5
	;; [unrolled: 1-line block ×4, first 2 shown]
	v_xor_b32_e32 v12, 4, v1
	s_delay_alu instid0(VALU_DEP_1) | instskip(SKIP_1) | instid1(VALU_DEP_1)
	v_cmp_gt_i32_e32 vcc_lo, 32, v12
	v_cndmask_b32_e32 v12, v1, v12, vcc_lo
	v_lshlrev_b32_e32 v12, 2, v12
	s_wait_dscnt 0x2
	v_pk_add_f32 v[4:5], v[4:5], v[8:9]
	s_wait_dscnt 0x0
	v_pk_add_f32 v[6:7], v[6:7], v[10:11]
	ds_bpermute_b32 v8, v12, v4
	ds_bpermute_b32 v9, v12, v5
	;; [unrolled: 1-line block ×4, first 2 shown]
	v_xor_b32_e32 v12, 2, v1
	s_delay_alu instid0(VALU_DEP_1) | instskip(SKIP_1) | instid1(VALU_DEP_1)
	v_cmp_gt_i32_e32 vcc_lo, 32, v12
	v_cndmask_b32_e32 v12, v1, v12, vcc_lo
	v_lshlrev_b32_e32 v12, 2, v12
	s_wait_dscnt 0x2
	v_pk_add_f32 v[4:5], v[4:5], v[8:9]
	s_wait_dscnt 0x0
	v_pk_add_f32 v[6:7], v[6:7], v[10:11]
	ds_bpermute_b32 v8, v12, v4
	ds_bpermute_b32 v9, v12, v5
	;; [unrolled: 1-line block ×4, first 2 shown]
	v_xor_b32_e32 v12, 1, v1
	s_delay_alu instid0(VALU_DEP_1) | instskip(SKIP_2) | instid1(VALU_DEP_2)
	v_cmp_gt_i32_e32 vcc_lo, 32, v12
	v_cndmask_b32_e32 v1, v1, v12, vcc_lo
	v_cmp_eq_u32_e32 vcc_lo, 63, v0
	v_lshlrev_b32_e32 v1, 2, v1
	s_wait_dscnt 0x2
	v_pk_add_f32 v[4:5], v[4:5], v[8:9]
	s_wait_dscnt 0x0
	v_pk_add_f32 v[8:9], v[6:7], v[10:11]
	ds_bpermute_b32 v6, v1, v4
	ds_bpermute_b32 v7, v1, v5
	ds_bpermute_b32 v10, v1, v8
	ds_bpermute_b32 v11, v1, v9
	s_and_b32 exec_lo, exec_lo, vcc_lo
	s_cbranch_execz .LBB44_10
; %bb.40:
	s_load_b64 s[0:1], s[0:1], 0x58
	s_wait_dscnt 0x2
	v_pk_add_f32 v[6:7], v[4:5], v[6:7]
	s_wait_dscnt 0x0
	v_pk_add_f32 v[4:5], v[8:9], v[10:11]
	s_cmp_eq_f32 s16, 0
	s_wait_kmcnt 0x0
	v_lshl_add_u64 v[0:1], v[2:3], 4, s[0:1]
	s_cbranch_scc0 .LBB44_42
; %bb.41:
	v_pk_mul_f32 v[8:9], s[12:13], v[6:7] op_sel_hi:[0,1]
	v_pk_mul_f32 v[10:11], s[12:13], v[4:5] op_sel_hi:[0,1]
	s_mov_b32 s2, 0
	global_store_b128 v[0:1], v[8:11], off
.LBB44_42:
	s_and_not1_b32 vcc_lo, exec_lo, s2
	s_cbranch_vccnz .LBB44_10
; %bb.43:
	global_load_b128 v[8:11], v[0:1], off
	v_pk_mul_f32 v[2:3], s[12:13], v[6:7] op_sel_hi:[0,1]
	v_pk_mul_f32 v[4:5], s[12:13], v[4:5] op_sel_hi:[0,1]
	s_wait_loadcnt 0x0
	s_delay_alu instid0(VALU_DEP_2) | instskip(NEXT) | instid1(VALU_DEP_2)
	v_pk_fma_f32 v[2:3], s[16:17], v[8:9], v[2:3] op_sel_hi:[0,1,1]
	v_pk_fma_f32 v[4:5], s[16:17], v[10:11], v[4:5] op_sel_hi:[0,1,1]
	global_store_b128 v[0:1], v[2:5], off
	s_sendmsg sendmsg(MSG_DEALLOC_VGPRS)
	s_endpgm
	.section	.rodata,"a",@progbits
	.p2align	6, 0x0
	.amdhsa_kernel _ZN9rocsparseL18bsrxmvn_4x4_kernelILj128ELj64EfllfffEEvT3_20rocsparse_direction_NS_24const_host_device_scalarIT1_EES1_PKS1_PKT2_SA_S7_PKT4_PKT5_S5_PT6_21rocsparse_index_base_b
		.amdhsa_group_segment_fixed_size 0
		.amdhsa_private_segment_fixed_size 0
		.amdhsa_kernarg_size 104
		.amdhsa_user_sgpr_count 2
		.amdhsa_user_sgpr_dispatch_ptr 0
		.amdhsa_user_sgpr_queue_ptr 0
		.amdhsa_user_sgpr_kernarg_segment_ptr 1
		.amdhsa_user_sgpr_dispatch_id 0
		.amdhsa_user_sgpr_kernarg_preload_length 0
		.amdhsa_user_sgpr_kernarg_preload_offset 0
		.amdhsa_user_sgpr_private_segment_size 0
		.amdhsa_wavefront_size32 1
		.amdhsa_uses_dynamic_stack 0
		.amdhsa_enable_private_segment 0
		.amdhsa_system_sgpr_workgroup_id_x 1
		.amdhsa_system_sgpr_workgroup_id_y 0
		.amdhsa_system_sgpr_workgroup_id_z 0
		.amdhsa_system_sgpr_workgroup_info 0
		.amdhsa_system_vgpr_workitem_id 0
		.amdhsa_next_free_vgpr 106
		.amdhsa_next_free_sgpr 18
		.amdhsa_named_barrier_count 0
		.amdhsa_reserve_vcc 1
		.amdhsa_float_round_mode_32 0
		.amdhsa_float_round_mode_16_64 0
		.amdhsa_float_denorm_mode_32 3
		.amdhsa_float_denorm_mode_16_64 3
		.amdhsa_fp16_overflow 0
		.amdhsa_memory_ordered 1
		.amdhsa_forward_progress 1
		.amdhsa_inst_pref_size 32
		.amdhsa_round_robin_scheduling 0
		.amdhsa_exception_fp_ieee_invalid_op 0
		.amdhsa_exception_fp_denorm_src 0
		.amdhsa_exception_fp_ieee_div_zero 0
		.amdhsa_exception_fp_ieee_overflow 0
		.amdhsa_exception_fp_ieee_underflow 0
		.amdhsa_exception_fp_ieee_inexact 0
		.amdhsa_exception_int_div_zero 0
	.end_amdhsa_kernel
	.section	.text._ZN9rocsparseL18bsrxmvn_4x4_kernelILj128ELj64EfllfffEEvT3_20rocsparse_direction_NS_24const_host_device_scalarIT1_EES1_PKS1_PKT2_SA_S7_PKT4_PKT5_S5_PT6_21rocsparse_index_base_b,"axG",@progbits,_ZN9rocsparseL18bsrxmvn_4x4_kernelILj128ELj64EfllfffEEvT3_20rocsparse_direction_NS_24const_host_device_scalarIT1_EES1_PKS1_PKT2_SA_S7_PKT4_PKT5_S5_PT6_21rocsparse_index_base_b,comdat
.Lfunc_end44:
	.size	_ZN9rocsparseL18bsrxmvn_4x4_kernelILj128ELj64EfllfffEEvT3_20rocsparse_direction_NS_24const_host_device_scalarIT1_EES1_PKS1_PKT2_SA_S7_PKT4_PKT5_S5_PT6_21rocsparse_index_base_b, .Lfunc_end44-_ZN9rocsparseL18bsrxmvn_4x4_kernelILj128ELj64EfllfffEEvT3_20rocsparse_direction_NS_24const_host_device_scalarIT1_EES1_PKS1_PKT2_SA_S7_PKT4_PKT5_S5_PT6_21rocsparse_index_base_b
                                        ; -- End function
	.set _ZN9rocsparseL18bsrxmvn_4x4_kernelILj128ELj64EfllfffEEvT3_20rocsparse_direction_NS_24const_host_device_scalarIT1_EES1_PKS1_PKT2_SA_S7_PKT4_PKT5_S5_PT6_21rocsparse_index_base_b.num_vgpr, 106
	.set _ZN9rocsparseL18bsrxmvn_4x4_kernelILj128ELj64EfllfffEEvT3_20rocsparse_direction_NS_24const_host_device_scalarIT1_EES1_PKS1_PKT2_SA_S7_PKT4_PKT5_S5_PT6_21rocsparse_index_base_b.num_agpr, 0
	.set _ZN9rocsparseL18bsrxmvn_4x4_kernelILj128ELj64EfllfffEEvT3_20rocsparse_direction_NS_24const_host_device_scalarIT1_EES1_PKS1_PKT2_SA_S7_PKT4_PKT5_S5_PT6_21rocsparse_index_base_b.numbered_sgpr, 18
	.set _ZN9rocsparseL18bsrxmvn_4x4_kernelILj128ELj64EfllfffEEvT3_20rocsparse_direction_NS_24const_host_device_scalarIT1_EES1_PKS1_PKT2_SA_S7_PKT4_PKT5_S5_PT6_21rocsparse_index_base_b.num_named_barrier, 0
	.set _ZN9rocsparseL18bsrxmvn_4x4_kernelILj128ELj64EfllfffEEvT3_20rocsparse_direction_NS_24const_host_device_scalarIT1_EES1_PKS1_PKT2_SA_S7_PKT4_PKT5_S5_PT6_21rocsparse_index_base_b.private_seg_size, 0
	.set _ZN9rocsparseL18bsrxmvn_4x4_kernelILj128ELj64EfllfffEEvT3_20rocsparse_direction_NS_24const_host_device_scalarIT1_EES1_PKS1_PKT2_SA_S7_PKT4_PKT5_S5_PT6_21rocsparse_index_base_b.uses_vcc, 1
	.set _ZN9rocsparseL18bsrxmvn_4x4_kernelILj128ELj64EfllfffEEvT3_20rocsparse_direction_NS_24const_host_device_scalarIT1_EES1_PKS1_PKT2_SA_S7_PKT4_PKT5_S5_PT6_21rocsparse_index_base_b.uses_flat_scratch, 0
	.set _ZN9rocsparseL18bsrxmvn_4x4_kernelILj128ELj64EfllfffEEvT3_20rocsparse_direction_NS_24const_host_device_scalarIT1_EES1_PKS1_PKT2_SA_S7_PKT4_PKT5_S5_PT6_21rocsparse_index_base_b.has_dyn_sized_stack, 0
	.set _ZN9rocsparseL18bsrxmvn_4x4_kernelILj128ELj64EfllfffEEvT3_20rocsparse_direction_NS_24const_host_device_scalarIT1_EES1_PKS1_PKT2_SA_S7_PKT4_PKT5_S5_PT6_21rocsparse_index_base_b.has_recursion, 0
	.set _ZN9rocsparseL18bsrxmvn_4x4_kernelILj128ELj64EfllfffEEvT3_20rocsparse_direction_NS_24const_host_device_scalarIT1_EES1_PKS1_PKT2_SA_S7_PKT4_PKT5_S5_PT6_21rocsparse_index_base_b.has_indirect_call, 0
	.section	.AMDGPU.csdata,"",@progbits
; Kernel info:
; codeLenInByte = 4012
; TotalNumSgprs: 20
; NumVgprs: 106
; ScratchSize: 0
; MemoryBound: 1
; FloatMode: 240
; IeeeMode: 1
; LDSByteSize: 0 bytes/workgroup (compile time only)
; SGPRBlocks: 0
; VGPRBlocks: 6
; NumSGPRsForWavesPerEU: 20
; NumVGPRsForWavesPerEU: 106
; NamedBarCnt: 0
; Occupancy: 9
; WaveLimiterHint : 1
; COMPUTE_PGM_RSRC2:SCRATCH_EN: 0
; COMPUTE_PGM_RSRC2:USER_SGPR: 2
; COMPUTE_PGM_RSRC2:TRAP_HANDLER: 0
; COMPUTE_PGM_RSRC2:TGID_X_EN: 1
; COMPUTE_PGM_RSRC2:TGID_Y_EN: 0
; COMPUTE_PGM_RSRC2:TGID_Z_EN: 0
; COMPUTE_PGM_RSRC2:TIDIG_COMP_CNT: 0
	.section	.text._ZN9rocsparseL18bsrxmvn_4x4_kernelILj128ELj4EdlldddEEvT3_20rocsparse_direction_NS_24const_host_device_scalarIT1_EES1_PKS1_PKT2_SA_S7_PKT4_PKT5_S5_PT6_21rocsparse_index_base_b,"axG",@progbits,_ZN9rocsparseL18bsrxmvn_4x4_kernelILj128ELj4EdlldddEEvT3_20rocsparse_direction_NS_24const_host_device_scalarIT1_EES1_PKS1_PKT2_SA_S7_PKT4_PKT5_S5_PT6_21rocsparse_index_base_b,comdat
	.globl	_ZN9rocsparseL18bsrxmvn_4x4_kernelILj128ELj4EdlldddEEvT3_20rocsparse_direction_NS_24const_host_device_scalarIT1_EES1_PKS1_PKT2_SA_S7_PKT4_PKT5_S5_PT6_21rocsparse_index_base_b ; -- Begin function _ZN9rocsparseL18bsrxmvn_4x4_kernelILj128ELj4EdlldddEEvT3_20rocsparse_direction_NS_24const_host_device_scalarIT1_EES1_PKS1_PKT2_SA_S7_PKT4_PKT5_S5_PT6_21rocsparse_index_base_b
	.p2align	8
	.type	_ZN9rocsparseL18bsrxmvn_4x4_kernelILj128ELj4EdlldddEEvT3_20rocsparse_direction_NS_24const_host_device_scalarIT1_EES1_PKS1_PKT2_SA_S7_PKT4_PKT5_S5_PT6_21rocsparse_index_base_b,@function
_ZN9rocsparseL18bsrxmvn_4x4_kernelILj128ELj4EdlldddEEvT3_20rocsparse_direction_NS_24const_host_device_scalarIT1_EES1_PKS1_PKT2_SA_S7_PKT4_PKT5_S5_PT6_21rocsparse_index_base_b: ; @_ZN9rocsparseL18bsrxmvn_4x4_kernelILj128ELj4EdlldddEEvT3_20rocsparse_direction_NS_24const_host_device_scalarIT1_EES1_PKS1_PKT2_SA_S7_PKT4_PKT5_S5_PT6_21rocsparse_index_base_b
; %bb.0:
	s_clause 0x2
	s_load_b64 s[8:9], s[0:1], 0x60
	s_load_b128 s[4:7], s[0:1], 0x10
	s_load_b64 s[2:3], s[0:1], 0x50
	s_wait_kmcnt 0x0
	s_bitcmp1_b32 s9, 0
	v_mov_b64_e32 v[2:3], s[4:5]
	s_cselect_b32 s9, -1, 0
	s_delay_alu instid0(SALU_CYCLE_1)
	s_and_b32 vcc_lo, exec_lo, s9
	s_xor_b32 s9, s9, -1
	s_cbranch_vccnz .LBB45_2
; %bb.1:
	v_mov_b32_e32 v1, 0
	flat_load_b64 v[2:3], v1, s[4:5]
.LBB45_2:
	v_mov_b64_e32 v[8:9], s[2:3]
	s_and_not1_b32 vcc_lo, exec_lo, s9
	s_cbranch_vccnz .LBB45_4
; %bb.3:
	s_wait_xcnt 0x0
	v_mov_b32_e32 v1, 0
	flat_load_b64 v[8:9], v1, s[2:3]
.LBB45_4:
	s_wait_loadcnt_dscnt 0x0
	v_cmp_neq_f64_e32 vcc_lo, 0, v[2:3]
	s_delay_alu instid0(VALU_DEP_2) | instskip(SKIP_1) | instid1(SALU_CYCLE_1)
	v_cmp_neq_f64_e64 s2, 1.0, v[8:9]
	s_or_b32 s2, vcc_lo, s2
	s_and_saveexec_b32 s3, s2
	s_cbranch_execz .LBB45_10
; %bb.5:
	s_load_b64 s[2:3], s[0:1], 0x20
	s_bfe_u32 s4, ttmp6, 0x4000c
	s_and_b32 s5, ttmp6, 15
	s_add_co_i32 s4, s4, 1
	s_getreg_b32 s9, hwreg(HW_REG_IB_STS2, 6, 4)
	s_mul_i32 s4, ttmp9, s4
	v_dual_lshrrev_b32 v1, 2, v0 :: v_dual_mov_b32 v7, 0
	s_add_co_i32 s5, s5, s4
	s_cmp_eq_u32 s9, 0
	s_cselect_b32 s4, ttmp9, s5
	s_delay_alu instid0(VALU_DEP_1) | instid1(SALU_CYCLE_1)
	v_lshl_or_b32 v6, s4, 5, v1
	s_mov_b32 s4, 0
	s_wait_kmcnt 0x0
	s_cmp_lg_u64 s[2:3], 0
	s_cbranch_scc0 .LBB45_11
; %bb.6:
	v_cmp_gt_i64_e32 vcc_lo, s[6:7], v[6:7]
	s_mov_b32 s5, 0
                                        ; implicit-def: $vgpr10_vgpr11
                                        ; implicit-def: $vgpr4_vgpr5
	s_and_saveexec_b32 s6, vcc_lo
	s_delay_alu instid0(SALU_CYCLE_1)
	s_xor_b32 s6, exec_lo, s6
	s_cbranch_execz .LBB45_8
; %bb.7:
	v_lshl_add_u64 v[4:5], v[6:7], 3, s[2:3]
	s_mov_b32 s9, 0
	s_mov_b32 s4, exec_lo
	global_load_b64 v[4:5], v[4:5], off
	s_wait_loadcnt 0x0
	v_sub_nc_u64_e64 v[10:11], v[4:5], s[8:9]
	v_mov_b64_e32 v[4:5], s[8:9]
.LBB45_8:
	s_or_b32 exec_lo, exec_lo, s6
	s_delay_alu instid0(SALU_CYCLE_1)
	s_and_b32 vcc_lo, exec_lo, s5
	s_cbranch_vccnz .LBB45_12
.LBB45_9:
	s_and_b32 exec_lo, exec_lo, s4
	s_cbranch_execnz .LBB45_15
.LBB45_10:
	s_sendmsg sendmsg(MSG_DEALLOC_VGPRS)
	s_endpgm
.LBB45_11:
                                        ; implicit-def: $vgpr10_vgpr11
                                        ; implicit-def: $vgpr4_vgpr5
	s_cbranch_execz .LBB45_9
.LBB45_12:
	s_load_b64 s[2:3], s[0:1], 0x0
	s_wait_kmcnt 0x0
	v_cmp_gt_i64_e32 vcc_lo, s[2:3], v[6:7]
	s_and_saveexec_b32 s2, vcc_lo
; %bb.13:
	s_mov_b32 s9, 0
	s_or_b32 s4, s4, exec_lo
; %bb.14:
	s_or_b32 exec_lo, exec_lo, s2
	v_mov_b64_e32 v[4:5], s[8:9]
	v_mov_b64_e32 v[10:11], v[6:7]
	s_and_b32 exec_lo, exec_lo, s4
	s_cbranch_execz .LBB45_10
.LBB45_15:
	s_load_b256 s[4:11], s[0:1], 0x28
	s_delay_alu instid0(VALU_DEP_1) | instskip(SKIP_3) | instid1(VALU_DEP_2)
	v_lshlrev_b64_e32 v[6:7], 3, v[10:11]
	v_dual_mov_b32 v1, 0 :: v_dual_bitop2_b32 v0, 3, v0 bitop3:0x40
	s_load_b32 s3, s[0:1], 0x8
	s_wait_kmcnt 0x0
	v_add_nc_u64_e32 v[12:13], s[4:5], v[6:7]
	v_add_nc_u64_e32 v[6:7], s[6:7], v[6:7]
	s_cmp_eq_u64 s[6:7], 0
	s_load_b64 s[4:5], s[0:1], 0x48
	s_cselect_b32 vcc_lo, -1, 0
	s_cmp_eq_u32 s3, 1
	global_load_b64 v[24:25], v[12:13], off
	s_wait_xcnt 0x0
	v_add_nc_u64_e32 v[12:13], 8, v[12:13]
	s_delay_alu instid0(VALU_DEP_1) | instskip(SKIP_4) | instid1(VALU_DEP_1)
	v_dual_cndmask_b32 v7, v7, v13 :: v_dual_cndmask_b32 v6, v6, v12
	global_load_b64 v[12:13], v[6:7], off
	s_wait_loadcnt 0x1
	s_wait_xcnt 0x0
	v_sub_nc_u64_e32 v[6:7], v[24:25], v[4:5]
	v_add_nc_u64_e32 v[6:7], v[6:7], v[0:1]
	s_wait_loadcnt 0x0
	v_sub_nc_u64_e32 v[12:13], v[12:13], v[4:5]
	s_delay_alu instid0(VALU_DEP_2) | instskip(NEXT) | instid1(VALU_DEP_2)
	v_lshlrev_b64_e32 v[14:15], 7, v[6:7]
	v_cmp_lt_i64_e64 s2, v[6:7], v[12:13]
	s_delay_alu instid0(VALU_DEP_2)
	v_add_nc_u64_e32 v[14:15], s[10:11], v[14:15]
	s_cbranch_scc1 .LBB45_27
; %bb.16:
	v_mov_b64_e32 v[16:17], 0
	v_mov_b64_e32 v[18:19], 0
	;; [unrolled: 1-line block ×4, first 2 shown]
	s_and_saveexec_b32 s3, s2
	s_cbranch_execz .LBB45_26
; %bb.17:
	v_dual_mov_b32 v17, v1 :: v_dual_bitop2_b32 v16, 4, v0 bitop3:0x54
	v_sub_nc_u64_e32 v[18:19], v[4:5], v[0:1]
	v_not_b32_e32 v21, v25
	v_not_b32_e32 v20, v24
	v_mov_b64_e32 v[22:23], 0
	v_sub_nc_u64_e32 v[16:17], v[16:17], v[4:5]
	v_mov_b64_e32 v[26:27], v[6:7]
	v_mov_b64_e32 v[28:29], v[14:15]
	v_add_nc_u64_e32 v[18:19], v[18:19], v[20:21]
	v_mov_b64_e32 v[20:21], 0
	s_mov_b32 s6, exec_lo
	v_add_nc_u64_e32 v[16:17], v[16:17], v[24:25]
	s_delay_alu instid0(VALU_DEP_1) | instskip(NEXT) | instid1(VALU_DEP_1)
	v_max_i64 v[16:17], v[16:17], v[12:13]
	v_add_nc_u64_e32 v[30:31], v[18:19], v[16:17]
	v_mov_b64_e32 v[18:19], 0
	v_mov_b64_e32 v[16:17], 0
	s_delay_alu instid0(VALU_DEP_3) | instskip(NEXT) | instid1(VALU_DEP_1)
	v_dual_mov_b32 v35, 0 :: v_dual_bitop2_b32 v34, 12, v30 bitop3:0x40
	v_cmpx_ne_u64_e32 12, v[34:35]
	s_cbranch_execz .LBB45_21
; %bb.18:
	v_lshrrev_b32_e32 v16, 2, v30
	v_mov_b64_e32 v[18:19], 0
	v_mov_b64_e32 v[22:23], 0
	;; [unrolled: 1-line block ×4, first 2 shown]
	v_add_nc_u32_e32 v16, 1, v16
	v_mov_b64_e32 v[26:27], v[6:7]
	v_lshl_add_u64 v[32:33], v[6:7], 3, s[8:9]
	s_mov_b32 s7, 0
	s_delay_alu instid0(VALU_DEP_3) | instskip(SKIP_1) | instid1(VALU_DEP_2)
	v_and_b32_e32 v34, 3, v16
	v_mov_b64_e32 v[16:17], 0
	v_sub_nc_u64_e32 v[34:35], 0, v[34:35]
.LBB45_19:                              ; =>This Inner Loop Header: Depth=1
	global_load_b64 v[36:37], v[32:33], off
	v_add_nc_u64_e32 v[34:35], 1, v[34:35]
	v_add_nc_u64_e32 v[26:27], 4, v[26:27]
	s_wait_xcnt 0x0
	v_add_nc_u64_e32 v[32:33], 32, v[32:33]
	s_delay_alu instid0(VALU_DEP_3)
	v_cmp_eq_u64_e32 vcc_lo, 0, v[34:35]
	s_or_b32 s7, vcc_lo, s7
	s_wait_loadcnt 0x0
	v_sub_nc_u64_e32 v[44:45], v[36:37], v[4:5]
	s_clause 0x1
	global_load_b128 v[36:39], v[28:29], off offset:48
	global_load_b128 v[40:43], v[28:29], off offset:32
	v_lshlrev_b64_e32 v[56:57], 5, v[44:45]
	s_clause 0x2
	global_load_b128 v[44:47], v[28:29], off offset:16
	global_load_b128 v[48:51], v[28:29], off
	global_load_b128 v[52:55], v[28:29], off offset:112
	s_wait_kmcnt 0x0
	v_add_nc_u64_e32 v[76:77], s[4:5], v[56:57]
	s_clause 0x2
	global_load_b128 v[56:59], v[28:29], off offset:96
	global_load_b128 v[60:63], v[28:29], off offset:80
	;; [unrolled: 1-line block ×3, first 2 shown]
	s_clause 0x1
	global_load_b128 v[68:71], v[76:77], off
	global_load_b128 v[72:75], v[76:77], off offset:16
	s_wait_xcnt 0x2
	v_add_nc_u64_e32 v[28:29], 0x200, v[28:29]
	s_wait_loadcnt 0x1
	v_fmac_f64_e32 v[20:21], v[48:49], v[68:69]
	v_fmac_f64_e32 v[22:23], v[40:41], v[68:69]
	;; [unrolled: 1-line block ×4, first 2 shown]
	s_delay_alu instid0(VALU_DEP_4) | instskip(NEXT) | instid1(VALU_DEP_4)
	v_fmac_f64_e32 v[20:21], v[50:51], v[70:71]
	v_fmac_f64_e32 v[22:23], v[42:43], v[70:71]
	s_delay_alu instid0(VALU_DEP_4) | instskip(NEXT) | instid1(VALU_DEP_4)
	v_fmac_f64_e32 v[18:19], v[66:67], v[70:71]
	v_fmac_f64_e32 v[16:17], v[58:59], v[70:71]
	s_wait_loadcnt 0x0
	s_delay_alu instid0(VALU_DEP_4) | instskip(NEXT) | instid1(VALU_DEP_4)
	v_fmac_f64_e32 v[20:21], v[44:45], v[72:73]
	v_fmac_f64_e32 v[22:23], v[36:37], v[72:73]
	s_delay_alu instid0(VALU_DEP_4) | instskip(NEXT) | instid1(VALU_DEP_4)
	v_fmac_f64_e32 v[18:19], v[60:61], v[72:73]
	v_fmac_f64_e32 v[16:17], v[52:53], v[72:73]
	;; [unrolled: 3-line block ×4, first 2 shown]
	s_and_not1_b32 exec_lo, exec_lo, s7
	s_cbranch_execnz .LBB45_19
; %bb.20:
	s_or_b32 exec_lo, exec_lo, s7
.LBB45_21:
	s_delay_alu instid0(SALU_CYCLE_1) | instskip(NEXT) | instid1(SALU_CYCLE_1)
	s_or_b32 exec_lo, exec_lo, s6
	s_mov_b32 s6, exec_lo
	v_cmpx_lt_u64_e32 11, v[30:31]
	s_cbranch_execz .LBB45_25
; %bb.22:
	v_lshl_add_u64 v[30:31], v[26:27], 3, s[8:9]
	s_mov_b32 s7, 0
	s_delay_alu instid0(VALU_DEP_1)
	v_add_nc_u64_e32 v[30:31], 64, v[30:31]
.LBB45_23:                              ; =>This Inner Loop Header: Depth=1
	global_load_b64 v[124:125], v[30:31], off offset:-64
	s_clause 0xd
	global_load_b128 v[32:35], v[28:29], off offset:48
	global_load_b128 v[36:39], v[28:29], off offset:32
	;; [unrolled: 1-line block ×3, first 2 shown]
	global_load_b128 v[44:47], v[28:29], off
	global_load_b128 v[48:51], v[28:29], off offset:112
	global_load_b128 v[52:55], v[28:29], off offset:96
	;; [unrolled: 1-line block ×10, first 2 shown]
	s_clause 0x2
	global_load_b64 v[132:133], v[30:31], off offset:-32
	global_load_b64 v[134:135], v[30:31], off
	global_load_b64 v[136:137], v[30:31], off offset:32
	s_clause 0x8
	global_load_b128 v[88:91], v[28:29], off offset:592
	global_load_b128 v[92:95], v[28:29], off offset:576
	;; [unrolled: 1-line block ×9, first 2 shown]
	v_add_nc_u64_e32 v[26:27], 16, v[26:27]
	s_wait_xcnt 0x9
	v_add_nc_u64_e32 v[30:31], 0x80, v[30:31]
	s_delay_alu instid0(VALU_DEP_2) | instskip(SKIP_3) | instid1(VALU_DEP_1)
	v_cmp_ge_i64_e32 vcc_lo, v[26:27], v[12:13]
	s_or_b32 s7, vcc_lo, s7
	s_wait_loadcnt 0x1a
	v_sub_nc_u64_e32 v[124:125], v[124:125], v[4:5]
	v_lshlrev_b64_e32 v[124:125], 5, v[124:125]
	s_wait_kmcnt 0x0
	s_delay_alu instid0(VALU_DEP_1)
	v_add_nc_u64_e32 v[138:139], s[4:5], v[124:125]
	s_wait_loadcnt 0xb
	v_sub_nc_u64_e32 v[132:133], v[132:133], v[4:5]
	s_wait_loadcnt 0xa
	v_sub_nc_u64_e32 v[134:135], v[134:135], v[4:5]
	;; [unrolled: 2-line block ×3, first 2 shown]
	s_clause 0x1
	global_load_b128 v[124:127], v[138:139], off
	global_load_b128 v[128:131], v[138:139], off offset:16
	v_lshlrev_b64_e32 v[132:133], 5, v[132:133]
	v_lshlrev_b64_e32 v[134:135], 5, v[134:135]
	;; [unrolled: 1-line block ×3, first 2 shown]
	s_delay_alu instid0(VALU_DEP_3) | instskip(SKIP_1) | instid1(VALU_DEP_3)
	v_add_nc_u64_e32 v[132:133], s[4:5], v[132:133]
	s_wait_xcnt 0x0
	v_add_nc_u64_e32 v[138:139], s[4:5], v[134:135]
	s_delay_alu instid0(VALU_DEP_3)
	v_add_nc_u64_e32 v[136:137], s[4:5], v[136:137]
	s_wait_loadcnt 0x1
	v_fmac_f64_e32 v[18:19], v[60:61], v[124:125]
	v_fmac_f64_e32 v[20:21], v[44:45], v[124:125]
	v_fmac_f64_e32 v[22:23], v[36:37], v[124:125]
	v_fmac_f64_e32 v[16:17], v[52:53], v[124:125]
	s_delay_alu instid0(VALU_DEP_4)
	v_fmac_f64_e32 v[18:19], v[62:63], v[126:127]
	global_load_b128 v[60:63], v[132:133], off
	v_fmac_f64_e32 v[20:21], v[46:47], v[126:127]
	global_load_b128 v[44:47], v[28:29], off offset:1088
	v_fmac_f64_e32 v[22:23], v[38:39], v[126:127]
	global_load_b128 v[36:39], v[28:29], off offset:1584
	v_fmac_f64_e32 v[16:17], v[54:55], v[126:127]
	s_clause 0x1
	global_load_b128 v[52:55], v[28:29], off offset:1568
	global_load_b128 v[124:127], v[28:29], off offset:1552
	s_wait_loadcnt 0x5
	v_fmac_f64_e32 v[18:19], v[56:57], v[128:129]
	v_fmac_f64_e32 v[20:21], v[40:41], v[128:129]
	;; [unrolled: 1-line block ×4, first 2 shown]
	s_delay_alu instid0(VALU_DEP_4)
	v_fmac_f64_e32 v[18:19], v[58:59], v[130:131]
	global_load_b128 v[56:59], v[28:29], off offset:1536
	v_fmac_f64_e32 v[20:21], v[42:43], v[130:131]
	global_load_b128 v[40:43], v[132:133], off offset:16
	v_fmac_f64_e32 v[22:23], v[34:35], v[130:131]
	global_load_b128 v[32:35], v[138:139], off
	v_fmac_f64_e32 v[16:17], v[50:51], v[130:131]
	s_clause 0x1
	global_load_b128 v[48:51], v[28:29], off offset:1648
	global_load_b128 v[128:131], v[28:29], off offset:1632
	;; [unrolled: 1-line block ×3, first 2 shown]
	s_wait_loadcnt 0xa
	v_fmac_f64_e32 v[20:21], v[76:77], v[60:61]
	v_fmac_f64_e32 v[22:23], v[68:69], v[60:61]
	;; [unrolled: 1-line block ×4, first 2 shown]
	s_delay_alu instid0(VALU_DEP_4)
	v_fmac_f64_e32 v[20:21], v[78:79], v[62:63]
	global_load_b128 v[76:79], v[28:29], off offset:1600
	v_fmac_f64_e32 v[22:23], v[70:71], v[62:63]
	global_load_b128 v[68:71], v[136:137], off
	v_fmac_f64_e32 v[18:19], v[94:95], v[62:63]
	global_load_b128 v[92:95], v[28:29], off offset:1616
	v_fmac_f64_e32 v[16:17], v[86:87], v[62:63]
	global_load_b128 v[60:63], v[136:137], off offset:16
	s_wait_xcnt 0x1
	v_add_nc_u64_e32 v[28:29], 0x800, v[28:29]
	s_wait_loadcnt 0x8
	v_fmac_f64_e32 v[20:21], v[72:73], v[40:41]
	v_fmac_f64_e32 v[22:23], v[64:65], v[40:41]
	v_fmac_f64_e32 v[18:19], v[88:89], v[40:41]
	v_fmac_f64_e32 v[16:17], v[80:81], v[40:41]
	s_delay_alu instid0(VALU_DEP_4) | instskip(NEXT) | instid1(VALU_DEP_4)
	v_fmac_f64_e32 v[20:21], v[74:75], v[42:43]
	v_fmac_f64_e32 v[22:23], v[66:67], v[42:43]
	s_delay_alu instid0(VALU_DEP_4) | instskip(NEXT) | instid1(VALU_DEP_4)
	v_fmac_f64_e32 v[18:19], v[90:91], v[42:43]
	v_fmac_f64_e32 v[16:17], v[82:83], v[42:43]
	s_wait_loadcnt 0x7
	s_delay_alu instid0(VALU_DEP_4) | instskip(NEXT) | instid1(VALU_DEP_4)
	v_fmac_f64_e32 v[20:21], v[108:109], v[32:33]
	v_fmac_f64_e32 v[22:23], v[100:101], v[32:33]
	s_delay_alu instid0(VALU_DEP_4) | instskip(NEXT) | instid1(VALU_DEP_4)
	v_fmac_f64_e32 v[18:19], v[44:45], v[32:33]
	v_fmac_f64_e32 v[16:17], v[116:117], v[32:33]
	s_delay_alu instid0(VALU_DEP_4) | instskip(NEXT) | instid1(VALU_DEP_4)
	v_fmac_f64_e32 v[20:21], v[110:111], v[34:35]
	v_fmac_f64_e32 v[22:23], v[102:103], v[34:35]
	s_delay_alu instid0(VALU_DEP_4) | instskip(NEXT) | instid1(VALU_DEP_4)
	v_fmac_f64_e32 v[18:19], v[46:47], v[34:35]
	v_fmac_f64_e32 v[16:17], v[118:119], v[34:35]
	s_wait_loadcnt 0x4
	s_delay_alu instid0(VALU_DEP_4) | instskip(NEXT) | instid1(VALU_DEP_4)
	v_fmac_f64_e32 v[20:21], v[104:105], v[132:133]
	v_fmac_f64_e32 v[22:23], v[96:97], v[132:133]
	s_delay_alu instid0(VALU_DEP_4) | instskip(NEXT) | instid1(VALU_DEP_4)
	v_fmac_f64_e32 v[18:19], v[120:121], v[132:133]
	v_fmac_f64_e32 v[16:17], v[112:113], v[132:133]
	s_delay_alu instid0(VALU_DEP_4) | instskip(NEXT) | instid1(VALU_DEP_4)
	v_fmac_f64_e32 v[20:21], v[106:107], v[134:135]
	v_fmac_f64_e32 v[22:23], v[98:99], v[134:135]
	s_delay_alu instid0(VALU_DEP_4) | instskip(NEXT) | instid1(VALU_DEP_4)
	v_fmac_f64_e32 v[18:19], v[122:123], v[134:135]
	v_fmac_f64_e32 v[16:17], v[114:115], v[134:135]
	s_wait_loadcnt 0x2
	s_delay_alu instid0(VALU_DEP_4) | instskip(NEXT) | instid1(VALU_DEP_4)
	v_fmac_f64_e32 v[20:21], v[56:57], v[68:69]
	v_fmac_f64_e32 v[22:23], v[52:53], v[68:69]
	s_delay_alu instid0(VALU_DEP_4) | instskip(NEXT) | instid1(VALU_DEP_4)
	v_fmac_f64_e32 v[18:19], v[76:77], v[68:69]
	v_fmac_f64_e32 v[16:17], v[128:129], v[68:69]
	s_delay_alu instid0(VALU_DEP_4) | instskip(NEXT) | instid1(VALU_DEP_4)
	v_fmac_f64_e32 v[20:21], v[58:59], v[70:71]
	v_fmac_f64_e32 v[22:23], v[54:55], v[70:71]
	s_delay_alu instid0(VALU_DEP_4) | instskip(NEXT) | instid1(VALU_DEP_4)
	v_fmac_f64_e32 v[18:19], v[78:79], v[70:71]
	v_fmac_f64_e32 v[16:17], v[130:131], v[70:71]
	s_wait_loadcnt 0x0
	s_delay_alu instid0(VALU_DEP_4) | instskip(NEXT) | instid1(VALU_DEP_4)
	v_fmac_f64_e32 v[20:21], v[124:125], v[60:61]
	v_fmac_f64_e32 v[22:23], v[36:37], v[60:61]
	s_delay_alu instid0(VALU_DEP_4) | instskip(NEXT) | instid1(VALU_DEP_4)
	v_fmac_f64_e32 v[18:19], v[92:93], v[60:61]
	v_fmac_f64_e32 v[16:17], v[48:49], v[60:61]
	s_delay_alu instid0(VALU_DEP_4) | instskip(NEXT) | instid1(VALU_DEP_4)
	v_fmac_f64_e32 v[20:21], v[126:127], v[62:63]
	v_fmac_f64_e32 v[22:23], v[38:39], v[62:63]
	s_delay_alu instid0(VALU_DEP_4) | instskip(NEXT) | instid1(VALU_DEP_4)
	v_fmac_f64_e32 v[18:19], v[94:95], v[62:63]
	v_fmac_f64_e32 v[16:17], v[50:51], v[62:63]
	s_and_not1_b32 exec_lo, exec_lo, s7
	s_cbranch_execnz .LBB45_23
; %bb.24:
	s_or_b32 exec_lo, exec_lo, s7
.LBB45_25:
	s_delay_alu instid0(SALU_CYCLE_1)
	s_or_b32 exec_lo, exec_lo, s6
.LBB45_26:
	s_delay_alu instid0(SALU_CYCLE_1)
	s_or_b32 exec_lo, exec_lo, s3
	s_cbranch_execz .LBB45_28
	s_branch .LBB45_39
.LBB45_27:
                                        ; implicit-def: $vgpr16_vgpr17
                                        ; implicit-def: $vgpr18_vgpr19
                                        ; implicit-def: $vgpr22_vgpr23
                                        ; implicit-def: $vgpr20_vgpr21
.LBB45_28:
	v_mov_b64_e32 v[16:17], 0
	v_mov_b64_e32 v[18:19], 0
	v_mov_b64_e32 v[22:23], 0
	v_mov_b64_e32 v[20:21], 0
	s_and_saveexec_b32 s3, s2
	s_cbranch_execz .LBB45_38
; %bb.29:
	v_dual_mov_b32 v17, v1 :: v_dual_bitop2_b32 v16, 4, v0 bitop3:0x54
	v_sub_nc_u64_e32 v[18:19], v[4:5], v[0:1]
	v_not_b32_e32 v21, v25
	v_not_b32_e32 v20, v24
	v_mov_b64_e32 v[22:23], 0
	v_sub_nc_u64_e32 v[16:17], v[16:17], v[4:5]
	s_mov_b32 s2, exec_lo
	s_delay_alu instid0(VALU_DEP_3) | instskip(SKIP_1) | instid1(VALU_DEP_3)
	v_add_nc_u64_e32 v[18:19], v[18:19], v[20:21]
	v_mov_b64_e32 v[20:21], 0
	v_add_nc_u64_e32 v[16:17], v[16:17], v[24:25]
	s_delay_alu instid0(VALU_DEP_1) | instskip(NEXT) | instid1(VALU_DEP_1)
	v_max_i64 v[16:17], v[16:17], v[12:13]
	v_add_nc_u64_e32 v[24:25], v[18:19], v[16:17]
	v_mov_b64_e32 v[18:19], 0
	v_mov_b64_e32 v[16:17], 0
	s_delay_alu instid0(VALU_DEP_3) | instskip(NEXT) | instid1(VALU_DEP_1)
	v_dual_mov_b32 v27, 0 :: v_dual_bitop2_b32 v26, 12, v24 bitop3:0x40
	v_cmpx_ne_u64_e32 12, v[26:27]
	s_cbranch_execz .LBB45_33
; %bb.30:
	v_lshrrev_b32_e32 v1, 2, v24
	v_mov_b64_e32 v[16:17], 0
	v_mov_b64_e32 v[18:19], 0
	;; [unrolled: 1-line block ×4, first 2 shown]
	v_add_nc_u32_e32 v1, 1, v1
	v_lshl_add_u64 v[28:29], v[6:7], 3, s[8:9]
	s_mov_b32 s6, 0
	s_delay_alu instid0(VALU_DEP_2) | instskip(NEXT) | instid1(VALU_DEP_1)
	v_and_b32_e32 v26, 3, v1
	v_sub_nc_u64_e32 v[26:27], 0, v[26:27]
.LBB45_31:                              ; =>This Inner Loop Header: Depth=1
	global_load_b64 v[30:31], v[28:29], off
	v_add_nc_u64_e32 v[26:27], 1, v[26:27]
	v_add_nc_u64_e32 v[6:7], 4, v[6:7]
	s_wait_xcnt 0x0
	v_add_nc_u64_e32 v[28:29], 32, v[28:29]
	s_delay_alu instid0(VALU_DEP_3) | instskip(SKIP_3) | instid1(VALU_DEP_1)
	v_cmp_eq_u64_e32 vcc_lo, 0, v[26:27]
	s_or_b32 s6, vcc_lo, s6
	s_wait_loadcnt 0x0
	v_sub_nc_u64_e32 v[30:31], v[30:31], v[4:5]
	v_lshlrev_b64_e32 v[30:31], 5, v[30:31]
	s_wait_kmcnt 0x0
	s_delay_alu instid0(VALU_DEP_1)
	v_add_nc_u64_e32 v[70:71], s[4:5], v[30:31]
	s_clause 0x1
	global_load_b128 v[30:33], v[14:15], off offset:16
	global_load_b128 v[34:37], v[14:15], off
	s_clause 0x1
	global_load_b128 v[38:41], v[70:71], off
	global_load_b128 v[42:45], v[70:71], off offset:16
	s_clause 0x5
	global_load_b128 v[46:49], v[14:15], off offset:32
	global_load_b128 v[50:53], v[14:15], off offset:48
	;; [unrolled: 1-line block ×6, first 2 shown]
	s_wait_xcnt 0x0
	v_add_nc_u64_e32 v[14:15], 0x200, v[14:15]
	s_wait_loadcnt 0x7
	v_fmac_f64_e32 v[20:21], v[34:35], v[38:39]
	v_fmac_f64_e32 v[22:23], v[36:37], v[38:39]
	;; [unrolled: 1-line block ×4, first 2 shown]
	s_wait_loadcnt 0x5
	s_delay_alu instid0(VALU_DEP_4) | instskip(NEXT) | instid1(VALU_DEP_4)
	v_fmac_f64_e32 v[20:21], v[46:47], v[40:41]
	v_fmac_f64_e32 v[22:23], v[48:49], v[40:41]
	s_wait_loadcnt 0x4
	s_delay_alu instid0(VALU_DEP_4) | instskip(NEXT) | instid1(VALU_DEP_4)
	v_fmac_f64_e32 v[18:19], v[50:51], v[40:41]
	v_fmac_f64_e32 v[16:17], v[52:53], v[40:41]
	;; [unrolled: 4-line block ×6, first 2 shown]
	s_and_not1_b32 exec_lo, exec_lo, s6
	s_cbranch_execnz .LBB45_31
; %bb.32:
	s_or_b32 exec_lo, exec_lo, s6
.LBB45_33:
	s_delay_alu instid0(SALU_CYCLE_1) | instskip(NEXT) | instid1(SALU_CYCLE_1)
	s_or_b32 exec_lo, exec_lo, s2
	s_mov_b32 s2, exec_lo
	v_cmpx_lt_u64_e32 11, v[24:25]
	s_cbranch_execz .LBB45_37
; %bb.34:
	v_lshl_add_u64 v[24:25], v[6:7], 3, s[8:9]
	s_mov_b32 s6, 0
	s_delay_alu instid0(VALU_DEP_1)
	v_add_nc_u64_e32 v[24:25], 64, v[24:25]
.LBB45_35:                              ; =>This Inner Loop Header: Depth=1
	s_clause 0x1
	global_load_b64 v[82:83], v[24:25], off offset:-64
	global_load_b64 v[84:85], v[24:25], off offset:-32
	s_clause 0x9
	global_load_b128 v[26:29], v[14:15], off offset:48
	global_load_b128 v[30:33], v[14:15], off offset:32
	;; [unrolled: 1-line block ×3, first 2 shown]
	global_load_b128 v[38:41], v[14:15], off
	global_load_b128 v[42:45], v[14:15], off offset:112
	global_load_b128 v[46:49], v[14:15], off offset:96
	;; [unrolled: 1-line block ×6, first 2 shown]
	s_clause 0x1
	global_load_b64 v[106:107], v[24:25], off
	global_load_b64 v[114:115], v[24:25], off offset:32
	s_clause 0x3
	global_load_b128 v[66:69], v[14:15], off offset:528
	global_load_b128 v[70:73], v[14:15], off offset:512
	;; [unrolled: 1-line block ×4, first 2 shown]
	v_add_nc_u64_e32 v[6:7], 16, v[6:7]
	s_wait_xcnt 0x4
	v_add_nc_u64_e32 v[24:25], 0x80, v[24:25]
	s_delay_alu instid0(VALU_DEP_2)
	v_cmp_ge_i64_e32 vcc_lo, v[6:7], v[12:13]
	s_or_b32 s6, vcc_lo, s6
	s_wait_loadcnt 0x11
	v_sub_nc_u64_e32 v[82:83], v[82:83], v[4:5]
	s_wait_loadcnt 0x10
	v_sub_nc_u64_e32 v[84:85], v[84:85], v[4:5]
	s_delay_alu instid0(VALU_DEP_2) | instskip(NEXT) | instid1(VALU_DEP_2)
	v_lshlrev_b64_e32 v[82:83], 5, v[82:83]
	v_lshlrev_b64_e32 v[84:85], 5, v[84:85]
	s_wait_loadcnt 0x5
	v_sub_nc_u64_e32 v[106:107], v[106:107], v[4:5]
	s_wait_kmcnt 0x0
	s_delay_alu instid0(VALU_DEP_3) | instskip(NEXT) | instid1(VALU_DEP_3)
	v_add_nc_u64_e32 v[108:109], s[4:5], v[82:83]
	v_add_nc_u64_e32 v[110:111], s[4:5], v[84:85]
	s_clause 0x3
	global_load_b128 v[82:85], v[108:109], off
	global_load_b128 v[86:89], v[108:109], off offset:16
	global_load_b128 v[90:93], v[110:111], off
	global_load_b128 v[94:97], v[110:111], off offset:16
	s_clause 0x1
	global_load_b128 v[98:101], v[14:15], off offset:608
	global_load_b128 v[102:105], v[14:15], off offset:624
	s_wait_xcnt 0x2
	v_lshlrev_b64_e32 v[110:111], 5, v[106:107]
	global_load_b128 v[106:109], v[14:15], off offset:1040
	v_add_nc_u64_e32 v[116:117], s[4:5], v[110:111]
	s_wait_loadcnt 0x6
	v_fmac_f64_e32 v[20:21], v[38:39], v[82:83]
	v_fmac_f64_e32 v[22:23], v[40:41], v[82:83]
	global_load_b128 v[38:41], v[14:15], off offset:1024
	v_fmac_f64_e32 v[18:19], v[34:35], v[82:83]
	v_fmac_f64_e32 v[16:17], v[36:37], v[82:83]
	global_load_b128 v[34:37], v[116:117], off
	v_fmac_f64_e32 v[20:21], v[30:31], v[84:85]
	v_fmac_f64_e32 v[22:23], v[32:33], v[84:85]
	global_load_b128 v[30:33], v[14:15], off offset:1056
	v_fmac_f64_e32 v[18:19], v[26:27], v[84:85]
	v_fmac_f64_e32 v[16:17], v[28:29], v[84:85]
	s_clause 0x1
	global_load_b128 v[26:29], v[14:15], off offset:1072
	global_load_b128 v[82:85], v[14:15], off offset:1088
	s_wait_loadcnt 0xa
	v_fmac_f64_e32 v[20:21], v[54:55], v[86:87]
	v_fmac_f64_e32 v[22:23], v[56:57], v[86:87]
	global_load_b128 v[54:57], v[14:15], off offset:1104
	global_load_b128 v[110:113], v[116:117], off offset:16
	v_fmac_f64_e32 v[18:19], v[50:51], v[86:87]
	v_fmac_f64_e32 v[16:17], v[52:53], v[86:87]
	global_load_b128 v[50:53], v[14:15], off offset:1120
	v_sub_nc_u64_e32 v[86:87], v[114:115], v[4:5]
	s_delay_alu instid0(VALU_DEP_1) | instskip(NEXT) | instid1(VALU_DEP_1)
	v_lshlrev_b64_e32 v[86:87], 5, v[86:87]
	v_add_nc_u64_e32 v[114:115], s[4:5], v[86:87]
	v_fmac_f64_e32 v[20:21], v[46:47], v[88:89]
	v_fmac_f64_e32 v[22:23], v[48:49], v[88:89]
	global_load_b128 v[46:49], v[14:15], off offset:1136
	v_fmac_f64_e32 v[18:19], v[42:43], v[88:89]
	v_fmac_f64_e32 v[16:17], v[44:45], v[88:89]
	s_clause 0x1
	global_load_b128 v[42:45], v[14:15], off offset:1552
	global_load_b128 v[86:89], v[14:15], off offset:1536
	s_wait_loadcnt 0xf
	v_fmac_f64_e32 v[20:21], v[70:71], v[90:91]
	v_fmac_f64_e32 v[22:23], v[72:73], v[90:91]
	global_load_b128 v[70:73], v[114:115], off
	v_fmac_f64_e32 v[18:19], v[66:67], v[90:91]
	v_fmac_f64_e32 v[16:17], v[68:69], v[90:91]
	global_load_b128 v[66:69], v[14:15], off offset:1568
	v_fmac_f64_e32 v[20:21], v[62:63], v[92:93]
	v_fmac_f64_e32 v[22:23], v[64:65], v[92:93]
	global_load_b128 v[62:65], v[14:15], off offset:1584
	v_fmac_f64_e32 v[18:19], v[58:59], v[92:93]
	v_fmac_f64_e32 v[16:17], v[60:61], v[92:93]
	s_clause 0x1
	global_load_b128 v[58:61], v[14:15], off offset:1600
	global_load_b128 v[90:93], v[14:15], off offset:1616
	s_wait_loadcnt 0x13
	v_fmac_f64_e32 v[20:21], v[78:79], v[94:95]
	v_fmac_f64_e32 v[22:23], v[80:81], v[94:95]
	global_load_b128 v[78:81], v[114:115], off offset:16
	v_fmac_f64_e32 v[18:19], v[74:75], v[94:95]
	v_fmac_f64_e32 v[16:17], v[76:77], v[94:95]
	global_load_b128 v[74:77], v[14:15], off offset:1632
	s_wait_loadcnt 0x14
	v_fmac_f64_e32 v[20:21], v[98:99], v[96:97]
	v_fmac_f64_e32 v[22:23], v[100:101], v[96:97]
	global_load_b128 v[98:101], v[14:15], off offset:1648
	s_wait_loadcnt 0x14
	v_fmac_f64_e32 v[18:19], v[102:103], v[96:97]
	v_fmac_f64_e32 v[16:17], v[104:105], v[96:97]
	s_wait_xcnt 0x0
	v_add_nc_u64_e32 v[14:15], 0x800, v[14:15]
	s_wait_loadcnt 0x11
	v_fmac_f64_e32 v[20:21], v[38:39], v[34:35]
	v_fmac_f64_e32 v[22:23], v[40:41], v[34:35]
	;; [unrolled: 1-line block ×4, first 2 shown]
	s_wait_loadcnt 0x10
	s_delay_alu instid0(VALU_DEP_4) | instskip(NEXT) | instid1(VALU_DEP_4)
	v_fmac_f64_e32 v[20:21], v[30:31], v[36:37]
	v_fmac_f64_e32 v[22:23], v[32:33], v[36:37]
	s_wait_loadcnt 0xf
	s_delay_alu instid0(VALU_DEP_4) | instskip(NEXT) | instid1(VALU_DEP_4)
	v_fmac_f64_e32 v[18:19], v[26:27], v[36:37]
	v_fmac_f64_e32 v[16:17], v[28:29], v[36:37]
	s_wait_loadcnt 0xc
	s_delay_alu instid0(VALU_DEP_4) | instskip(NEXT) | instid1(VALU_DEP_4)
	v_fmac_f64_e32 v[20:21], v[82:83], v[110:111]
	v_fmac_f64_e32 v[22:23], v[84:85], v[110:111]
	s_delay_alu instid0(VALU_DEP_4) | instskip(NEXT) | instid1(VALU_DEP_4)
	v_fmac_f64_e32 v[18:19], v[54:55], v[110:111]
	v_fmac_f64_e32 v[16:17], v[56:57], v[110:111]
	s_wait_loadcnt 0xb
	s_delay_alu instid0(VALU_DEP_4) | instskip(NEXT) | instid1(VALU_DEP_4)
	v_fmac_f64_e32 v[20:21], v[50:51], v[112:113]
	v_fmac_f64_e32 v[22:23], v[52:53], v[112:113]
	s_wait_loadcnt 0xa
	s_delay_alu instid0(VALU_DEP_4) | instskip(NEXT) | instid1(VALU_DEP_4)
	v_fmac_f64_e32 v[18:19], v[46:47], v[112:113]
	v_fmac_f64_e32 v[16:17], v[48:49], v[112:113]
	s_wait_loadcnt 0x7
	s_delay_alu instid0(VALU_DEP_4) | instskip(NEXT) | instid1(VALU_DEP_4)
	v_fmac_f64_e32 v[20:21], v[86:87], v[70:71]
	v_fmac_f64_e32 v[22:23], v[88:89], v[70:71]
	s_delay_alu instid0(VALU_DEP_4) | instskip(NEXT) | instid1(VALU_DEP_4)
	v_fmac_f64_e32 v[18:19], v[42:43], v[70:71]
	v_fmac_f64_e32 v[16:17], v[44:45], v[70:71]
	;; [unrolled: 15-line block ×3, first 2 shown]
	s_wait_loadcnt 0x1
	s_delay_alu instid0(VALU_DEP_4) | instskip(NEXT) | instid1(VALU_DEP_4)
	v_fmac_f64_e32 v[20:21], v[74:75], v[80:81]
	v_fmac_f64_e32 v[22:23], v[76:77], v[80:81]
	s_wait_loadcnt 0x0
	s_delay_alu instid0(VALU_DEP_4) | instskip(NEXT) | instid1(VALU_DEP_4)
	v_fmac_f64_e32 v[18:19], v[98:99], v[80:81]
	v_fmac_f64_e32 v[16:17], v[100:101], v[80:81]
	s_and_not1_b32 exec_lo, exec_lo, s6
	s_cbranch_execnz .LBB45_35
; %bb.36:
	s_or_b32 exec_lo, exec_lo, s6
.LBB45_37:
	s_delay_alu instid0(SALU_CYCLE_1)
	s_or_b32 exec_lo, exec_lo, s2
.LBB45_38:
	s_delay_alu instid0(SALU_CYCLE_1)
	s_or_b32 exec_lo, exec_lo, s3
.LBB45_39:
	v_mbcnt_lo_u32_b32 v1, -1, 0
	s_delay_alu instid0(VALU_DEP_1) | instskip(NEXT) | instid1(VALU_DEP_1)
	v_xor_b32_e32 v4, 2, v1
	v_cmp_gt_i32_e32 vcc_lo, 32, v4
	v_cndmask_b32_e32 v4, v1, v4, vcc_lo
	s_delay_alu instid0(VALU_DEP_1)
	v_lshlrev_b32_e32 v12, 2, v4
	ds_bpermute_b32 v4, v12, v20
	ds_bpermute_b32 v5, v12, v21
	;; [unrolled: 1-line block ×8, first 2 shown]
	s_wait_dscnt 0x6
	v_add_f64_e32 v[14:15], v[20:21], v[4:5]
	s_wait_dscnt 0x4
	v_add_f64_e32 v[12:13], v[22:23], v[6:7]
	;; [unrolled: 2-line block ×3, first 2 shown]
	s_wait_dscnt 0x0
	v_dual_add_f64 v[6:7], v[16:17], v[26:27] :: v_dual_bitop2_b32 v16, 1, v1 bitop3:0x14
	s_delay_alu instid0(VALU_DEP_1) | instskip(SKIP_2) | instid1(VALU_DEP_2)
	v_cmp_gt_i32_e32 vcc_lo, 32, v16
	v_cndmask_b32_e32 v1, v1, v16, vcc_lo
	v_cmp_eq_u32_e32 vcc_lo, 3, v0
	v_lshlrev_b32_e32 v1, 2, v1
	ds_bpermute_b32 v22, v1, v14
	ds_bpermute_b32 v23, v1, v15
	;; [unrolled: 1-line block ×8, first 2 shown]
	s_and_b32 exec_lo, exec_lo, vcc_lo
	s_cbranch_execz .LBB45_10
; %bb.40:
	s_wait_dscnt 0x6
	v_add_f64_e32 v[0:1], v[14:15], v[22:23]
	s_wait_dscnt 0x4
	v_add_f64_e32 v[12:13], v[12:13], v[20:21]
	;; [unrolled: 2-line block ×4, first 2 shown]
	s_load_b64 s[0:1], s[0:1], 0x58
	v_lshlrev_b64_e32 v[10:11], 5, v[10:11]
	s_mov_b32 s2, exec_lo
	v_mul_f64_e32 v[4:5], v[2:3], v[0:1]
	v_mul_f64_e32 v[6:7], v[2:3], v[12:13]
	;; [unrolled: 1-line block ×4, first 2 shown]
	v_cmpx_eq_f64_e32 0, v[8:9]
	s_xor_b32 s2, exec_lo, s2
	s_cbranch_execz .LBB45_42
; %bb.41:
	s_wait_kmcnt 0x0
	v_add_nc_u64_e32 v[8:9], s[0:1], v[10:11]
                                        ; implicit-def: $vgpr10_vgpr11
	s_clause 0x1
	global_store_b128 v[8:9], v[4:7], off
	global_store_b128 v[8:9], v[0:3], off offset:16
                                        ; implicit-def: $vgpr8_vgpr9
                                        ; implicit-def: $vgpr4_vgpr5
                                        ; implicit-def: $vgpr0_vgpr1
.LBB45_42:
	s_wait_xcnt 0x0
	s_and_not1_saveexec_b32 s2, s2
	s_cbranch_execz .LBB45_10
; %bb.43:
	s_wait_kmcnt 0x0
	v_add_nc_u64_e32 v[18:19], s[0:1], v[10:11]
	s_clause 0x1
	global_load_b128 v[10:13], v[18:19], off
	global_load_b128 v[14:17], v[18:19], off offset:16
	s_wait_loadcnt 0x1
	v_fmac_f64_e32 v[4:5], v[8:9], v[10:11]
	v_fmac_f64_e32 v[6:7], v[8:9], v[12:13]
	s_wait_loadcnt 0x0
	v_fmac_f64_e32 v[0:1], v[8:9], v[14:15]
	v_fmac_f64_e32 v[2:3], v[8:9], v[16:17]
	s_clause 0x1
	global_store_b128 v[18:19], v[4:7], off
	global_store_b128 v[18:19], v[0:3], off offset:16
	s_sendmsg sendmsg(MSG_DEALLOC_VGPRS)
	s_endpgm
	.section	.rodata,"a",@progbits
	.p2align	6, 0x0
	.amdhsa_kernel _ZN9rocsparseL18bsrxmvn_4x4_kernelILj128ELj4EdlldddEEvT3_20rocsparse_direction_NS_24const_host_device_scalarIT1_EES1_PKS1_PKT2_SA_S7_PKT4_PKT5_S5_PT6_21rocsparse_index_base_b
		.amdhsa_group_segment_fixed_size 0
		.amdhsa_private_segment_fixed_size 0
		.amdhsa_kernarg_size 104
		.amdhsa_user_sgpr_count 2
		.amdhsa_user_sgpr_dispatch_ptr 0
		.amdhsa_user_sgpr_queue_ptr 0
		.amdhsa_user_sgpr_kernarg_segment_ptr 1
		.amdhsa_user_sgpr_dispatch_id 0
		.amdhsa_user_sgpr_kernarg_preload_length 0
		.amdhsa_user_sgpr_kernarg_preload_offset 0
		.amdhsa_user_sgpr_private_segment_size 0
		.amdhsa_wavefront_size32 1
		.amdhsa_uses_dynamic_stack 0
		.amdhsa_enable_private_segment 0
		.amdhsa_system_sgpr_workgroup_id_x 1
		.amdhsa_system_sgpr_workgroup_id_y 0
		.amdhsa_system_sgpr_workgroup_id_z 0
		.amdhsa_system_sgpr_workgroup_info 0
		.amdhsa_system_vgpr_workitem_id 0
		.amdhsa_next_free_vgpr 140
		.amdhsa_next_free_sgpr 12
		.amdhsa_named_barrier_count 0
		.amdhsa_reserve_vcc 1
		.amdhsa_float_round_mode_32 0
		.amdhsa_float_round_mode_16_64 0
		.amdhsa_float_denorm_mode_32 3
		.amdhsa_float_denorm_mode_16_64 3
		.amdhsa_fp16_overflow 0
		.amdhsa_memory_ordered 1
		.amdhsa_forward_progress 1
		.amdhsa_inst_pref_size 34
		.amdhsa_round_robin_scheduling 0
		.amdhsa_exception_fp_ieee_invalid_op 0
		.amdhsa_exception_fp_denorm_src 0
		.amdhsa_exception_fp_ieee_div_zero 0
		.amdhsa_exception_fp_ieee_overflow 0
		.amdhsa_exception_fp_ieee_underflow 0
		.amdhsa_exception_fp_ieee_inexact 0
		.amdhsa_exception_int_div_zero 0
	.end_amdhsa_kernel
	.section	.text._ZN9rocsparseL18bsrxmvn_4x4_kernelILj128ELj4EdlldddEEvT3_20rocsparse_direction_NS_24const_host_device_scalarIT1_EES1_PKS1_PKT2_SA_S7_PKT4_PKT5_S5_PT6_21rocsparse_index_base_b,"axG",@progbits,_ZN9rocsparseL18bsrxmvn_4x4_kernelILj128ELj4EdlldddEEvT3_20rocsparse_direction_NS_24const_host_device_scalarIT1_EES1_PKS1_PKT2_SA_S7_PKT4_PKT5_S5_PT6_21rocsparse_index_base_b,comdat
.Lfunc_end45:
	.size	_ZN9rocsparseL18bsrxmvn_4x4_kernelILj128ELj4EdlldddEEvT3_20rocsparse_direction_NS_24const_host_device_scalarIT1_EES1_PKS1_PKT2_SA_S7_PKT4_PKT5_S5_PT6_21rocsparse_index_base_b, .Lfunc_end45-_ZN9rocsparseL18bsrxmvn_4x4_kernelILj128ELj4EdlldddEEvT3_20rocsparse_direction_NS_24const_host_device_scalarIT1_EES1_PKS1_PKT2_SA_S7_PKT4_PKT5_S5_PT6_21rocsparse_index_base_b
                                        ; -- End function
	.set _ZN9rocsparseL18bsrxmvn_4x4_kernelILj128ELj4EdlldddEEvT3_20rocsparse_direction_NS_24const_host_device_scalarIT1_EES1_PKS1_PKT2_SA_S7_PKT4_PKT5_S5_PT6_21rocsparse_index_base_b.num_vgpr, 140
	.set _ZN9rocsparseL18bsrxmvn_4x4_kernelILj128ELj4EdlldddEEvT3_20rocsparse_direction_NS_24const_host_device_scalarIT1_EES1_PKS1_PKT2_SA_S7_PKT4_PKT5_S5_PT6_21rocsparse_index_base_b.num_agpr, 0
	.set _ZN9rocsparseL18bsrxmvn_4x4_kernelILj128ELj4EdlldddEEvT3_20rocsparse_direction_NS_24const_host_device_scalarIT1_EES1_PKS1_PKT2_SA_S7_PKT4_PKT5_S5_PT6_21rocsparse_index_base_b.numbered_sgpr, 12
	.set _ZN9rocsparseL18bsrxmvn_4x4_kernelILj128ELj4EdlldddEEvT3_20rocsparse_direction_NS_24const_host_device_scalarIT1_EES1_PKS1_PKT2_SA_S7_PKT4_PKT5_S5_PT6_21rocsparse_index_base_b.num_named_barrier, 0
	.set _ZN9rocsparseL18bsrxmvn_4x4_kernelILj128ELj4EdlldddEEvT3_20rocsparse_direction_NS_24const_host_device_scalarIT1_EES1_PKS1_PKT2_SA_S7_PKT4_PKT5_S5_PT6_21rocsparse_index_base_b.private_seg_size, 0
	.set _ZN9rocsparseL18bsrxmvn_4x4_kernelILj128ELj4EdlldddEEvT3_20rocsparse_direction_NS_24const_host_device_scalarIT1_EES1_PKS1_PKT2_SA_S7_PKT4_PKT5_S5_PT6_21rocsparse_index_base_b.uses_vcc, 1
	.set _ZN9rocsparseL18bsrxmvn_4x4_kernelILj128ELj4EdlldddEEvT3_20rocsparse_direction_NS_24const_host_device_scalarIT1_EES1_PKS1_PKT2_SA_S7_PKT4_PKT5_S5_PT6_21rocsparse_index_base_b.uses_flat_scratch, 0
	.set _ZN9rocsparseL18bsrxmvn_4x4_kernelILj128ELj4EdlldddEEvT3_20rocsparse_direction_NS_24const_host_device_scalarIT1_EES1_PKS1_PKT2_SA_S7_PKT4_PKT5_S5_PT6_21rocsparse_index_base_b.has_dyn_sized_stack, 0
	.set _ZN9rocsparseL18bsrxmvn_4x4_kernelILj128ELj4EdlldddEEvT3_20rocsparse_direction_NS_24const_host_device_scalarIT1_EES1_PKS1_PKT2_SA_S7_PKT4_PKT5_S5_PT6_21rocsparse_index_base_b.has_recursion, 0
	.set _ZN9rocsparseL18bsrxmvn_4x4_kernelILj128ELj4EdlldddEEvT3_20rocsparse_direction_NS_24const_host_device_scalarIT1_EES1_PKS1_PKT2_SA_S7_PKT4_PKT5_S5_PT6_21rocsparse_index_base_b.has_indirect_call, 0
	.section	.AMDGPU.csdata,"",@progbits
; Kernel info:
; codeLenInByte = 4256
; TotalNumSgprs: 14
; NumVgprs: 140
; ScratchSize: 0
; MemoryBound: 1
; FloatMode: 240
; IeeeMode: 1
; LDSByteSize: 0 bytes/workgroup (compile time only)
; SGPRBlocks: 0
; VGPRBlocks: 8
; NumSGPRsForWavesPerEU: 14
; NumVGPRsForWavesPerEU: 140
; NamedBarCnt: 0
; Occupancy: 7
; WaveLimiterHint : 1
; COMPUTE_PGM_RSRC2:SCRATCH_EN: 0
; COMPUTE_PGM_RSRC2:USER_SGPR: 2
; COMPUTE_PGM_RSRC2:TRAP_HANDLER: 0
; COMPUTE_PGM_RSRC2:TGID_X_EN: 1
; COMPUTE_PGM_RSRC2:TGID_Y_EN: 0
; COMPUTE_PGM_RSRC2:TGID_Z_EN: 0
; COMPUTE_PGM_RSRC2:TIDIG_COMP_CNT: 0
	.section	.text._ZN9rocsparseL18bsrxmvn_4x4_kernelILj128ELj8EdlldddEEvT3_20rocsparse_direction_NS_24const_host_device_scalarIT1_EES1_PKS1_PKT2_SA_S7_PKT4_PKT5_S5_PT6_21rocsparse_index_base_b,"axG",@progbits,_ZN9rocsparseL18bsrxmvn_4x4_kernelILj128ELj8EdlldddEEvT3_20rocsparse_direction_NS_24const_host_device_scalarIT1_EES1_PKS1_PKT2_SA_S7_PKT4_PKT5_S5_PT6_21rocsparse_index_base_b,comdat
	.globl	_ZN9rocsparseL18bsrxmvn_4x4_kernelILj128ELj8EdlldddEEvT3_20rocsparse_direction_NS_24const_host_device_scalarIT1_EES1_PKS1_PKT2_SA_S7_PKT4_PKT5_S5_PT6_21rocsparse_index_base_b ; -- Begin function _ZN9rocsparseL18bsrxmvn_4x4_kernelILj128ELj8EdlldddEEvT3_20rocsparse_direction_NS_24const_host_device_scalarIT1_EES1_PKS1_PKT2_SA_S7_PKT4_PKT5_S5_PT6_21rocsparse_index_base_b
	.p2align	8
	.type	_ZN9rocsparseL18bsrxmvn_4x4_kernelILj128ELj8EdlldddEEvT3_20rocsparse_direction_NS_24const_host_device_scalarIT1_EES1_PKS1_PKT2_SA_S7_PKT4_PKT5_S5_PT6_21rocsparse_index_base_b,@function
_ZN9rocsparseL18bsrxmvn_4x4_kernelILj128ELj8EdlldddEEvT3_20rocsparse_direction_NS_24const_host_device_scalarIT1_EES1_PKS1_PKT2_SA_S7_PKT4_PKT5_S5_PT6_21rocsparse_index_base_b: ; @_ZN9rocsparseL18bsrxmvn_4x4_kernelILj128ELj8EdlldddEEvT3_20rocsparse_direction_NS_24const_host_device_scalarIT1_EES1_PKS1_PKT2_SA_S7_PKT4_PKT5_S5_PT6_21rocsparse_index_base_b
; %bb.0:
	s_clause 0x2
	s_load_b64 s[8:9], s[0:1], 0x60
	s_load_b128 s[4:7], s[0:1], 0x10
	s_load_b64 s[2:3], s[0:1], 0x50
	s_wait_kmcnt 0x0
	s_bitcmp1_b32 s9, 0
	v_mov_b64_e32 v[2:3], s[4:5]
	s_cselect_b32 s9, -1, 0
	s_delay_alu instid0(SALU_CYCLE_1)
	s_and_b32 vcc_lo, exec_lo, s9
	s_xor_b32 s9, s9, -1
	s_cbranch_vccnz .LBB46_2
; %bb.1:
	v_mov_b32_e32 v1, 0
	flat_load_b64 v[2:3], v1, s[4:5]
.LBB46_2:
	v_mov_b64_e32 v[8:9], s[2:3]
	s_and_not1_b32 vcc_lo, exec_lo, s9
	s_cbranch_vccnz .LBB46_4
; %bb.3:
	s_wait_xcnt 0x0
	v_mov_b32_e32 v1, 0
	flat_load_b64 v[8:9], v1, s[2:3]
.LBB46_4:
	s_wait_loadcnt_dscnt 0x0
	v_cmp_neq_f64_e32 vcc_lo, 0, v[2:3]
	s_delay_alu instid0(VALU_DEP_2) | instskip(SKIP_1) | instid1(SALU_CYCLE_1)
	v_cmp_neq_f64_e64 s2, 1.0, v[8:9]
	s_or_b32 s2, vcc_lo, s2
	s_and_saveexec_b32 s3, s2
	s_cbranch_execz .LBB46_10
; %bb.5:
	s_load_b64 s[2:3], s[0:1], 0x20
	s_bfe_u32 s4, ttmp6, 0x4000c
	s_and_b32 s5, ttmp6, 15
	s_add_co_i32 s4, s4, 1
	s_getreg_b32 s9, hwreg(HW_REG_IB_STS2, 6, 4)
	s_mul_i32 s4, ttmp9, s4
	v_dual_lshrrev_b32 v1, 3, v0 :: v_dual_mov_b32 v7, 0
	s_add_co_i32 s5, s5, s4
	s_cmp_eq_u32 s9, 0
	s_cselect_b32 s4, ttmp9, s5
	s_delay_alu instid0(VALU_DEP_1) | instid1(SALU_CYCLE_1)
	v_lshl_or_b32 v6, s4, 4, v1
	s_mov_b32 s4, 0
	s_wait_kmcnt 0x0
	s_cmp_lg_u64 s[2:3], 0
	s_cbranch_scc0 .LBB46_11
; %bb.6:
	v_cmp_gt_i64_e32 vcc_lo, s[6:7], v[6:7]
	s_mov_b32 s5, 0
                                        ; implicit-def: $vgpr10_vgpr11
                                        ; implicit-def: $vgpr4_vgpr5
	s_and_saveexec_b32 s6, vcc_lo
	s_delay_alu instid0(SALU_CYCLE_1)
	s_xor_b32 s6, exec_lo, s6
	s_cbranch_execz .LBB46_8
; %bb.7:
	v_lshl_add_u64 v[4:5], v[6:7], 3, s[2:3]
	s_mov_b32 s9, 0
	s_mov_b32 s4, exec_lo
	global_load_b64 v[4:5], v[4:5], off
	s_wait_loadcnt 0x0
	v_sub_nc_u64_e64 v[10:11], v[4:5], s[8:9]
	v_mov_b64_e32 v[4:5], s[8:9]
.LBB46_8:
	s_or_b32 exec_lo, exec_lo, s6
	s_delay_alu instid0(SALU_CYCLE_1)
	s_and_b32 vcc_lo, exec_lo, s5
	s_cbranch_vccnz .LBB46_12
.LBB46_9:
	s_and_b32 exec_lo, exec_lo, s4
	s_cbranch_execnz .LBB46_15
.LBB46_10:
	s_sendmsg sendmsg(MSG_DEALLOC_VGPRS)
	s_endpgm
.LBB46_11:
                                        ; implicit-def: $vgpr10_vgpr11
                                        ; implicit-def: $vgpr4_vgpr5
	s_cbranch_execz .LBB46_9
.LBB46_12:
	s_load_b64 s[2:3], s[0:1], 0x0
	s_wait_kmcnt 0x0
	v_cmp_gt_i64_e32 vcc_lo, s[2:3], v[6:7]
	s_and_saveexec_b32 s2, vcc_lo
; %bb.13:
	s_mov_b32 s9, 0
	s_or_b32 s4, s4, exec_lo
; %bb.14:
	s_or_b32 exec_lo, exec_lo, s2
	v_mov_b64_e32 v[4:5], s[8:9]
	v_mov_b64_e32 v[10:11], v[6:7]
	s_and_b32 exec_lo, exec_lo, s4
	s_cbranch_execz .LBB46_10
.LBB46_15:
	s_load_b256 s[4:11], s[0:1], 0x28
	s_delay_alu instid0(VALU_DEP_1) | instskip(SKIP_3) | instid1(VALU_DEP_2)
	v_lshlrev_b64_e32 v[6:7], 3, v[10:11]
	v_dual_mov_b32 v1, 0 :: v_dual_bitop2_b32 v0, 7, v0 bitop3:0x40
	s_load_b32 s3, s[0:1], 0x8
	s_wait_kmcnt 0x0
	v_add_nc_u64_e32 v[12:13], s[4:5], v[6:7]
	v_add_nc_u64_e32 v[6:7], s[6:7], v[6:7]
	s_cmp_eq_u64 s[6:7], 0
	s_load_b64 s[4:5], s[0:1], 0x48
	s_cselect_b32 vcc_lo, -1, 0
	s_cmp_eq_u32 s3, 1
	global_load_b64 v[24:25], v[12:13], off
	s_wait_xcnt 0x0
	v_add_nc_u64_e32 v[12:13], 8, v[12:13]
	s_delay_alu instid0(VALU_DEP_1) | instskip(SKIP_4) | instid1(VALU_DEP_1)
	v_dual_cndmask_b32 v7, v7, v13 :: v_dual_cndmask_b32 v6, v6, v12
	global_load_b64 v[12:13], v[6:7], off
	s_wait_loadcnt 0x1
	s_wait_xcnt 0x0
	v_sub_nc_u64_e32 v[6:7], v[24:25], v[4:5]
	v_add_nc_u64_e32 v[6:7], v[6:7], v[0:1]
	s_wait_loadcnt 0x0
	v_sub_nc_u64_e32 v[14:15], v[12:13], v[4:5]
	s_delay_alu instid0(VALU_DEP_2) | instskip(NEXT) | instid1(VALU_DEP_2)
	v_lshlrev_b64_e32 v[16:17], 7, v[6:7]
	v_cmp_lt_i64_e64 s2, v[6:7], v[14:15]
	s_delay_alu instid0(VALU_DEP_2)
	v_add_nc_u64_e32 v[16:17], s[10:11], v[16:17]
	s_cbranch_scc1 .LBB46_27
; %bb.16:
	v_mov_b64_e32 v[12:13], 0
	v_mov_b64_e32 v[18:19], 0
	;; [unrolled: 1-line block ×4, first 2 shown]
	s_and_saveexec_b32 s3, s2
	s_cbranch_execz .LBB46_26
; %bb.17:
	v_dual_mov_b32 v13, v1 :: v_dual_bitop2_b32 v12, 8, v0 bitop3:0x54
	v_sub_nc_u64_e32 v[18:19], v[4:5], v[0:1]
	v_not_b32_e32 v21, v25
	v_not_b32_e32 v20, v24
	v_mov_b64_e32 v[22:23], 0
	v_sub_nc_u64_e32 v[12:13], v[12:13], v[4:5]
	v_mov_b64_e32 v[26:27], v[6:7]
	v_mov_b64_e32 v[28:29], v[16:17]
	v_add_nc_u64_e32 v[18:19], v[18:19], v[20:21]
	v_mov_b64_e32 v[20:21], 0
	s_mov_b32 s6, exec_lo
	v_add_nc_u64_e32 v[12:13], v[12:13], v[24:25]
	s_delay_alu instid0(VALU_DEP_1) | instskip(NEXT) | instid1(VALU_DEP_1)
	v_max_i64 v[12:13], v[12:13], v[14:15]
	v_add_nc_u64_e32 v[30:31], v[18:19], v[12:13]
	v_mov_b64_e32 v[18:19], 0
	v_mov_b64_e32 v[12:13], 0
	s_delay_alu instid0(VALU_DEP_3) | instskip(NEXT) | instid1(VALU_DEP_1)
	v_dual_mov_b32 v35, 0 :: v_dual_bitop2_b32 v34, 24, v30 bitop3:0x40
	v_cmpx_ne_u64_e32 24, v[34:35]
	s_cbranch_execz .LBB46_21
; %bb.18:
	v_lshrrev_b32_e32 v12, 3, v30
	v_mov_b64_e32 v[18:19], 0
	v_mov_b64_e32 v[22:23], 0
	;; [unrolled: 1-line block ×4, first 2 shown]
	v_add_nc_u32_e32 v12, 1, v12
	v_mov_b64_e32 v[26:27], v[6:7]
	v_lshl_add_u64 v[32:33], v[6:7], 3, s[8:9]
	s_mov_b32 s7, 0
	s_delay_alu instid0(VALU_DEP_3) | instskip(SKIP_1) | instid1(VALU_DEP_2)
	v_and_b32_e32 v34, 3, v12
	v_mov_b64_e32 v[12:13], 0
	v_sub_nc_u64_e32 v[34:35], 0, v[34:35]
.LBB46_19:                              ; =>This Inner Loop Header: Depth=1
	global_load_b64 v[36:37], v[32:33], off
	v_add_nc_u64_e32 v[34:35], 1, v[34:35]
	v_add_nc_u64_e32 v[26:27], 8, v[26:27]
	s_wait_xcnt 0x0
	v_add_nc_u64_e32 v[32:33], 64, v[32:33]
	s_delay_alu instid0(VALU_DEP_3)
	v_cmp_eq_u64_e32 vcc_lo, 0, v[34:35]
	s_or_b32 s7, vcc_lo, s7
	s_wait_loadcnt 0x0
	v_sub_nc_u64_e32 v[44:45], v[36:37], v[4:5]
	s_clause 0x1
	global_load_b128 v[36:39], v[28:29], off offset:48
	global_load_b128 v[40:43], v[28:29], off offset:32
	v_lshlrev_b64_e32 v[56:57], 5, v[44:45]
	s_clause 0x2
	global_load_b128 v[44:47], v[28:29], off offset:16
	global_load_b128 v[48:51], v[28:29], off
	global_load_b128 v[52:55], v[28:29], off offset:112
	s_wait_kmcnt 0x0
	v_add_nc_u64_e32 v[76:77], s[4:5], v[56:57]
	s_clause 0x2
	global_load_b128 v[56:59], v[28:29], off offset:96
	global_load_b128 v[60:63], v[28:29], off offset:80
	;; [unrolled: 1-line block ×3, first 2 shown]
	s_clause 0x1
	global_load_b128 v[68:71], v[76:77], off
	global_load_b128 v[72:75], v[76:77], off offset:16
	s_wait_xcnt 0x2
	v_add_nc_u64_e32 v[28:29], 0x400, v[28:29]
	s_wait_loadcnt 0x1
	v_fmac_f64_e32 v[20:21], v[48:49], v[68:69]
	v_fmac_f64_e32 v[22:23], v[40:41], v[68:69]
	;; [unrolled: 1-line block ×4, first 2 shown]
	s_delay_alu instid0(VALU_DEP_4) | instskip(NEXT) | instid1(VALU_DEP_4)
	v_fmac_f64_e32 v[20:21], v[50:51], v[70:71]
	v_fmac_f64_e32 v[22:23], v[42:43], v[70:71]
	s_delay_alu instid0(VALU_DEP_4) | instskip(NEXT) | instid1(VALU_DEP_4)
	v_fmac_f64_e32 v[18:19], v[66:67], v[70:71]
	v_fmac_f64_e32 v[12:13], v[58:59], v[70:71]
	s_wait_loadcnt 0x0
	s_delay_alu instid0(VALU_DEP_4) | instskip(NEXT) | instid1(VALU_DEP_4)
	v_fmac_f64_e32 v[20:21], v[44:45], v[72:73]
	v_fmac_f64_e32 v[22:23], v[36:37], v[72:73]
	s_delay_alu instid0(VALU_DEP_4) | instskip(NEXT) | instid1(VALU_DEP_4)
	v_fmac_f64_e32 v[18:19], v[60:61], v[72:73]
	v_fmac_f64_e32 v[12:13], v[52:53], v[72:73]
	;; [unrolled: 3-line block ×4, first 2 shown]
	s_and_not1_b32 exec_lo, exec_lo, s7
	s_cbranch_execnz .LBB46_19
; %bb.20:
	s_or_b32 exec_lo, exec_lo, s7
.LBB46_21:
	s_delay_alu instid0(SALU_CYCLE_1) | instskip(NEXT) | instid1(SALU_CYCLE_1)
	s_or_b32 exec_lo, exec_lo, s6
	s_mov_b32 s6, exec_lo
	v_cmpx_lt_u64_e32 23, v[30:31]
	s_cbranch_execz .LBB46_25
; %bb.22:
	v_lshl_add_u64 v[30:31], v[26:27], 3, s[8:9]
	s_mov_b32 s7, 0
	s_delay_alu instid0(VALU_DEP_1)
	v_add_nc_u64_e32 v[30:31], 0x80, v[30:31]
.LBB46_23:                              ; =>This Inner Loop Header: Depth=1
	global_load_b64 v[124:125], v[30:31], off offset:-128
	s_clause 0xd
	global_load_b128 v[32:35], v[28:29], off offset:48
	global_load_b128 v[36:39], v[28:29], off offset:32
	;; [unrolled: 1-line block ×3, first 2 shown]
	global_load_b128 v[44:47], v[28:29], off
	global_load_b128 v[48:51], v[28:29], off offset:112
	global_load_b128 v[52:55], v[28:29], off offset:96
	;; [unrolled: 1-line block ×10, first 2 shown]
	s_clause 0x2
	global_load_b64 v[132:133], v[30:31], off offset:-64
	global_load_b64 v[134:135], v[30:31], off
	global_load_b64 v[136:137], v[30:31], off offset:64
	s_clause 0x8
	global_load_b128 v[88:91], v[28:29], off offset:1104
	global_load_b128 v[92:95], v[28:29], off offset:1088
	;; [unrolled: 1-line block ×9, first 2 shown]
	v_add_nc_u64_e32 v[26:27], 32, v[26:27]
	s_wait_xcnt 0x9
	v_add_nc_u64_e32 v[30:31], 0x100, v[30:31]
	s_delay_alu instid0(VALU_DEP_2) | instskip(SKIP_3) | instid1(VALU_DEP_1)
	v_cmp_ge_i64_e32 vcc_lo, v[26:27], v[14:15]
	s_or_b32 s7, vcc_lo, s7
	s_wait_loadcnt 0x1a
	v_sub_nc_u64_e32 v[124:125], v[124:125], v[4:5]
	v_lshlrev_b64_e32 v[124:125], 5, v[124:125]
	s_wait_kmcnt 0x0
	s_delay_alu instid0(VALU_DEP_1)
	v_add_nc_u64_e32 v[138:139], s[4:5], v[124:125]
	s_wait_loadcnt 0xb
	v_sub_nc_u64_e32 v[132:133], v[132:133], v[4:5]
	s_wait_loadcnt 0xa
	v_sub_nc_u64_e32 v[134:135], v[134:135], v[4:5]
	;; [unrolled: 2-line block ×3, first 2 shown]
	s_clause 0x1
	global_load_b128 v[124:127], v[138:139], off
	global_load_b128 v[128:131], v[138:139], off offset:16
	v_lshlrev_b64_e32 v[132:133], 5, v[132:133]
	v_lshlrev_b64_e32 v[134:135], 5, v[134:135]
	;; [unrolled: 1-line block ×3, first 2 shown]
	s_delay_alu instid0(VALU_DEP_3) | instskip(SKIP_1) | instid1(VALU_DEP_3)
	v_add_nc_u64_e32 v[132:133], s[4:5], v[132:133]
	s_wait_xcnt 0x0
	v_add_nc_u64_e32 v[138:139], s[4:5], v[134:135]
	s_delay_alu instid0(VALU_DEP_3)
	v_add_nc_u64_e32 v[136:137], s[4:5], v[136:137]
	s_wait_loadcnt 0x1
	v_fmac_f64_e32 v[18:19], v[60:61], v[124:125]
	v_fmac_f64_e32 v[20:21], v[44:45], v[124:125]
	;; [unrolled: 1-line block ×4, first 2 shown]
	s_delay_alu instid0(VALU_DEP_4)
	v_fmac_f64_e32 v[18:19], v[62:63], v[126:127]
	global_load_b128 v[60:63], v[132:133], off
	v_fmac_f64_e32 v[20:21], v[46:47], v[126:127]
	global_load_b128 v[44:47], v[28:29], off offset:2112
	v_fmac_f64_e32 v[22:23], v[38:39], v[126:127]
	global_load_b128 v[36:39], v[28:29], off offset:3120
	v_fmac_f64_e32 v[12:13], v[54:55], v[126:127]
	s_clause 0x1
	global_load_b128 v[52:55], v[28:29], off offset:3104
	global_load_b128 v[124:127], v[28:29], off offset:3088
	s_wait_loadcnt 0x5
	v_fmac_f64_e32 v[18:19], v[56:57], v[128:129]
	v_fmac_f64_e32 v[20:21], v[40:41], v[128:129]
	;; [unrolled: 1-line block ×4, first 2 shown]
	s_delay_alu instid0(VALU_DEP_4)
	v_fmac_f64_e32 v[18:19], v[58:59], v[130:131]
	global_load_b128 v[56:59], v[28:29], off offset:3072
	v_fmac_f64_e32 v[20:21], v[42:43], v[130:131]
	global_load_b128 v[40:43], v[132:133], off offset:16
	v_fmac_f64_e32 v[22:23], v[34:35], v[130:131]
	global_load_b128 v[32:35], v[138:139], off
	v_fmac_f64_e32 v[12:13], v[50:51], v[130:131]
	s_clause 0x1
	global_load_b128 v[48:51], v[28:29], off offset:3184
	global_load_b128 v[128:131], v[28:29], off offset:3168
	;; [unrolled: 1-line block ×3, first 2 shown]
	s_wait_loadcnt 0xa
	v_fmac_f64_e32 v[20:21], v[76:77], v[60:61]
	v_fmac_f64_e32 v[22:23], v[68:69], v[60:61]
	;; [unrolled: 1-line block ×4, first 2 shown]
	s_delay_alu instid0(VALU_DEP_4)
	v_fmac_f64_e32 v[20:21], v[78:79], v[62:63]
	global_load_b128 v[76:79], v[28:29], off offset:3136
	v_fmac_f64_e32 v[22:23], v[70:71], v[62:63]
	global_load_b128 v[68:71], v[136:137], off
	v_fmac_f64_e32 v[18:19], v[94:95], v[62:63]
	global_load_b128 v[92:95], v[28:29], off offset:3152
	v_fmac_f64_e32 v[12:13], v[86:87], v[62:63]
	global_load_b128 v[60:63], v[136:137], off offset:16
	s_wait_xcnt 0x1
	v_add_nc_u64_e32 v[28:29], 0x1000, v[28:29]
	s_wait_loadcnt 0x8
	v_fmac_f64_e32 v[20:21], v[72:73], v[40:41]
	v_fmac_f64_e32 v[22:23], v[64:65], v[40:41]
	v_fmac_f64_e32 v[18:19], v[88:89], v[40:41]
	v_fmac_f64_e32 v[12:13], v[80:81], v[40:41]
	s_delay_alu instid0(VALU_DEP_4) | instskip(NEXT) | instid1(VALU_DEP_4)
	v_fmac_f64_e32 v[20:21], v[74:75], v[42:43]
	v_fmac_f64_e32 v[22:23], v[66:67], v[42:43]
	s_delay_alu instid0(VALU_DEP_4) | instskip(NEXT) | instid1(VALU_DEP_4)
	v_fmac_f64_e32 v[18:19], v[90:91], v[42:43]
	v_fmac_f64_e32 v[12:13], v[82:83], v[42:43]
	s_wait_loadcnt 0x7
	s_delay_alu instid0(VALU_DEP_4) | instskip(NEXT) | instid1(VALU_DEP_4)
	v_fmac_f64_e32 v[20:21], v[108:109], v[32:33]
	v_fmac_f64_e32 v[22:23], v[100:101], v[32:33]
	s_delay_alu instid0(VALU_DEP_4) | instskip(NEXT) | instid1(VALU_DEP_4)
	v_fmac_f64_e32 v[18:19], v[44:45], v[32:33]
	v_fmac_f64_e32 v[12:13], v[116:117], v[32:33]
	s_delay_alu instid0(VALU_DEP_4) | instskip(NEXT) | instid1(VALU_DEP_4)
	v_fmac_f64_e32 v[20:21], v[110:111], v[34:35]
	v_fmac_f64_e32 v[22:23], v[102:103], v[34:35]
	s_delay_alu instid0(VALU_DEP_4) | instskip(NEXT) | instid1(VALU_DEP_4)
	v_fmac_f64_e32 v[18:19], v[46:47], v[34:35]
	v_fmac_f64_e32 v[12:13], v[118:119], v[34:35]
	s_wait_loadcnt 0x4
	s_delay_alu instid0(VALU_DEP_4) | instskip(NEXT) | instid1(VALU_DEP_4)
	v_fmac_f64_e32 v[20:21], v[104:105], v[132:133]
	v_fmac_f64_e32 v[22:23], v[96:97], v[132:133]
	s_delay_alu instid0(VALU_DEP_4) | instskip(NEXT) | instid1(VALU_DEP_4)
	v_fmac_f64_e32 v[18:19], v[120:121], v[132:133]
	v_fmac_f64_e32 v[12:13], v[112:113], v[132:133]
	;; [unrolled: 13-line block ×4, first 2 shown]
	s_delay_alu instid0(VALU_DEP_4) | instskip(NEXT) | instid1(VALU_DEP_4)
	v_fmac_f64_e32 v[20:21], v[126:127], v[62:63]
	v_fmac_f64_e32 v[22:23], v[38:39], v[62:63]
	s_delay_alu instid0(VALU_DEP_4) | instskip(NEXT) | instid1(VALU_DEP_4)
	v_fmac_f64_e32 v[18:19], v[94:95], v[62:63]
	v_fmac_f64_e32 v[12:13], v[50:51], v[62:63]
	s_and_not1_b32 exec_lo, exec_lo, s7
	s_cbranch_execnz .LBB46_23
; %bb.24:
	s_or_b32 exec_lo, exec_lo, s7
.LBB46_25:
	s_delay_alu instid0(SALU_CYCLE_1)
	s_or_b32 exec_lo, exec_lo, s6
.LBB46_26:
	s_delay_alu instid0(SALU_CYCLE_1)
	s_or_b32 exec_lo, exec_lo, s3
	s_cbranch_execz .LBB46_28
	s_branch .LBB46_39
.LBB46_27:
                                        ; implicit-def: $vgpr12_vgpr13
                                        ; implicit-def: $vgpr18_vgpr19
                                        ; implicit-def: $vgpr22_vgpr23
                                        ; implicit-def: $vgpr20_vgpr21
.LBB46_28:
	v_mov_b64_e32 v[12:13], 0
	v_mov_b64_e32 v[18:19], 0
	;; [unrolled: 1-line block ×4, first 2 shown]
	s_and_saveexec_b32 s3, s2
	s_cbranch_execz .LBB46_38
; %bb.29:
	v_dual_mov_b32 v13, v1 :: v_dual_bitop2_b32 v12, 8, v0 bitop3:0x54
	v_sub_nc_u64_e32 v[18:19], v[4:5], v[0:1]
	v_not_b32_e32 v21, v25
	v_not_b32_e32 v20, v24
	v_mov_b64_e32 v[22:23], 0
	v_sub_nc_u64_e32 v[12:13], v[12:13], v[4:5]
	s_mov_b32 s2, exec_lo
	s_delay_alu instid0(VALU_DEP_3) | instskip(SKIP_1) | instid1(VALU_DEP_3)
	v_add_nc_u64_e32 v[18:19], v[18:19], v[20:21]
	v_mov_b64_e32 v[20:21], 0
	v_add_nc_u64_e32 v[12:13], v[12:13], v[24:25]
	s_delay_alu instid0(VALU_DEP_1) | instskip(NEXT) | instid1(VALU_DEP_1)
	v_max_i64 v[12:13], v[12:13], v[14:15]
	v_add_nc_u64_e32 v[24:25], v[18:19], v[12:13]
	v_mov_b64_e32 v[18:19], 0
	v_mov_b64_e32 v[12:13], 0
	s_delay_alu instid0(VALU_DEP_3) | instskip(NEXT) | instid1(VALU_DEP_1)
	v_dual_mov_b32 v27, 0 :: v_dual_bitop2_b32 v26, 24, v24 bitop3:0x40
	v_cmpx_ne_u64_e32 24, v[26:27]
	s_cbranch_execz .LBB46_33
; %bb.30:
	v_lshrrev_b32_e32 v1, 3, v24
	v_mov_b64_e32 v[12:13], 0
	v_mov_b64_e32 v[18:19], 0
	v_mov_b64_e32 v[22:23], 0
	v_mov_b64_e32 v[20:21], 0
	v_add_nc_u32_e32 v1, 1, v1
	v_lshl_add_u64 v[28:29], v[6:7], 3, s[8:9]
	s_mov_b32 s6, 0
	s_delay_alu instid0(VALU_DEP_2) | instskip(NEXT) | instid1(VALU_DEP_1)
	v_and_b32_e32 v26, 3, v1
	v_sub_nc_u64_e32 v[26:27], 0, v[26:27]
.LBB46_31:                              ; =>This Inner Loop Header: Depth=1
	global_load_b64 v[30:31], v[28:29], off
	v_add_nc_u64_e32 v[26:27], 1, v[26:27]
	v_add_nc_u64_e32 v[6:7], 8, v[6:7]
	s_wait_xcnt 0x0
	v_add_nc_u64_e32 v[28:29], 64, v[28:29]
	s_delay_alu instid0(VALU_DEP_3) | instskip(SKIP_3) | instid1(VALU_DEP_1)
	v_cmp_eq_u64_e32 vcc_lo, 0, v[26:27]
	s_or_b32 s6, vcc_lo, s6
	s_wait_loadcnt 0x0
	v_sub_nc_u64_e32 v[30:31], v[30:31], v[4:5]
	v_lshlrev_b64_e32 v[30:31], 5, v[30:31]
	s_wait_kmcnt 0x0
	s_delay_alu instid0(VALU_DEP_1)
	v_add_nc_u64_e32 v[70:71], s[4:5], v[30:31]
	s_clause 0x1
	global_load_b128 v[30:33], v[16:17], off offset:16
	global_load_b128 v[34:37], v[16:17], off
	s_clause 0x1
	global_load_b128 v[38:41], v[70:71], off
	global_load_b128 v[42:45], v[70:71], off offset:16
	s_clause 0x5
	global_load_b128 v[46:49], v[16:17], off offset:32
	global_load_b128 v[50:53], v[16:17], off offset:48
	;; [unrolled: 1-line block ×6, first 2 shown]
	s_wait_xcnt 0x0
	v_add_nc_u64_e32 v[16:17], 0x400, v[16:17]
	s_wait_loadcnt 0x7
	v_fmac_f64_e32 v[20:21], v[34:35], v[38:39]
	v_fmac_f64_e32 v[22:23], v[36:37], v[38:39]
	;; [unrolled: 1-line block ×4, first 2 shown]
	s_wait_loadcnt 0x5
	s_delay_alu instid0(VALU_DEP_4) | instskip(NEXT) | instid1(VALU_DEP_4)
	v_fmac_f64_e32 v[20:21], v[46:47], v[40:41]
	v_fmac_f64_e32 v[22:23], v[48:49], v[40:41]
	s_wait_loadcnt 0x4
	s_delay_alu instid0(VALU_DEP_4) | instskip(NEXT) | instid1(VALU_DEP_4)
	v_fmac_f64_e32 v[18:19], v[50:51], v[40:41]
	v_fmac_f64_e32 v[12:13], v[52:53], v[40:41]
	;; [unrolled: 4-line block ×6, first 2 shown]
	s_and_not1_b32 exec_lo, exec_lo, s6
	s_cbranch_execnz .LBB46_31
; %bb.32:
	s_or_b32 exec_lo, exec_lo, s6
.LBB46_33:
	s_delay_alu instid0(SALU_CYCLE_1) | instskip(NEXT) | instid1(SALU_CYCLE_1)
	s_or_b32 exec_lo, exec_lo, s2
	s_mov_b32 s2, exec_lo
	v_cmpx_lt_u64_e32 23, v[24:25]
	s_cbranch_execz .LBB46_37
; %bb.34:
	v_lshl_add_u64 v[24:25], v[6:7], 3, s[8:9]
	s_mov_b32 s6, 0
	s_delay_alu instid0(VALU_DEP_1)
	v_add_nc_u64_e32 v[24:25], 0x80, v[24:25]
.LBB46_35:                              ; =>This Inner Loop Header: Depth=1
	s_clause 0x1
	global_load_b64 v[82:83], v[24:25], off offset:-128
	global_load_b64 v[84:85], v[24:25], off offset:-64
	s_clause 0x9
	global_load_b128 v[26:29], v[16:17], off offset:48
	global_load_b128 v[30:33], v[16:17], off offset:32
	;; [unrolled: 1-line block ×3, first 2 shown]
	global_load_b128 v[38:41], v[16:17], off
	global_load_b128 v[42:45], v[16:17], off offset:112
	global_load_b128 v[46:49], v[16:17], off offset:96
	;; [unrolled: 1-line block ×6, first 2 shown]
	s_clause 0x1
	global_load_b64 v[106:107], v[24:25], off
	global_load_b64 v[114:115], v[24:25], off offset:64
	s_clause 0x3
	global_load_b128 v[66:69], v[16:17], off offset:1040
	global_load_b128 v[70:73], v[16:17], off offset:1024
	;; [unrolled: 1-line block ×4, first 2 shown]
	v_add_nc_u64_e32 v[6:7], 32, v[6:7]
	s_wait_xcnt 0x4
	v_add_nc_u64_e32 v[24:25], 0x100, v[24:25]
	s_delay_alu instid0(VALU_DEP_2)
	v_cmp_ge_i64_e32 vcc_lo, v[6:7], v[14:15]
	s_or_b32 s6, vcc_lo, s6
	s_wait_loadcnt 0x11
	v_sub_nc_u64_e32 v[82:83], v[82:83], v[4:5]
	s_wait_loadcnt 0x10
	v_sub_nc_u64_e32 v[84:85], v[84:85], v[4:5]
	s_delay_alu instid0(VALU_DEP_2) | instskip(NEXT) | instid1(VALU_DEP_2)
	v_lshlrev_b64_e32 v[82:83], 5, v[82:83]
	v_lshlrev_b64_e32 v[84:85], 5, v[84:85]
	s_wait_loadcnt 0x5
	v_sub_nc_u64_e32 v[106:107], v[106:107], v[4:5]
	s_wait_kmcnt 0x0
	s_delay_alu instid0(VALU_DEP_3) | instskip(NEXT) | instid1(VALU_DEP_3)
	v_add_nc_u64_e32 v[108:109], s[4:5], v[82:83]
	v_add_nc_u64_e32 v[110:111], s[4:5], v[84:85]
	s_clause 0x3
	global_load_b128 v[82:85], v[108:109], off
	global_load_b128 v[86:89], v[108:109], off offset:16
	global_load_b128 v[90:93], v[110:111], off
	global_load_b128 v[94:97], v[110:111], off offset:16
	s_clause 0x1
	global_load_b128 v[98:101], v[16:17], off offset:1120
	global_load_b128 v[102:105], v[16:17], off offset:1136
	s_wait_xcnt 0x2
	v_lshlrev_b64_e32 v[110:111], 5, v[106:107]
	global_load_b128 v[106:109], v[16:17], off offset:2064
	v_add_nc_u64_e32 v[116:117], s[4:5], v[110:111]
	s_wait_loadcnt 0x6
	v_fmac_f64_e32 v[20:21], v[38:39], v[82:83]
	v_fmac_f64_e32 v[22:23], v[40:41], v[82:83]
	global_load_b128 v[38:41], v[16:17], off offset:2048
	v_fmac_f64_e32 v[18:19], v[34:35], v[82:83]
	v_fmac_f64_e32 v[12:13], v[36:37], v[82:83]
	global_load_b128 v[34:37], v[116:117], off
	v_fmac_f64_e32 v[20:21], v[30:31], v[84:85]
	v_fmac_f64_e32 v[22:23], v[32:33], v[84:85]
	global_load_b128 v[30:33], v[16:17], off offset:2080
	v_fmac_f64_e32 v[18:19], v[26:27], v[84:85]
	v_fmac_f64_e32 v[12:13], v[28:29], v[84:85]
	s_clause 0x1
	global_load_b128 v[26:29], v[16:17], off offset:2096
	global_load_b128 v[82:85], v[16:17], off offset:2112
	s_wait_loadcnt 0xa
	v_fmac_f64_e32 v[20:21], v[54:55], v[86:87]
	v_fmac_f64_e32 v[22:23], v[56:57], v[86:87]
	global_load_b128 v[54:57], v[16:17], off offset:2128
	global_load_b128 v[110:113], v[116:117], off offset:16
	v_fmac_f64_e32 v[18:19], v[50:51], v[86:87]
	v_fmac_f64_e32 v[12:13], v[52:53], v[86:87]
	global_load_b128 v[50:53], v[16:17], off offset:2144
	v_sub_nc_u64_e32 v[86:87], v[114:115], v[4:5]
	s_delay_alu instid0(VALU_DEP_1) | instskip(NEXT) | instid1(VALU_DEP_1)
	v_lshlrev_b64_e32 v[86:87], 5, v[86:87]
	v_add_nc_u64_e32 v[114:115], s[4:5], v[86:87]
	v_fmac_f64_e32 v[20:21], v[46:47], v[88:89]
	v_fmac_f64_e32 v[22:23], v[48:49], v[88:89]
	global_load_b128 v[46:49], v[16:17], off offset:2160
	v_fmac_f64_e32 v[18:19], v[42:43], v[88:89]
	v_fmac_f64_e32 v[12:13], v[44:45], v[88:89]
	s_clause 0x1
	global_load_b128 v[42:45], v[16:17], off offset:3088
	global_load_b128 v[86:89], v[16:17], off offset:3072
	s_wait_loadcnt 0xf
	v_fmac_f64_e32 v[20:21], v[70:71], v[90:91]
	v_fmac_f64_e32 v[22:23], v[72:73], v[90:91]
	global_load_b128 v[70:73], v[114:115], off
	v_fmac_f64_e32 v[18:19], v[66:67], v[90:91]
	v_fmac_f64_e32 v[12:13], v[68:69], v[90:91]
	global_load_b128 v[66:69], v[16:17], off offset:3104
	v_fmac_f64_e32 v[20:21], v[62:63], v[92:93]
	v_fmac_f64_e32 v[22:23], v[64:65], v[92:93]
	global_load_b128 v[62:65], v[16:17], off offset:3120
	v_fmac_f64_e32 v[18:19], v[58:59], v[92:93]
	v_fmac_f64_e32 v[12:13], v[60:61], v[92:93]
	s_clause 0x1
	global_load_b128 v[58:61], v[16:17], off offset:3136
	global_load_b128 v[90:93], v[16:17], off offset:3152
	s_wait_loadcnt 0x13
	v_fmac_f64_e32 v[20:21], v[78:79], v[94:95]
	v_fmac_f64_e32 v[22:23], v[80:81], v[94:95]
	global_load_b128 v[78:81], v[114:115], off offset:16
	v_fmac_f64_e32 v[18:19], v[74:75], v[94:95]
	v_fmac_f64_e32 v[12:13], v[76:77], v[94:95]
	global_load_b128 v[74:77], v[16:17], off offset:3168
	s_wait_loadcnt 0x14
	v_fmac_f64_e32 v[20:21], v[98:99], v[96:97]
	v_fmac_f64_e32 v[22:23], v[100:101], v[96:97]
	global_load_b128 v[98:101], v[16:17], off offset:3184
	s_wait_loadcnt 0x14
	v_fmac_f64_e32 v[18:19], v[102:103], v[96:97]
	v_fmac_f64_e32 v[12:13], v[104:105], v[96:97]
	s_wait_xcnt 0x0
	v_add_nc_u64_e32 v[16:17], 0x1000, v[16:17]
	s_wait_loadcnt 0x11
	v_fmac_f64_e32 v[20:21], v[38:39], v[34:35]
	v_fmac_f64_e32 v[22:23], v[40:41], v[34:35]
	;; [unrolled: 1-line block ×4, first 2 shown]
	s_wait_loadcnt 0x10
	s_delay_alu instid0(VALU_DEP_4) | instskip(NEXT) | instid1(VALU_DEP_4)
	v_fmac_f64_e32 v[20:21], v[30:31], v[36:37]
	v_fmac_f64_e32 v[22:23], v[32:33], v[36:37]
	s_wait_loadcnt 0xf
	s_delay_alu instid0(VALU_DEP_4) | instskip(NEXT) | instid1(VALU_DEP_4)
	v_fmac_f64_e32 v[18:19], v[26:27], v[36:37]
	v_fmac_f64_e32 v[12:13], v[28:29], v[36:37]
	s_wait_loadcnt 0xc
	s_delay_alu instid0(VALU_DEP_4) | instskip(NEXT) | instid1(VALU_DEP_4)
	v_fmac_f64_e32 v[20:21], v[82:83], v[110:111]
	v_fmac_f64_e32 v[22:23], v[84:85], v[110:111]
	s_delay_alu instid0(VALU_DEP_4) | instskip(NEXT) | instid1(VALU_DEP_4)
	v_fmac_f64_e32 v[18:19], v[54:55], v[110:111]
	v_fmac_f64_e32 v[12:13], v[56:57], v[110:111]
	s_wait_loadcnt 0xb
	s_delay_alu instid0(VALU_DEP_4) | instskip(NEXT) | instid1(VALU_DEP_4)
	v_fmac_f64_e32 v[20:21], v[50:51], v[112:113]
	v_fmac_f64_e32 v[22:23], v[52:53], v[112:113]
	s_wait_loadcnt 0xa
	s_delay_alu instid0(VALU_DEP_4) | instskip(NEXT) | instid1(VALU_DEP_4)
	v_fmac_f64_e32 v[18:19], v[46:47], v[112:113]
	v_fmac_f64_e32 v[12:13], v[48:49], v[112:113]
	s_wait_loadcnt 0x7
	s_delay_alu instid0(VALU_DEP_4) | instskip(NEXT) | instid1(VALU_DEP_4)
	v_fmac_f64_e32 v[20:21], v[86:87], v[70:71]
	v_fmac_f64_e32 v[22:23], v[88:89], v[70:71]
	s_delay_alu instid0(VALU_DEP_4) | instskip(NEXT) | instid1(VALU_DEP_4)
	v_fmac_f64_e32 v[18:19], v[42:43], v[70:71]
	v_fmac_f64_e32 v[12:13], v[44:45], v[70:71]
	;; [unrolled: 15-line block ×3, first 2 shown]
	s_wait_loadcnt 0x1
	s_delay_alu instid0(VALU_DEP_4) | instskip(NEXT) | instid1(VALU_DEP_4)
	v_fmac_f64_e32 v[20:21], v[74:75], v[80:81]
	v_fmac_f64_e32 v[22:23], v[76:77], v[80:81]
	s_wait_loadcnt 0x0
	s_delay_alu instid0(VALU_DEP_4) | instskip(NEXT) | instid1(VALU_DEP_4)
	v_fmac_f64_e32 v[18:19], v[98:99], v[80:81]
	v_fmac_f64_e32 v[12:13], v[100:101], v[80:81]
	s_and_not1_b32 exec_lo, exec_lo, s6
	s_cbranch_execnz .LBB46_35
; %bb.36:
	s_or_b32 exec_lo, exec_lo, s6
.LBB46_37:
	s_delay_alu instid0(SALU_CYCLE_1)
	s_or_b32 exec_lo, exec_lo, s2
.LBB46_38:
	s_delay_alu instid0(SALU_CYCLE_1)
	s_or_b32 exec_lo, exec_lo, s3
.LBB46_39:
	v_mbcnt_lo_u32_b32 v1, -1, 0
	s_delay_alu instid0(VALU_DEP_1) | instskip(NEXT) | instid1(VALU_DEP_1)
	v_xor_b32_e32 v4, 4, v1
	v_cmp_gt_i32_e32 vcc_lo, 32, v4
	v_cndmask_b32_e32 v4, v1, v4, vcc_lo
	s_delay_alu instid0(VALU_DEP_1)
	v_lshlrev_b32_e32 v17, 2, v4
	ds_bpermute_b32 v4, v17, v20
	ds_bpermute_b32 v5, v17, v21
	;; [unrolled: 1-line block ×8, first 2 shown]
	s_wait_dscnt 0x6
	v_add_f64_e32 v[4:5], v[20:21], v[4:5]
	s_wait_dscnt 0x4
	v_add_f64_e32 v[6:7], v[22:23], v[6:7]
	;; [unrolled: 2-line block ×4, first 2 shown]
	v_xor_b32_e32 v12, 2, v1
	s_delay_alu instid0(VALU_DEP_1) | instskip(SKIP_1) | instid1(VALU_DEP_1)
	v_cmp_gt_i32_e32 vcc_lo, 32, v12
	v_cndmask_b32_e32 v12, v1, v12, vcc_lo
	v_lshlrev_b32_e32 v14, 2, v12
	ds_bpermute_b32 v12, v14, v4
	ds_bpermute_b32 v13, v14, v5
	;; [unrolled: 1-line block ×8, first 2 shown]
	s_wait_dscnt 0x6
	v_add_f64_e32 v[14:15], v[4:5], v[12:13]
	s_wait_dscnt 0x4
	v_add_f64_e32 v[12:13], v[6:7], v[20:21]
	;; [unrolled: 2-line block ×4, first 2 shown]
	v_xor_b32_e32 v16, 1, v1
	s_delay_alu instid0(VALU_DEP_1) | instskip(SKIP_2) | instid1(VALU_DEP_2)
	v_cmp_gt_i32_e32 vcc_lo, 32, v16
	v_cndmask_b32_e32 v1, v1, v16, vcc_lo
	v_cmp_eq_u32_e32 vcc_lo, 7, v0
	v_lshlrev_b32_e32 v1, 2, v1
	ds_bpermute_b32 v22, v1, v14
	ds_bpermute_b32 v23, v1, v15
	;; [unrolled: 1-line block ×8, first 2 shown]
	s_and_b32 exec_lo, exec_lo, vcc_lo
	s_cbranch_execz .LBB46_10
; %bb.40:
	s_wait_dscnt 0x6
	v_add_f64_e32 v[0:1], v[14:15], v[22:23]
	s_wait_dscnt 0x4
	v_add_f64_e32 v[12:13], v[12:13], v[20:21]
	;; [unrolled: 2-line block ×4, first 2 shown]
	s_load_b64 s[0:1], s[0:1], 0x58
	v_lshlrev_b64_e32 v[10:11], 5, v[10:11]
	s_mov_b32 s2, exec_lo
	v_mul_f64_e32 v[4:5], v[2:3], v[0:1]
	v_mul_f64_e32 v[6:7], v[2:3], v[12:13]
	;; [unrolled: 1-line block ×4, first 2 shown]
	v_cmpx_eq_f64_e32 0, v[8:9]
	s_xor_b32 s2, exec_lo, s2
	s_cbranch_execz .LBB46_42
; %bb.41:
	s_wait_kmcnt 0x0
	v_add_nc_u64_e32 v[8:9], s[0:1], v[10:11]
                                        ; implicit-def: $vgpr10_vgpr11
	s_clause 0x1
	global_store_b128 v[8:9], v[4:7], off
	global_store_b128 v[8:9], v[0:3], off offset:16
                                        ; implicit-def: $vgpr8_vgpr9
                                        ; implicit-def: $vgpr4_vgpr5
                                        ; implicit-def: $vgpr0_vgpr1
.LBB46_42:
	s_wait_xcnt 0x0
	s_and_not1_saveexec_b32 s2, s2
	s_cbranch_execz .LBB46_10
; %bb.43:
	s_wait_kmcnt 0x0
	v_add_nc_u64_e32 v[18:19], s[0:1], v[10:11]
	s_clause 0x1
	global_load_b128 v[10:13], v[18:19], off
	global_load_b128 v[14:17], v[18:19], off offset:16
	s_wait_loadcnt 0x1
	v_fmac_f64_e32 v[4:5], v[8:9], v[10:11]
	v_fmac_f64_e32 v[6:7], v[8:9], v[12:13]
	s_wait_loadcnt 0x0
	v_fmac_f64_e32 v[0:1], v[8:9], v[14:15]
	v_fmac_f64_e32 v[2:3], v[8:9], v[16:17]
	s_clause 0x1
	global_store_b128 v[18:19], v[4:7], off
	global_store_b128 v[18:19], v[0:3], off offset:16
	s_sendmsg sendmsg(MSG_DEALLOC_VGPRS)
	s_endpgm
	.section	.rodata,"a",@progbits
	.p2align	6, 0x0
	.amdhsa_kernel _ZN9rocsparseL18bsrxmvn_4x4_kernelILj128ELj8EdlldddEEvT3_20rocsparse_direction_NS_24const_host_device_scalarIT1_EES1_PKS1_PKT2_SA_S7_PKT4_PKT5_S5_PT6_21rocsparse_index_base_b
		.amdhsa_group_segment_fixed_size 0
		.amdhsa_private_segment_fixed_size 0
		.amdhsa_kernarg_size 104
		.amdhsa_user_sgpr_count 2
		.amdhsa_user_sgpr_dispatch_ptr 0
		.amdhsa_user_sgpr_queue_ptr 0
		.amdhsa_user_sgpr_kernarg_segment_ptr 1
		.amdhsa_user_sgpr_dispatch_id 0
		.amdhsa_user_sgpr_kernarg_preload_length 0
		.amdhsa_user_sgpr_kernarg_preload_offset 0
		.amdhsa_user_sgpr_private_segment_size 0
		.amdhsa_wavefront_size32 1
		.amdhsa_uses_dynamic_stack 0
		.amdhsa_enable_private_segment 0
		.amdhsa_system_sgpr_workgroup_id_x 1
		.amdhsa_system_sgpr_workgroup_id_y 0
		.amdhsa_system_sgpr_workgroup_id_z 0
		.amdhsa_system_sgpr_workgroup_info 0
		.amdhsa_system_vgpr_workitem_id 0
		.amdhsa_next_free_vgpr 140
		.amdhsa_next_free_sgpr 12
		.amdhsa_named_barrier_count 0
		.amdhsa_reserve_vcc 1
		.amdhsa_float_round_mode_32 0
		.amdhsa_float_round_mode_16_64 0
		.amdhsa_float_denorm_mode_32 3
		.amdhsa_float_denorm_mode_16_64 3
		.amdhsa_fp16_overflow 0
		.amdhsa_memory_ordered 1
		.amdhsa_forward_progress 1
		.amdhsa_inst_pref_size 35
		.amdhsa_round_robin_scheduling 0
		.amdhsa_exception_fp_ieee_invalid_op 0
		.amdhsa_exception_fp_denorm_src 0
		.amdhsa_exception_fp_ieee_div_zero 0
		.amdhsa_exception_fp_ieee_overflow 0
		.amdhsa_exception_fp_ieee_underflow 0
		.amdhsa_exception_fp_ieee_inexact 0
		.amdhsa_exception_int_div_zero 0
	.end_amdhsa_kernel
	.section	.text._ZN9rocsparseL18bsrxmvn_4x4_kernelILj128ELj8EdlldddEEvT3_20rocsparse_direction_NS_24const_host_device_scalarIT1_EES1_PKS1_PKT2_SA_S7_PKT4_PKT5_S5_PT6_21rocsparse_index_base_b,"axG",@progbits,_ZN9rocsparseL18bsrxmvn_4x4_kernelILj128ELj8EdlldddEEvT3_20rocsparse_direction_NS_24const_host_device_scalarIT1_EES1_PKS1_PKT2_SA_S7_PKT4_PKT5_S5_PT6_21rocsparse_index_base_b,comdat
.Lfunc_end46:
	.size	_ZN9rocsparseL18bsrxmvn_4x4_kernelILj128ELj8EdlldddEEvT3_20rocsparse_direction_NS_24const_host_device_scalarIT1_EES1_PKS1_PKT2_SA_S7_PKT4_PKT5_S5_PT6_21rocsparse_index_base_b, .Lfunc_end46-_ZN9rocsparseL18bsrxmvn_4x4_kernelILj128ELj8EdlldddEEvT3_20rocsparse_direction_NS_24const_host_device_scalarIT1_EES1_PKS1_PKT2_SA_S7_PKT4_PKT5_S5_PT6_21rocsparse_index_base_b
                                        ; -- End function
	.set _ZN9rocsparseL18bsrxmvn_4x4_kernelILj128ELj8EdlldddEEvT3_20rocsparse_direction_NS_24const_host_device_scalarIT1_EES1_PKS1_PKT2_SA_S7_PKT4_PKT5_S5_PT6_21rocsparse_index_base_b.num_vgpr, 140
	.set _ZN9rocsparseL18bsrxmvn_4x4_kernelILj128ELj8EdlldddEEvT3_20rocsparse_direction_NS_24const_host_device_scalarIT1_EES1_PKS1_PKT2_SA_S7_PKT4_PKT5_S5_PT6_21rocsparse_index_base_b.num_agpr, 0
	.set _ZN9rocsparseL18bsrxmvn_4x4_kernelILj128ELj8EdlldddEEvT3_20rocsparse_direction_NS_24const_host_device_scalarIT1_EES1_PKS1_PKT2_SA_S7_PKT4_PKT5_S5_PT6_21rocsparse_index_base_b.numbered_sgpr, 12
	.set _ZN9rocsparseL18bsrxmvn_4x4_kernelILj128ELj8EdlldddEEvT3_20rocsparse_direction_NS_24const_host_device_scalarIT1_EES1_PKS1_PKT2_SA_S7_PKT4_PKT5_S5_PT6_21rocsparse_index_base_b.num_named_barrier, 0
	.set _ZN9rocsparseL18bsrxmvn_4x4_kernelILj128ELj8EdlldddEEvT3_20rocsparse_direction_NS_24const_host_device_scalarIT1_EES1_PKS1_PKT2_SA_S7_PKT4_PKT5_S5_PT6_21rocsparse_index_base_b.private_seg_size, 0
	.set _ZN9rocsparseL18bsrxmvn_4x4_kernelILj128ELj8EdlldddEEvT3_20rocsparse_direction_NS_24const_host_device_scalarIT1_EES1_PKS1_PKT2_SA_S7_PKT4_PKT5_S5_PT6_21rocsparse_index_base_b.uses_vcc, 1
	.set _ZN9rocsparseL18bsrxmvn_4x4_kernelILj128ELj8EdlldddEEvT3_20rocsparse_direction_NS_24const_host_device_scalarIT1_EES1_PKS1_PKT2_SA_S7_PKT4_PKT5_S5_PT6_21rocsparse_index_base_b.uses_flat_scratch, 0
	.set _ZN9rocsparseL18bsrxmvn_4x4_kernelILj128ELj8EdlldddEEvT3_20rocsparse_direction_NS_24const_host_device_scalarIT1_EES1_PKS1_PKT2_SA_S7_PKT4_PKT5_S5_PT6_21rocsparse_index_base_b.has_dyn_sized_stack, 0
	.set _ZN9rocsparseL18bsrxmvn_4x4_kernelILj128ELj8EdlldddEEvT3_20rocsparse_direction_NS_24const_host_device_scalarIT1_EES1_PKS1_PKT2_SA_S7_PKT4_PKT5_S5_PT6_21rocsparse_index_base_b.has_recursion, 0
	.set _ZN9rocsparseL18bsrxmvn_4x4_kernelILj128ELj8EdlldddEEvT3_20rocsparse_direction_NS_24const_host_device_scalarIT1_EES1_PKS1_PKT2_SA_S7_PKT4_PKT5_S5_PT6_21rocsparse_index_base_b.has_indirect_call, 0
	.section	.AMDGPU.csdata,"",@progbits
; Kernel info:
; codeLenInByte = 4376
; TotalNumSgprs: 14
; NumVgprs: 140
; ScratchSize: 0
; MemoryBound: 1
; FloatMode: 240
; IeeeMode: 1
; LDSByteSize: 0 bytes/workgroup (compile time only)
; SGPRBlocks: 0
; VGPRBlocks: 8
; NumSGPRsForWavesPerEU: 14
; NumVGPRsForWavesPerEU: 140
; NamedBarCnt: 0
; Occupancy: 7
; WaveLimiterHint : 1
; COMPUTE_PGM_RSRC2:SCRATCH_EN: 0
; COMPUTE_PGM_RSRC2:USER_SGPR: 2
; COMPUTE_PGM_RSRC2:TRAP_HANDLER: 0
; COMPUTE_PGM_RSRC2:TGID_X_EN: 1
; COMPUTE_PGM_RSRC2:TGID_Y_EN: 0
; COMPUTE_PGM_RSRC2:TGID_Z_EN: 0
; COMPUTE_PGM_RSRC2:TIDIG_COMP_CNT: 0
	.section	.text._ZN9rocsparseL18bsrxmvn_4x4_kernelILj128ELj16EdlldddEEvT3_20rocsparse_direction_NS_24const_host_device_scalarIT1_EES1_PKS1_PKT2_SA_S7_PKT4_PKT5_S5_PT6_21rocsparse_index_base_b,"axG",@progbits,_ZN9rocsparseL18bsrxmvn_4x4_kernelILj128ELj16EdlldddEEvT3_20rocsparse_direction_NS_24const_host_device_scalarIT1_EES1_PKS1_PKT2_SA_S7_PKT4_PKT5_S5_PT6_21rocsparse_index_base_b,comdat
	.globl	_ZN9rocsparseL18bsrxmvn_4x4_kernelILj128ELj16EdlldddEEvT3_20rocsparse_direction_NS_24const_host_device_scalarIT1_EES1_PKS1_PKT2_SA_S7_PKT4_PKT5_S5_PT6_21rocsparse_index_base_b ; -- Begin function _ZN9rocsparseL18bsrxmvn_4x4_kernelILj128ELj16EdlldddEEvT3_20rocsparse_direction_NS_24const_host_device_scalarIT1_EES1_PKS1_PKT2_SA_S7_PKT4_PKT5_S5_PT6_21rocsparse_index_base_b
	.p2align	8
	.type	_ZN9rocsparseL18bsrxmvn_4x4_kernelILj128ELj16EdlldddEEvT3_20rocsparse_direction_NS_24const_host_device_scalarIT1_EES1_PKS1_PKT2_SA_S7_PKT4_PKT5_S5_PT6_21rocsparse_index_base_b,@function
_ZN9rocsparseL18bsrxmvn_4x4_kernelILj128ELj16EdlldddEEvT3_20rocsparse_direction_NS_24const_host_device_scalarIT1_EES1_PKS1_PKT2_SA_S7_PKT4_PKT5_S5_PT6_21rocsparse_index_base_b: ; @_ZN9rocsparseL18bsrxmvn_4x4_kernelILj128ELj16EdlldddEEvT3_20rocsparse_direction_NS_24const_host_device_scalarIT1_EES1_PKS1_PKT2_SA_S7_PKT4_PKT5_S5_PT6_21rocsparse_index_base_b
; %bb.0:
	s_clause 0x2
	s_load_b64 s[8:9], s[0:1], 0x60
	s_load_b128 s[4:7], s[0:1], 0x10
	s_load_b64 s[2:3], s[0:1], 0x50
	s_wait_kmcnt 0x0
	s_bitcmp1_b32 s9, 0
	v_mov_b64_e32 v[2:3], s[4:5]
	s_cselect_b32 s9, -1, 0
	s_delay_alu instid0(SALU_CYCLE_1)
	s_and_b32 vcc_lo, exec_lo, s9
	s_xor_b32 s9, s9, -1
	s_cbranch_vccnz .LBB47_2
; %bb.1:
	v_mov_b32_e32 v1, 0
	flat_load_b64 v[2:3], v1, s[4:5]
.LBB47_2:
	v_mov_b64_e32 v[8:9], s[2:3]
	s_and_not1_b32 vcc_lo, exec_lo, s9
	s_cbranch_vccnz .LBB47_4
; %bb.3:
	s_wait_xcnt 0x0
	v_mov_b32_e32 v1, 0
	flat_load_b64 v[8:9], v1, s[2:3]
.LBB47_4:
	s_wait_loadcnt_dscnt 0x0
	v_cmp_neq_f64_e32 vcc_lo, 0, v[2:3]
	s_delay_alu instid0(VALU_DEP_2) | instskip(SKIP_1) | instid1(SALU_CYCLE_1)
	v_cmp_neq_f64_e64 s2, 1.0, v[8:9]
	s_or_b32 s2, vcc_lo, s2
	s_and_saveexec_b32 s3, s2
	s_cbranch_execz .LBB47_10
; %bb.5:
	s_load_b64 s[2:3], s[0:1], 0x20
	s_bfe_u32 s4, ttmp6, 0x4000c
	s_and_b32 s5, ttmp6, 15
	s_add_co_i32 s4, s4, 1
	s_getreg_b32 s9, hwreg(HW_REG_IB_STS2, 6, 4)
	s_mul_i32 s4, ttmp9, s4
	v_dual_lshrrev_b32 v1, 4, v0 :: v_dual_mov_b32 v7, 0
	s_add_co_i32 s5, s5, s4
	s_cmp_eq_u32 s9, 0
	s_cselect_b32 s4, ttmp9, s5
	s_delay_alu instid0(VALU_DEP_1) | instid1(SALU_CYCLE_1)
	v_lshl_or_b32 v6, s4, 3, v1
	s_mov_b32 s4, 0
	s_wait_kmcnt 0x0
	s_cmp_lg_u64 s[2:3], 0
	s_cbranch_scc0 .LBB47_11
; %bb.6:
	v_cmp_gt_i64_e32 vcc_lo, s[6:7], v[6:7]
	s_mov_b32 s5, 0
                                        ; implicit-def: $vgpr10_vgpr11
                                        ; implicit-def: $vgpr4_vgpr5
	s_and_saveexec_b32 s6, vcc_lo
	s_delay_alu instid0(SALU_CYCLE_1)
	s_xor_b32 s6, exec_lo, s6
	s_cbranch_execz .LBB47_8
; %bb.7:
	v_lshl_add_u64 v[4:5], v[6:7], 3, s[2:3]
	s_mov_b32 s9, 0
	s_mov_b32 s4, exec_lo
	global_load_b64 v[4:5], v[4:5], off
	s_wait_loadcnt 0x0
	v_sub_nc_u64_e64 v[10:11], v[4:5], s[8:9]
	v_mov_b64_e32 v[4:5], s[8:9]
.LBB47_8:
	s_or_b32 exec_lo, exec_lo, s6
	s_delay_alu instid0(SALU_CYCLE_1)
	s_and_b32 vcc_lo, exec_lo, s5
	s_cbranch_vccnz .LBB47_12
.LBB47_9:
	s_and_b32 exec_lo, exec_lo, s4
	s_cbranch_execnz .LBB47_15
.LBB47_10:
	s_sendmsg sendmsg(MSG_DEALLOC_VGPRS)
	s_endpgm
.LBB47_11:
                                        ; implicit-def: $vgpr10_vgpr11
                                        ; implicit-def: $vgpr4_vgpr5
	s_cbranch_execz .LBB47_9
.LBB47_12:
	s_load_b64 s[2:3], s[0:1], 0x0
	s_wait_kmcnt 0x0
	v_cmp_gt_i64_e32 vcc_lo, s[2:3], v[6:7]
	s_and_saveexec_b32 s2, vcc_lo
; %bb.13:
	s_mov_b32 s9, 0
	s_or_b32 s4, s4, exec_lo
; %bb.14:
	s_or_b32 exec_lo, exec_lo, s2
	v_mov_b64_e32 v[4:5], s[8:9]
	v_mov_b64_e32 v[10:11], v[6:7]
	s_and_b32 exec_lo, exec_lo, s4
	s_cbranch_execz .LBB47_10
.LBB47_15:
	s_load_b256 s[4:11], s[0:1], 0x28
	s_delay_alu instid0(VALU_DEP_1) | instskip(SKIP_3) | instid1(VALU_DEP_2)
	v_lshlrev_b64_e32 v[6:7], 3, v[10:11]
	v_dual_mov_b32 v1, 0 :: v_dual_bitop2_b32 v0, 15, v0 bitop3:0x40
	s_load_b32 s3, s[0:1], 0x8
	s_wait_kmcnt 0x0
	v_add_nc_u64_e32 v[12:13], s[4:5], v[6:7]
	v_add_nc_u64_e32 v[6:7], s[6:7], v[6:7]
	s_cmp_eq_u64 s[6:7], 0
	s_load_b64 s[4:5], s[0:1], 0x48
	s_cselect_b32 vcc_lo, -1, 0
	s_cmp_eq_u32 s3, 1
	global_load_b64 v[24:25], v[12:13], off
	s_wait_xcnt 0x0
	v_add_nc_u64_e32 v[12:13], 8, v[12:13]
	s_delay_alu instid0(VALU_DEP_1) | instskip(SKIP_3) | instid1(VALU_DEP_1)
	v_dual_cndmask_b32 v7, v7, v13 :: v_dual_cndmask_b32 v6, v6, v12
	global_load_b64 v[6:7], v[6:7], off
	s_wait_loadcnt 0x1
	v_sub_nc_u64_e32 v[12:13], v[24:25], v[4:5]
	v_add_nc_u64_e32 v[12:13], v[12:13], v[0:1]
	s_wait_loadcnt 0x0
	v_sub_nc_u64_e32 v[18:19], v[6:7], v[4:5]
	s_delay_alu instid0(VALU_DEP_2) | instskip(NEXT) | instid1(VALU_DEP_2)
	v_lshlrev_b64_e32 v[14:15], 7, v[12:13]
	v_cmp_lt_i64_e64 s2, v[12:13], v[18:19]
	s_delay_alu instid0(VALU_DEP_2)
	v_add_nc_u64_e32 v[20:21], s[10:11], v[14:15]
	s_cbranch_scc1 .LBB47_27
; %bb.16:
	v_mov_b64_e32 v[6:7], 0
	v_mov_b64_e32 v[14:15], 0
	;; [unrolled: 1-line block ×4, first 2 shown]
	s_and_saveexec_b32 s3, s2
	s_cbranch_execz .LBB47_26
; %bb.17:
	v_dual_mov_b32 v7, v1 :: v_dual_bitop2_b32 v6, 16, v0 bitop3:0x54
	v_sub_nc_u64_e32 v[14:15], v[4:5], v[0:1]
	v_not_b32_e32 v17, v25
	v_not_b32_e32 v16, v24
	v_mov_b64_e32 v[22:23], 0
	v_sub_nc_u64_e32 v[6:7], v[6:7], v[4:5]
	v_mov_b64_e32 v[26:27], v[12:13]
	v_mov_b64_e32 v[28:29], v[20:21]
	v_add_nc_u64_e32 v[14:15], v[14:15], v[16:17]
	v_mov_b64_e32 v[16:17], 0
	s_mov_b32 s6, exec_lo
	v_add_nc_u64_e32 v[6:7], v[6:7], v[24:25]
	s_delay_alu instid0(VALU_DEP_1) | instskip(NEXT) | instid1(VALU_DEP_1)
	v_max_i64 v[6:7], v[6:7], v[18:19]
	v_add_nc_u64_e32 v[30:31], v[14:15], v[6:7]
	v_mov_b64_e32 v[14:15], 0
	v_mov_b64_e32 v[6:7], 0
	s_delay_alu instid0(VALU_DEP_3) | instskip(NEXT) | instid1(VALU_DEP_1)
	v_dual_mov_b32 v35, 0 :: v_dual_bitop2_b32 v34, 48, v30 bitop3:0x40
	v_cmpx_ne_u64_e32 48, v[34:35]
	s_cbranch_execz .LBB47_21
; %bb.18:
	v_lshrrev_b32_e32 v6, 4, v30
	v_mov_b64_e32 v[14:15], 0
	v_mov_b64_e32 v[22:23], 0
	;; [unrolled: 1-line block ×4, first 2 shown]
	v_add_nc_u32_e32 v6, 1, v6
	v_mov_b64_e32 v[26:27], v[12:13]
	v_lshl_add_u64 v[32:33], v[12:13], 3, s[8:9]
	s_mov_b32 s7, 0
	s_delay_alu instid0(VALU_DEP_3) | instskip(SKIP_1) | instid1(VALU_DEP_2)
	v_and_b32_e32 v34, 3, v6
	v_mov_b64_e32 v[6:7], 0
	v_sub_nc_u64_e32 v[34:35], 0, v[34:35]
.LBB47_19:                              ; =>This Inner Loop Header: Depth=1
	global_load_b64 v[36:37], v[32:33], off
	v_add_nc_u64_e32 v[34:35], 1, v[34:35]
	v_add_nc_u64_e32 v[26:27], 16, v[26:27]
	s_wait_xcnt 0x0
	v_add_nc_u64_e32 v[32:33], 0x80, v[32:33]
	s_delay_alu instid0(VALU_DEP_3)
	v_cmp_eq_u64_e32 vcc_lo, 0, v[34:35]
	s_or_b32 s7, vcc_lo, s7
	s_wait_loadcnt 0x0
	v_sub_nc_u64_e32 v[44:45], v[36:37], v[4:5]
	s_clause 0x1
	global_load_b128 v[36:39], v[28:29], off offset:48
	global_load_b128 v[40:43], v[28:29], off offset:32
	v_lshlrev_b64_e32 v[56:57], 5, v[44:45]
	s_clause 0x2
	global_load_b128 v[44:47], v[28:29], off offset:16
	global_load_b128 v[48:51], v[28:29], off
	global_load_b128 v[52:55], v[28:29], off offset:112
	s_wait_kmcnt 0x0
	v_add_nc_u64_e32 v[76:77], s[4:5], v[56:57]
	s_clause 0x2
	global_load_b128 v[56:59], v[28:29], off offset:96
	global_load_b128 v[60:63], v[28:29], off offset:80
	;; [unrolled: 1-line block ×3, first 2 shown]
	s_clause 0x1
	global_load_b128 v[68:71], v[76:77], off
	global_load_b128 v[72:75], v[76:77], off offset:16
	s_wait_xcnt 0x2
	v_add_nc_u64_e32 v[28:29], 0x800, v[28:29]
	s_wait_loadcnt 0x1
	v_fmac_f64_e32 v[16:17], v[48:49], v[68:69]
	v_fmac_f64_e32 v[22:23], v[40:41], v[68:69]
	;; [unrolled: 1-line block ×4, first 2 shown]
	s_delay_alu instid0(VALU_DEP_4) | instskip(NEXT) | instid1(VALU_DEP_4)
	v_fmac_f64_e32 v[16:17], v[50:51], v[70:71]
	v_fmac_f64_e32 v[22:23], v[42:43], v[70:71]
	s_delay_alu instid0(VALU_DEP_4) | instskip(NEXT) | instid1(VALU_DEP_4)
	v_fmac_f64_e32 v[14:15], v[66:67], v[70:71]
	v_fmac_f64_e32 v[6:7], v[58:59], v[70:71]
	s_wait_loadcnt 0x0
	s_delay_alu instid0(VALU_DEP_4) | instskip(NEXT) | instid1(VALU_DEP_4)
	v_fmac_f64_e32 v[16:17], v[44:45], v[72:73]
	v_fmac_f64_e32 v[22:23], v[36:37], v[72:73]
	s_delay_alu instid0(VALU_DEP_4) | instskip(NEXT) | instid1(VALU_DEP_4)
	v_fmac_f64_e32 v[14:15], v[60:61], v[72:73]
	v_fmac_f64_e32 v[6:7], v[52:53], v[72:73]
	;; [unrolled: 3-line block ×4, first 2 shown]
	s_and_not1_b32 exec_lo, exec_lo, s7
	s_cbranch_execnz .LBB47_19
; %bb.20:
	s_or_b32 exec_lo, exec_lo, s7
.LBB47_21:
	s_delay_alu instid0(SALU_CYCLE_1) | instskip(NEXT) | instid1(SALU_CYCLE_1)
	s_or_b32 exec_lo, exec_lo, s6
	s_mov_b32 s6, exec_lo
	v_cmpx_lt_u64_e32 47, v[30:31]
	s_cbranch_execz .LBB47_25
; %bb.22:
	v_lshl_add_u64 v[30:31], v[26:27], 3, s[8:9]
	s_mov_b32 s7, 0
	s_delay_alu instid0(VALU_DEP_1)
	v_add_nc_u64_e32 v[30:31], 0x100, v[30:31]
.LBB47_23:                              ; =>This Inner Loop Header: Depth=1
	global_load_b64 v[124:125], v[30:31], off offset:-256
	s_clause 0xd
	global_load_b128 v[32:35], v[28:29], off offset:48
	global_load_b128 v[36:39], v[28:29], off offset:32
	global_load_b128 v[40:43], v[28:29], off offset:16
	global_load_b128 v[44:47], v[28:29], off
	global_load_b128 v[48:51], v[28:29], off offset:112
	global_load_b128 v[52:55], v[28:29], off offset:96
	;; [unrolled: 1-line block ×10, first 2 shown]
	s_clause 0x2
	global_load_b64 v[132:133], v[30:31], off offset:-128
	global_load_b64 v[134:135], v[30:31], off
	global_load_b64 v[136:137], v[30:31], off offset:128
	s_clause 0x8
	global_load_b128 v[88:91], v[28:29], off offset:2128
	global_load_b128 v[92:95], v[28:29], off offset:2112
	;; [unrolled: 1-line block ×9, first 2 shown]
	v_add_nc_u64_e32 v[26:27], 64, v[26:27]
	s_wait_xcnt 0x9
	v_add_nc_u64_e32 v[30:31], 0x200, v[30:31]
	s_delay_alu instid0(VALU_DEP_2) | instskip(SKIP_3) | instid1(VALU_DEP_1)
	v_cmp_ge_i64_e32 vcc_lo, v[26:27], v[18:19]
	s_or_b32 s7, vcc_lo, s7
	s_wait_loadcnt 0x1a
	v_sub_nc_u64_e32 v[124:125], v[124:125], v[4:5]
	v_lshlrev_b64_e32 v[124:125], 5, v[124:125]
	s_wait_kmcnt 0x0
	s_delay_alu instid0(VALU_DEP_1)
	v_add_nc_u64_e32 v[138:139], s[4:5], v[124:125]
	s_wait_loadcnt 0xb
	v_sub_nc_u64_e32 v[132:133], v[132:133], v[4:5]
	s_wait_loadcnt 0xa
	v_sub_nc_u64_e32 v[134:135], v[134:135], v[4:5]
	;; [unrolled: 2-line block ×3, first 2 shown]
	s_clause 0x1
	global_load_b128 v[124:127], v[138:139], off
	global_load_b128 v[128:131], v[138:139], off offset:16
	v_lshlrev_b64_e32 v[132:133], 5, v[132:133]
	v_lshlrev_b64_e32 v[134:135], 5, v[134:135]
	;; [unrolled: 1-line block ×3, first 2 shown]
	s_delay_alu instid0(VALU_DEP_3) | instskip(SKIP_1) | instid1(VALU_DEP_3)
	v_add_nc_u64_e32 v[132:133], s[4:5], v[132:133]
	s_wait_xcnt 0x0
	v_add_nc_u64_e32 v[138:139], s[4:5], v[134:135]
	s_delay_alu instid0(VALU_DEP_3)
	v_add_nc_u64_e32 v[136:137], s[4:5], v[136:137]
	s_wait_loadcnt 0x1
	v_fmac_f64_e32 v[14:15], v[60:61], v[124:125]
	v_fmac_f64_e32 v[16:17], v[44:45], v[124:125]
	;; [unrolled: 1-line block ×4, first 2 shown]
	s_delay_alu instid0(VALU_DEP_4)
	v_fmac_f64_e32 v[14:15], v[62:63], v[126:127]
	global_load_b128 v[60:63], v[132:133], off
	v_fmac_f64_e32 v[16:17], v[46:47], v[126:127]
	global_load_b128 v[44:47], v[28:29], off offset:4160
	v_fmac_f64_e32 v[22:23], v[38:39], v[126:127]
	global_load_b128 v[36:39], v[28:29], off offset:6192
	v_fmac_f64_e32 v[6:7], v[54:55], v[126:127]
	s_clause 0x1
	global_load_b128 v[52:55], v[28:29], off offset:6176
	global_load_b128 v[124:127], v[28:29], off offset:6160
	s_wait_loadcnt 0x5
	v_fmac_f64_e32 v[14:15], v[56:57], v[128:129]
	v_fmac_f64_e32 v[16:17], v[40:41], v[128:129]
	;; [unrolled: 1-line block ×4, first 2 shown]
	s_delay_alu instid0(VALU_DEP_4)
	v_fmac_f64_e32 v[14:15], v[58:59], v[130:131]
	global_load_b128 v[56:59], v[28:29], off offset:6144
	v_fmac_f64_e32 v[16:17], v[42:43], v[130:131]
	global_load_b128 v[40:43], v[132:133], off offset:16
	v_fmac_f64_e32 v[22:23], v[34:35], v[130:131]
	global_load_b128 v[32:35], v[138:139], off
	v_fmac_f64_e32 v[6:7], v[50:51], v[130:131]
	s_clause 0x1
	global_load_b128 v[48:51], v[28:29], off offset:6256
	global_load_b128 v[128:131], v[28:29], off offset:6240
	;; [unrolled: 1-line block ×3, first 2 shown]
	s_wait_loadcnt 0xa
	v_fmac_f64_e32 v[16:17], v[76:77], v[60:61]
	v_fmac_f64_e32 v[22:23], v[68:69], v[60:61]
	;; [unrolled: 1-line block ×4, first 2 shown]
	s_delay_alu instid0(VALU_DEP_4)
	v_fmac_f64_e32 v[16:17], v[78:79], v[62:63]
	global_load_b128 v[76:79], v[28:29], off offset:6208
	v_fmac_f64_e32 v[22:23], v[70:71], v[62:63]
	global_load_b128 v[68:71], v[136:137], off
	v_fmac_f64_e32 v[14:15], v[94:95], v[62:63]
	global_load_b128 v[92:95], v[28:29], off offset:6224
	v_fmac_f64_e32 v[6:7], v[86:87], v[62:63]
	global_load_b128 v[60:63], v[136:137], off offset:16
	s_wait_xcnt 0x1
	v_add_nc_u64_e32 v[28:29], 0x2000, v[28:29]
	s_wait_loadcnt 0x8
	v_fmac_f64_e32 v[16:17], v[72:73], v[40:41]
	v_fmac_f64_e32 v[22:23], v[64:65], v[40:41]
	;; [unrolled: 1-line block ×4, first 2 shown]
	s_delay_alu instid0(VALU_DEP_4) | instskip(NEXT) | instid1(VALU_DEP_4)
	v_fmac_f64_e32 v[16:17], v[74:75], v[42:43]
	v_fmac_f64_e32 v[22:23], v[66:67], v[42:43]
	s_delay_alu instid0(VALU_DEP_4) | instskip(NEXT) | instid1(VALU_DEP_4)
	v_fmac_f64_e32 v[14:15], v[90:91], v[42:43]
	v_fmac_f64_e32 v[6:7], v[82:83], v[42:43]
	s_wait_loadcnt 0x7
	s_delay_alu instid0(VALU_DEP_4) | instskip(NEXT) | instid1(VALU_DEP_4)
	v_fmac_f64_e32 v[16:17], v[108:109], v[32:33]
	v_fmac_f64_e32 v[22:23], v[100:101], v[32:33]
	s_delay_alu instid0(VALU_DEP_4) | instskip(NEXT) | instid1(VALU_DEP_4)
	v_fmac_f64_e32 v[14:15], v[44:45], v[32:33]
	v_fmac_f64_e32 v[6:7], v[116:117], v[32:33]
	s_delay_alu instid0(VALU_DEP_4) | instskip(NEXT) | instid1(VALU_DEP_4)
	v_fmac_f64_e32 v[16:17], v[110:111], v[34:35]
	v_fmac_f64_e32 v[22:23], v[102:103], v[34:35]
	s_delay_alu instid0(VALU_DEP_4) | instskip(NEXT) | instid1(VALU_DEP_4)
	v_fmac_f64_e32 v[14:15], v[46:47], v[34:35]
	v_fmac_f64_e32 v[6:7], v[118:119], v[34:35]
	s_wait_loadcnt 0x4
	s_delay_alu instid0(VALU_DEP_4) | instskip(NEXT) | instid1(VALU_DEP_4)
	v_fmac_f64_e32 v[16:17], v[104:105], v[132:133]
	v_fmac_f64_e32 v[22:23], v[96:97], v[132:133]
	s_delay_alu instid0(VALU_DEP_4) | instskip(NEXT) | instid1(VALU_DEP_4)
	v_fmac_f64_e32 v[14:15], v[120:121], v[132:133]
	v_fmac_f64_e32 v[6:7], v[112:113], v[132:133]
	;; [unrolled: 13-line block ×4, first 2 shown]
	s_delay_alu instid0(VALU_DEP_4) | instskip(NEXT) | instid1(VALU_DEP_4)
	v_fmac_f64_e32 v[16:17], v[126:127], v[62:63]
	v_fmac_f64_e32 v[22:23], v[38:39], v[62:63]
	s_delay_alu instid0(VALU_DEP_4) | instskip(NEXT) | instid1(VALU_DEP_4)
	v_fmac_f64_e32 v[14:15], v[94:95], v[62:63]
	v_fmac_f64_e32 v[6:7], v[50:51], v[62:63]
	s_and_not1_b32 exec_lo, exec_lo, s7
	s_cbranch_execnz .LBB47_23
; %bb.24:
	s_or_b32 exec_lo, exec_lo, s7
.LBB47_25:
	s_delay_alu instid0(SALU_CYCLE_1)
	s_or_b32 exec_lo, exec_lo, s6
.LBB47_26:
	s_delay_alu instid0(SALU_CYCLE_1)
	s_or_b32 exec_lo, exec_lo, s3
	s_cbranch_execz .LBB47_28
	s_branch .LBB47_39
.LBB47_27:
                                        ; implicit-def: $vgpr6_vgpr7
                                        ; implicit-def: $vgpr14_vgpr15
                                        ; implicit-def: $vgpr22_vgpr23
                                        ; implicit-def: $vgpr16_vgpr17
.LBB47_28:
	v_mov_b64_e32 v[6:7], 0
	v_mov_b64_e32 v[14:15], 0
	;; [unrolled: 1-line block ×4, first 2 shown]
	s_and_saveexec_b32 s3, s2
	s_cbranch_execz .LBB47_38
; %bb.29:
	v_dual_mov_b32 v7, v1 :: v_dual_bitop2_b32 v6, 16, v0 bitop3:0x54
	v_sub_nc_u64_e32 v[14:15], v[4:5], v[0:1]
	v_not_b32_e32 v17, v25
	v_not_b32_e32 v16, v24
	v_mov_b64_e32 v[22:23], 0
	v_sub_nc_u64_e32 v[6:7], v[6:7], v[4:5]
	s_mov_b32 s2, exec_lo
	s_delay_alu instid0(VALU_DEP_3) | instskip(SKIP_1) | instid1(VALU_DEP_3)
	v_add_nc_u64_e32 v[14:15], v[14:15], v[16:17]
	v_mov_b64_e32 v[16:17], 0
	v_add_nc_u64_e32 v[6:7], v[6:7], v[24:25]
	s_delay_alu instid0(VALU_DEP_1) | instskip(NEXT) | instid1(VALU_DEP_1)
	v_max_i64 v[6:7], v[6:7], v[18:19]
	v_add_nc_u64_e32 v[24:25], v[14:15], v[6:7]
	v_mov_b64_e32 v[14:15], 0
	v_mov_b64_e32 v[6:7], 0
	s_delay_alu instid0(VALU_DEP_3) | instskip(NEXT) | instid1(VALU_DEP_1)
	v_dual_mov_b32 v27, 0 :: v_dual_bitop2_b32 v26, 48, v24 bitop3:0x40
	v_cmpx_ne_u64_e32 48, v[26:27]
	s_cbranch_execz .LBB47_33
; %bb.30:
	v_lshrrev_b32_e32 v1, 4, v24
	v_mov_b64_e32 v[6:7], 0
	v_mov_b64_e32 v[14:15], 0
	;; [unrolled: 1-line block ×4, first 2 shown]
	v_add_nc_u32_e32 v1, 1, v1
	v_lshl_add_u64 v[28:29], v[12:13], 3, s[8:9]
	s_mov_b32 s6, 0
	s_delay_alu instid0(VALU_DEP_2) | instskip(NEXT) | instid1(VALU_DEP_1)
	v_and_b32_e32 v26, 3, v1
	v_sub_nc_u64_e32 v[26:27], 0, v[26:27]
.LBB47_31:                              ; =>This Inner Loop Header: Depth=1
	global_load_b64 v[30:31], v[28:29], off
	v_add_nc_u64_e32 v[26:27], 1, v[26:27]
	v_add_nc_u64_e32 v[12:13], 16, v[12:13]
	s_wait_xcnt 0x0
	v_add_nc_u64_e32 v[28:29], 0x80, v[28:29]
	s_delay_alu instid0(VALU_DEP_3) | instskip(SKIP_3) | instid1(VALU_DEP_1)
	v_cmp_eq_u64_e32 vcc_lo, 0, v[26:27]
	s_or_b32 s6, vcc_lo, s6
	s_wait_loadcnt 0x0
	v_sub_nc_u64_e32 v[30:31], v[30:31], v[4:5]
	v_lshlrev_b64_e32 v[30:31], 5, v[30:31]
	s_wait_kmcnt 0x0
	s_delay_alu instid0(VALU_DEP_1)
	v_add_nc_u64_e32 v[70:71], s[4:5], v[30:31]
	s_clause 0x1
	global_load_b128 v[30:33], v[20:21], off offset:16
	global_load_b128 v[34:37], v[20:21], off
	s_clause 0x1
	global_load_b128 v[38:41], v[70:71], off
	global_load_b128 v[42:45], v[70:71], off offset:16
	s_clause 0x5
	global_load_b128 v[46:49], v[20:21], off offset:32
	global_load_b128 v[50:53], v[20:21], off offset:48
	;; [unrolled: 1-line block ×6, first 2 shown]
	s_wait_xcnt 0x0
	v_add_nc_u64_e32 v[20:21], 0x800, v[20:21]
	s_wait_loadcnt 0x7
	v_fmac_f64_e32 v[16:17], v[34:35], v[38:39]
	v_fmac_f64_e32 v[22:23], v[36:37], v[38:39]
	;; [unrolled: 1-line block ×4, first 2 shown]
	s_wait_loadcnt 0x5
	s_delay_alu instid0(VALU_DEP_4) | instskip(NEXT) | instid1(VALU_DEP_4)
	v_fmac_f64_e32 v[16:17], v[46:47], v[40:41]
	v_fmac_f64_e32 v[22:23], v[48:49], v[40:41]
	s_wait_loadcnt 0x4
	s_delay_alu instid0(VALU_DEP_4) | instskip(NEXT) | instid1(VALU_DEP_4)
	v_fmac_f64_e32 v[14:15], v[50:51], v[40:41]
	v_fmac_f64_e32 v[6:7], v[52:53], v[40:41]
	s_wait_loadcnt 0x3
	s_delay_alu instid0(VALU_DEP_4) | instskip(NEXT) | instid1(VALU_DEP_4)
	v_fmac_f64_e32 v[16:17], v[54:55], v[42:43]
	v_fmac_f64_e32 v[22:23], v[56:57], v[42:43]
	s_wait_loadcnt 0x2
	s_delay_alu instid0(VALU_DEP_4) | instskip(NEXT) | instid1(VALU_DEP_4)
	v_fmac_f64_e32 v[14:15], v[58:59], v[42:43]
	v_fmac_f64_e32 v[6:7], v[60:61], v[42:43]
	s_wait_loadcnt 0x1
	s_delay_alu instid0(VALU_DEP_4) | instskip(NEXT) | instid1(VALU_DEP_4)
	v_fmac_f64_e32 v[16:17], v[62:63], v[44:45]
	v_fmac_f64_e32 v[22:23], v[64:65], v[44:45]
	s_wait_loadcnt 0x0
	s_delay_alu instid0(VALU_DEP_4) | instskip(NEXT) | instid1(VALU_DEP_4)
	v_fmac_f64_e32 v[14:15], v[66:67], v[44:45]
	v_fmac_f64_e32 v[6:7], v[68:69], v[44:45]
	s_and_not1_b32 exec_lo, exec_lo, s6
	s_cbranch_execnz .LBB47_31
; %bb.32:
	s_or_b32 exec_lo, exec_lo, s6
.LBB47_33:
	s_delay_alu instid0(SALU_CYCLE_1) | instskip(NEXT) | instid1(SALU_CYCLE_1)
	s_or_b32 exec_lo, exec_lo, s2
	s_mov_b32 s2, exec_lo
	v_cmpx_lt_u64_e32 47, v[24:25]
	s_cbranch_execz .LBB47_37
; %bb.34:
	v_lshl_add_u64 v[24:25], v[12:13], 3, s[8:9]
	s_mov_b32 s6, 0
	s_delay_alu instid0(VALU_DEP_1)
	v_add_nc_u64_e32 v[24:25], 0x100, v[24:25]
.LBB47_35:                              ; =>This Inner Loop Header: Depth=1
	s_clause 0x1
	global_load_b64 v[82:83], v[24:25], off offset:-256
	global_load_b64 v[84:85], v[24:25], off offset:-128
	s_clause 0x9
	global_load_b128 v[26:29], v[20:21], off offset:48
	global_load_b128 v[30:33], v[20:21], off offset:32
	;; [unrolled: 1-line block ×3, first 2 shown]
	global_load_b128 v[38:41], v[20:21], off
	global_load_b128 v[42:45], v[20:21], off offset:112
	global_load_b128 v[46:49], v[20:21], off offset:96
	;; [unrolled: 1-line block ×6, first 2 shown]
	s_clause 0x1
	global_load_b64 v[106:107], v[24:25], off
	global_load_b64 v[114:115], v[24:25], off offset:128
	s_clause 0x3
	global_load_b128 v[66:69], v[20:21], off offset:2064
	global_load_b128 v[70:73], v[20:21], off offset:2048
	;; [unrolled: 1-line block ×4, first 2 shown]
	v_add_nc_u64_e32 v[12:13], 64, v[12:13]
	s_wait_xcnt 0x4
	v_add_nc_u64_e32 v[24:25], 0x200, v[24:25]
	s_delay_alu instid0(VALU_DEP_2)
	v_cmp_ge_i64_e32 vcc_lo, v[12:13], v[18:19]
	s_or_b32 s6, vcc_lo, s6
	s_wait_loadcnt 0x11
	v_sub_nc_u64_e32 v[82:83], v[82:83], v[4:5]
	s_wait_loadcnt 0x10
	v_sub_nc_u64_e32 v[84:85], v[84:85], v[4:5]
	s_delay_alu instid0(VALU_DEP_2) | instskip(NEXT) | instid1(VALU_DEP_2)
	v_lshlrev_b64_e32 v[82:83], 5, v[82:83]
	v_lshlrev_b64_e32 v[84:85], 5, v[84:85]
	s_wait_loadcnt 0x5
	v_sub_nc_u64_e32 v[106:107], v[106:107], v[4:5]
	s_wait_kmcnt 0x0
	s_delay_alu instid0(VALU_DEP_3) | instskip(NEXT) | instid1(VALU_DEP_3)
	v_add_nc_u64_e32 v[108:109], s[4:5], v[82:83]
	v_add_nc_u64_e32 v[110:111], s[4:5], v[84:85]
	s_clause 0x3
	global_load_b128 v[82:85], v[108:109], off
	global_load_b128 v[86:89], v[108:109], off offset:16
	global_load_b128 v[90:93], v[110:111], off
	global_load_b128 v[94:97], v[110:111], off offset:16
	s_clause 0x1
	global_load_b128 v[98:101], v[20:21], off offset:2144
	global_load_b128 v[102:105], v[20:21], off offset:2160
	s_wait_xcnt 0x2
	v_lshlrev_b64_e32 v[110:111], 5, v[106:107]
	global_load_b128 v[106:109], v[20:21], off offset:4112
	v_add_nc_u64_e32 v[116:117], s[4:5], v[110:111]
	s_wait_loadcnt 0x6
	v_fmac_f64_e32 v[16:17], v[38:39], v[82:83]
	v_fmac_f64_e32 v[22:23], v[40:41], v[82:83]
	global_load_b128 v[38:41], v[20:21], off offset:4096
	v_fmac_f64_e32 v[14:15], v[34:35], v[82:83]
	v_fmac_f64_e32 v[6:7], v[36:37], v[82:83]
	global_load_b128 v[34:37], v[116:117], off
	v_fmac_f64_e32 v[16:17], v[30:31], v[84:85]
	v_fmac_f64_e32 v[22:23], v[32:33], v[84:85]
	global_load_b128 v[30:33], v[20:21], off offset:4128
	v_fmac_f64_e32 v[14:15], v[26:27], v[84:85]
	v_fmac_f64_e32 v[6:7], v[28:29], v[84:85]
	s_clause 0x1
	global_load_b128 v[26:29], v[20:21], off offset:4144
	global_load_b128 v[82:85], v[20:21], off offset:4160
	s_wait_loadcnt 0xa
	v_fmac_f64_e32 v[16:17], v[54:55], v[86:87]
	v_fmac_f64_e32 v[22:23], v[56:57], v[86:87]
	global_load_b128 v[54:57], v[20:21], off offset:4176
	global_load_b128 v[110:113], v[116:117], off offset:16
	v_fmac_f64_e32 v[14:15], v[50:51], v[86:87]
	v_fmac_f64_e32 v[6:7], v[52:53], v[86:87]
	global_load_b128 v[50:53], v[20:21], off offset:4192
	v_sub_nc_u64_e32 v[86:87], v[114:115], v[4:5]
	s_delay_alu instid0(VALU_DEP_1) | instskip(NEXT) | instid1(VALU_DEP_1)
	v_lshlrev_b64_e32 v[86:87], 5, v[86:87]
	v_add_nc_u64_e32 v[114:115], s[4:5], v[86:87]
	v_fmac_f64_e32 v[16:17], v[46:47], v[88:89]
	v_fmac_f64_e32 v[22:23], v[48:49], v[88:89]
	global_load_b128 v[46:49], v[20:21], off offset:4208
	v_fmac_f64_e32 v[14:15], v[42:43], v[88:89]
	v_fmac_f64_e32 v[6:7], v[44:45], v[88:89]
	s_clause 0x1
	global_load_b128 v[42:45], v[20:21], off offset:6160
	global_load_b128 v[86:89], v[20:21], off offset:6144
	s_wait_loadcnt 0xf
	v_fmac_f64_e32 v[16:17], v[70:71], v[90:91]
	v_fmac_f64_e32 v[22:23], v[72:73], v[90:91]
	global_load_b128 v[70:73], v[114:115], off
	v_fmac_f64_e32 v[14:15], v[66:67], v[90:91]
	v_fmac_f64_e32 v[6:7], v[68:69], v[90:91]
	global_load_b128 v[66:69], v[20:21], off offset:6176
	v_fmac_f64_e32 v[16:17], v[62:63], v[92:93]
	v_fmac_f64_e32 v[22:23], v[64:65], v[92:93]
	global_load_b128 v[62:65], v[20:21], off offset:6192
	v_fmac_f64_e32 v[14:15], v[58:59], v[92:93]
	v_fmac_f64_e32 v[6:7], v[60:61], v[92:93]
	s_clause 0x1
	global_load_b128 v[58:61], v[20:21], off offset:6208
	global_load_b128 v[90:93], v[20:21], off offset:6224
	s_wait_loadcnt 0x13
	v_fmac_f64_e32 v[16:17], v[78:79], v[94:95]
	v_fmac_f64_e32 v[22:23], v[80:81], v[94:95]
	global_load_b128 v[78:81], v[114:115], off offset:16
	v_fmac_f64_e32 v[14:15], v[74:75], v[94:95]
	v_fmac_f64_e32 v[6:7], v[76:77], v[94:95]
	global_load_b128 v[74:77], v[20:21], off offset:6240
	s_wait_loadcnt 0x14
	v_fmac_f64_e32 v[16:17], v[98:99], v[96:97]
	v_fmac_f64_e32 v[22:23], v[100:101], v[96:97]
	global_load_b128 v[98:101], v[20:21], off offset:6256
	s_wait_loadcnt 0x14
	v_fmac_f64_e32 v[14:15], v[102:103], v[96:97]
	v_fmac_f64_e32 v[6:7], v[104:105], v[96:97]
	s_wait_xcnt 0x0
	v_add_nc_u64_e32 v[20:21], 0x2000, v[20:21]
	s_wait_loadcnt 0x11
	v_fmac_f64_e32 v[16:17], v[38:39], v[34:35]
	v_fmac_f64_e32 v[22:23], v[40:41], v[34:35]
	;; [unrolled: 1-line block ×4, first 2 shown]
	s_wait_loadcnt 0x10
	s_delay_alu instid0(VALU_DEP_4) | instskip(NEXT) | instid1(VALU_DEP_4)
	v_fmac_f64_e32 v[16:17], v[30:31], v[36:37]
	v_fmac_f64_e32 v[22:23], v[32:33], v[36:37]
	s_wait_loadcnt 0xf
	s_delay_alu instid0(VALU_DEP_4) | instskip(NEXT) | instid1(VALU_DEP_4)
	v_fmac_f64_e32 v[14:15], v[26:27], v[36:37]
	v_fmac_f64_e32 v[6:7], v[28:29], v[36:37]
	s_wait_loadcnt 0xc
	s_delay_alu instid0(VALU_DEP_4) | instskip(NEXT) | instid1(VALU_DEP_4)
	v_fmac_f64_e32 v[16:17], v[82:83], v[110:111]
	v_fmac_f64_e32 v[22:23], v[84:85], v[110:111]
	s_delay_alu instid0(VALU_DEP_4) | instskip(NEXT) | instid1(VALU_DEP_4)
	v_fmac_f64_e32 v[14:15], v[54:55], v[110:111]
	v_fmac_f64_e32 v[6:7], v[56:57], v[110:111]
	s_wait_loadcnt 0xb
	s_delay_alu instid0(VALU_DEP_4) | instskip(NEXT) | instid1(VALU_DEP_4)
	v_fmac_f64_e32 v[16:17], v[50:51], v[112:113]
	v_fmac_f64_e32 v[22:23], v[52:53], v[112:113]
	s_wait_loadcnt 0xa
	s_delay_alu instid0(VALU_DEP_4) | instskip(NEXT) | instid1(VALU_DEP_4)
	v_fmac_f64_e32 v[14:15], v[46:47], v[112:113]
	v_fmac_f64_e32 v[6:7], v[48:49], v[112:113]
	s_wait_loadcnt 0x7
	s_delay_alu instid0(VALU_DEP_4) | instskip(NEXT) | instid1(VALU_DEP_4)
	v_fmac_f64_e32 v[16:17], v[86:87], v[70:71]
	v_fmac_f64_e32 v[22:23], v[88:89], v[70:71]
	s_delay_alu instid0(VALU_DEP_4) | instskip(NEXT) | instid1(VALU_DEP_4)
	v_fmac_f64_e32 v[14:15], v[42:43], v[70:71]
	v_fmac_f64_e32 v[6:7], v[44:45], v[70:71]
	;; [unrolled: 15-line block ×3, first 2 shown]
	s_wait_loadcnt 0x1
	s_delay_alu instid0(VALU_DEP_4) | instskip(NEXT) | instid1(VALU_DEP_4)
	v_fmac_f64_e32 v[16:17], v[74:75], v[80:81]
	v_fmac_f64_e32 v[22:23], v[76:77], v[80:81]
	s_wait_loadcnt 0x0
	s_delay_alu instid0(VALU_DEP_4) | instskip(NEXT) | instid1(VALU_DEP_4)
	v_fmac_f64_e32 v[14:15], v[98:99], v[80:81]
	v_fmac_f64_e32 v[6:7], v[100:101], v[80:81]
	s_and_not1_b32 exec_lo, exec_lo, s6
	s_cbranch_execnz .LBB47_35
; %bb.36:
	s_or_b32 exec_lo, exec_lo, s6
.LBB47_37:
	s_delay_alu instid0(SALU_CYCLE_1)
	s_or_b32 exec_lo, exec_lo, s2
.LBB47_38:
	s_delay_alu instid0(SALU_CYCLE_1)
	s_or_b32 exec_lo, exec_lo, s3
.LBB47_39:
	v_mbcnt_lo_u32_b32 v1, -1, 0
	s_delay_alu instid0(VALU_DEP_1) | instskip(NEXT) | instid1(VALU_DEP_1)
	v_xor_b32_e32 v4, 8, v1
	v_cmp_gt_i32_e32 vcc_lo, 32, v4
	v_cndmask_b32_e32 v4, v1, v4, vcc_lo
	s_delay_alu instid0(VALU_DEP_1)
	v_lshlrev_b32_e32 v21, 2, v4
	ds_bpermute_b32 v12, v21, v22
	ds_bpermute_b32 v13, v21, v23
	;; [unrolled: 1-line block ×6, first 2 shown]
	s_wait_dscnt 0x4
	v_add_f64_e32 v[12:13], v[22:23], v[12:13]
	s_wait_dscnt 0x2
	v_add_f64_e32 v[4:5], v[16:17], v[4:5]
	s_wait_dscnt 0x0
	v_dual_add_f64 v[14:15], v[14:15], v[18:19] :: v_dual_bitop2_b32 v16, 4, v1 bitop3:0x14
	s_delay_alu instid0(VALU_DEP_1) | instskip(SKIP_1) | instid1(VALU_DEP_1)
	v_cmp_gt_i32_e32 vcc_lo, 32, v16
	v_cndmask_b32_e32 v16, v1, v16, vcc_lo
	v_lshlrev_b32_e32 v23, 2, v16
	ds_bpermute_b32 v18, v23, v12
	ds_bpermute_b32 v19, v23, v13
	;; [unrolled: 1-line block ×4, first 2 shown]
	s_wait_dscnt 0x2
	v_add_f64_e32 v[12:13], v[12:13], v[18:19]
	ds_bpermute_b32 v20, v21, v6
	ds_bpermute_b32 v21, v21, v7
	s_wait_dscnt 0x2
	v_add_f64_e32 v[4:5], v[4:5], v[16:17]
	s_wait_dscnt 0x0
	v_add_f64_e32 v[6:7], v[6:7], v[20:21]
	ds_bpermute_b32 v20, v23, v14
	ds_bpermute_b32 v21, v23, v15
	s_wait_dscnt 0x0
	v_add_f64_e32 v[16:17], v[14:15], v[20:21]
	v_xor_b32_e32 v14, 2, v1
	s_delay_alu instid0(VALU_DEP_1)
	v_cmp_gt_i32_e32 vcc_lo, 32, v14
	ds_bpermute_b32 v22, v23, v6
	ds_bpermute_b32 v23, v23, v7
	v_cndmask_b32_e32 v14, v1, v14, vcc_lo
	s_wait_dscnt 0x0
	v_add_f64_e32 v[6:7], v[6:7], v[22:23]
	s_delay_alu instid0(VALU_DEP_2)
	v_lshlrev_b32_e32 v23, 2, v14
	ds_bpermute_b32 v14, v23, v4
	ds_bpermute_b32 v15, v23, v5
	;; [unrolled: 1-line block ×6, first 2 shown]
	s_wait_dscnt 0x4
	v_add_f64_e32 v[14:15], v[4:5], v[14:15]
	s_wait_dscnt 0x2
	v_add_f64_e32 v[4:5], v[16:17], v[20:21]
	v_xor_b32_e32 v16, 1, v1
	ds_bpermute_b32 v22, v23, v6
	ds_bpermute_b32 v23, v23, v7
	v_cmp_gt_i32_e32 vcc_lo, 32, v16
	v_cndmask_b32_e32 v1, v1, v16, vcc_lo
	s_wait_dscnt 0x2
	v_add_f64_e32 v[12:13], v[12:13], v[18:19]
	v_cmp_eq_u32_e32 vcc_lo, 15, v0
	s_wait_dscnt 0x0
	v_dual_add_f64 v[6:7], v[6:7], v[22:23] :: v_dual_lshlrev_b32 v1, 2, v1
	ds_bpermute_b32 v22, v1, v14
	ds_bpermute_b32 v23, v1, v15
	;; [unrolled: 1-line block ×8, first 2 shown]
	s_and_b32 exec_lo, exec_lo, vcc_lo
	s_cbranch_execz .LBB47_10
; %bb.40:
	s_wait_dscnt 0x6
	v_add_f64_e32 v[0:1], v[14:15], v[22:23]
	s_wait_dscnt 0x2
	v_add_f64_e32 v[12:13], v[12:13], v[20:21]
	v_add_f64_e32 v[14:15], v[4:5], v[18:19]
	s_wait_dscnt 0x0
	v_add_f64_e32 v[16:17], v[6:7], v[16:17]
	s_load_b64 s[0:1], s[0:1], 0x58
	v_lshlrev_b64_e32 v[10:11], 5, v[10:11]
	s_mov_b32 s2, exec_lo
	v_mul_f64_e32 v[4:5], v[2:3], v[0:1]
	v_mul_f64_e32 v[6:7], v[2:3], v[12:13]
	;; [unrolled: 1-line block ×4, first 2 shown]
	v_cmpx_eq_f64_e32 0, v[8:9]
	s_xor_b32 s2, exec_lo, s2
	s_cbranch_execz .LBB47_42
; %bb.41:
	s_wait_kmcnt 0x0
	v_add_nc_u64_e32 v[8:9], s[0:1], v[10:11]
                                        ; implicit-def: $vgpr10_vgpr11
	s_clause 0x1
	global_store_b128 v[8:9], v[4:7], off
	global_store_b128 v[8:9], v[0:3], off offset:16
                                        ; implicit-def: $vgpr8_vgpr9
                                        ; implicit-def: $vgpr4_vgpr5
                                        ; implicit-def: $vgpr0_vgpr1
.LBB47_42:
	s_wait_xcnt 0x0
	s_and_not1_saveexec_b32 s2, s2
	s_cbranch_execz .LBB47_10
; %bb.43:
	s_wait_kmcnt 0x0
	v_add_nc_u64_e32 v[18:19], s[0:1], v[10:11]
	s_clause 0x1
	global_load_b128 v[10:13], v[18:19], off
	global_load_b128 v[14:17], v[18:19], off offset:16
	s_wait_loadcnt 0x1
	v_fmac_f64_e32 v[4:5], v[8:9], v[10:11]
	v_fmac_f64_e32 v[6:7], v[8:9], v[12:13]
	s_wait_loadcnt 0x0
	v_fmac_f64_e32 v[0:1], v[8:9], v[14:15]
	v_fmac_f64_e32 v[2:3], v[8:9], v[16:17]
	s_clause 0x1
	global_store_b128 v[18:19], v[4:7], off
	global_store_b128 v[18:19], v[0:3], off offset:16
	s_sendmsg sendmsg(MSG_DEALLOC_VGPRS)
	s_endpgm
	.section	.rodata,"a",@progbits
	.p2align	6, 0x0
	.amdhsa_kernel _ZN9rocsparseL18bsrxmvn_4x4_kernelILj128ELj16EdlldddEEvT3_20rocsparse_direction_NS_24const_host_device_scalarIT1_EES1_PKS1_PKT2_SA_S7_PKT4_PKT5_S5_PT6_21rocsparse_index_base_b
		.amdhsa_group_segment_fixed_size 0
		.amdhsa_private_segment_fixed_size 0
		.amdhsa_kernarg_size 104
		.amdhsa_user_sgpr_count 2
		.amdhsa_user_sgpr_dispatch_ptr 0
		.amdhsa_user_sgpr_queue_ptr 0
		.amdhsa_user_sgpr_kernarg_segment_ptr 1
		.amdhsa_user_sgpr_dispatch_id 0
		.amdhsa_user_sgpr_kernarg_preload_length 0
		.amdhsa_user_sgpr_kernarg_preload_offset 0
		.amdhsa_user_sgpr_private_segment_size 0
		.amdhsa_wavefront_size32 1
		.amdhsa_uses_dynamic_stack 0
		.amdhsa_enable_private_segment 0
		.amdhsa_system_sgpr_workgroup_id_x 1
		.amdhsa_system_sgpr_workgroup_id_y 0
		.amdhsa_system_sgpr_workgroup_id_z 0
		.amdhsa_system_sgpr_workgroup_info 0
		.amdhsa_system_vgpr_workitem_id 0
		.amdhsa_next_free_vgpr 140
		.amdhsa_next_free_sgpr 12
		.amdhsa_named_barrier_count 0
		.amdhsa_reserve_vcc 1
		.amdhsa_float_round_mode_32 0
		.amdhsa_float_round_mode_16_64 0
		.amdhsa_float_denorm_mode_32 3
		.amdhsa_float_denorm_mode_16_64 3
		.amdhsa_fp16_overflow 0
		.amdhsa_memory_ordered 1
		.amdhsa_forward_progress 1
		.amdhsa_inst_pref_size 36
		.amdhsa_round_robin_scheduling 0
		.amdhsa_exception_fp_ieee_invalid_op 0
		.amdhsa_exception_fp_denorm_src 0
		.amdhsa_exception_fp_ieee_div_zero 0
		.amdhsa_exception_fp_ieee_overflow 0
		.amdhsa_exception_fp_ieee_underflow 0
		.amdhsa_exception_fp_ieee_inexact 0
		.amdhsa_exception_int_div_zero 0
	.end_amdhsa_kernel
	.section	.text._ZN9rocsparseL18bsrxmvn_4x4_kernelILj128ELj16EdlldddEEvT3_20rocsparse_direction_NS_24const_host_device_scalarIT1_EES1_PKS1_PKT2_SA_S7_PKT4_PKT5_S5_PT6_21rocsparse_index_base_b,"axG",@progbits,_ZN9rocsparseL18bsrxmvn_4x4_kernelILj128ELj16EdlldddEEvT3_20rocsparse_direction_NS_24const_host_device_scalarIT1_EES1_PKS1_PKT2_SA_S7_PKT4_PKT5_S5_PT6_21rocsparse_index_base_b,comdat
.Lfunc_end47:
	.size	_ZN9rocsparseL18bsrxmvn_4x4_kernelILj128ELj16EdlldddEEvT3_20rocsparse_direction_NS_24const_host_device_scalarIT1_EES1_PKS1_PKT2_SA_S7_PKT4_PKT5_S5_PT6_21rocsparse_index_base_b, .Lfunc_end47-_ZN9rocsparseL18bsrxmvn_4x4_kernelILj128ELj16EdlldddEEvT3_20rocsparse_direction_NS_24const_host_device_scalarIT1_EES1_PKS1_PKT2_SA_S7_PKT4_PKT5_S5_PT6_21rocsparse_index_base_b
                                        ; -- End function
	.set _ZN9rocsparseL18bsrxmvn_4x4_kernelILj128ELj16EdlldddEEvT3_20rocsparse_direction_NS_24const_host_device_scalarIT1_EES1_PKS1_PKT2_SA_S7_PKT4_PKT5_S5_PT6_21rocsparse_index_base_b.num_vgpr, 140
	.set _ZN9rocsparseL18bsrxmvn_4x4_kernelILj128ELj16EdlldddEEvT3_20rocsparse_direction_NS_24const_host_device_scalarIT1_EES1_PKS1_PKT2_SA_S7_PKT4_PKT5_S5_PT6_21rocsparse_index_base_b.num_agpr, 0
	.set _ZN9rocsparseL18bsrxmvn_4x4_kernelILj128ELj16EdlldddEEvT3_20rocsparse_direction_NS_24const_host_device_scalarIT1_EES1_PKS1_PKT2_SA_S7_PKT4_PKT5_S5_PT6_21rocsparse_index_base_b.numbered_sgpr, 12
	.set _ZN9rocsparseL18bsrxmvn_4x4_kernelILj128ELj16EdlldddEEvT3_20rocsparse_direction_NS_24const_host_device_scalarIT1_EES1_PKS1_PKT2_SA_S7_PKT4_PKT5_S5_PT6_21rocsparse_index_base_b.num_named_barrier, 0
	.set _ZN9rocsparseL18bsrxmvn_4x4_kernelILj128ELj16EdlldddEEvT3_20rocsparse_direction_NS_24const_host_device_scalarIT1_EES1_PKS1_PKT2_SA_S7_PKT4_PKT5_S5_PT6_21rocsparse_index_base_b.private_seg_size, 0
	.set _ZN9rocsparseL18bsrxmvn_4x4_kernelILj128ELj16EdlldddEEvT3_20rocsparse_direction_NS_24const_host_device_scalarIT1_EES1_PKS1_PKT2_SA_S7_PKT4_PKT5_S5_PT6_21rocsparse_index_base_b.uses_vcc, 1
	.set _ZN9rocsparseL18bsrxmvn_4x4_kernelILj128ELj16EdlldddEEvT3_20rocsparse_direction_NS_24const_host_device_scalarIT1_EES1_PKS1_PKT2_SA_S7_PKT4_PKT5_S5_PT6_21rocsparse_index_base_b.uses_flat_scratch, 0
	.set _ZN9rocsparseL18bsrxmvn_4x4_kernelILj128ELj16EdlldddEEvT3_20rocsparse_direction_NS_24const_host_device_scalarIT1_EES1_PKS1_PKT2_SA_S7_PKT4_PKT5_S5_PT6_21rocsparse_index_base_b.has_dyn_sized_stack, 0
	.set _ZN9rocsparseL18bsrxmvn_4x4_kernelILj128ELj16EdlldddEEvT3_20rocsparse_direction_NS_24const_host_device_scalarIT1_EES1_PKS1_PKT2_SA_S7_PKT4_PKT5_S5_PT6_21rocsparse_index_base_b.has_recursion, 0
	.set _ZN9rocsparseL18bsrxmvn_4x4_kernelILj128ELj16EdlldddEEvT3_20rocsparse_direction_NS_24const_host_device_scalarIT1_EES1_PKS1_PKT2_SA_S7_PKT4_PKT5_S5_PT6_21rocsparse_index_base_b.has_indirect_call, 0
	.section	.AMDGPU.csdata,"",@progbits
; Kernel info:
; codeLenInByte = 4500
; TotalNumSgprs: 14
; NumVgprs: 140
; ScratchSize: 0
; MemoryBound: 1
; FloatMode: 240
; IeeeMode: 1
; LDSByteSize: 0 bytes/workgroup (compile time only)
; SGPRBlocks: 0
; VGPRBlocks: 8
; NumSGPRsForWavesPerEU: 14
; NumVGPRsForWavesPerEU: 140
; NamedBarCnt: 0
; Occupancy: 7
; WaveLimiterHint : 1
; COMPUTE_PGM_RSRC2:SCRATCH_EN: 0
; COMPUTE_PGM_RSRC2:USER_SGPR: 2
; COMPUTE_PGM_RSRC2:TRAP_HANDLER: 0
; COMPUTE_PGM_RSRC2:TGID_X_EN: 1
; COMPUTE_PGM_RSRC2:TGID_Y_EN: 0
; COMPUTE_PGM_RSRC2:TGID_Z_EN: 0
; COMPUTE_PGM_RSRC2:TIDIG_COMP_CNT: 0
	.section	.text._ZN9rocsparseL18bsrxmvn_4x4_kernelILj128ELj32EdlldddEEvT3_20rocsparse_direction_NS_24const_host_device_scalarIT1_EES1_PKS1_PKT2_SA_S7_PKT4_PKT5_S5_PT6_21rocsparse_index_base_b,"axG",@progbits,_ZN9rocsparseL18bsrxmvn_4x4_kernelILj128ELj32EdlldddEEvT3_20rocsparse_direction_NS_24const_host_device_scalarIT1_EES1_PKS1_PKT2_SA_S7_PKT4_PKT5_S5_PT6_21rocsparse_index_base_b,comdat
	.globl	_ZN9rocsparseL18bsrxmvn_4x4_kernelILj128ELj32EdlldddEEvT3_20rocsparse_direction_NS_24const_host_device_scalarIT1_EES1_PKS1_PKT2_SA_S7_PKT4_PKT5_S5_PT6_21rocsparse_index_base_b ; -- Begin function _ZN9rocsparseL18bsrxmvn_4x4_kernelILj128ELj32EdlldddEEvT3_20rocsparse_direction_NS_24const_host_device_scalarIT1_EES1_PKS1_PKT2_SA_S7_PKT4_PKT5_S5_PT6_21rocsparse_index_base_b
	.p2align	8
	.type	_ZN9rocsparseL18bsrxmvn_4x4_kernelILj128ELj32EdlldddEEvT3_20rocsparse_direction_NS_24const_host_device_scalarIT1_EES1_PKS1_PKT2_SA_S7_PKT4_PKT5_S5_PT6_21rocsparse_index_base_b,@function
_ZN9rocsparseL18bsrxmvn_4x4_kernelILj128ELj32EdlldddEEvT3_20rocsparse_direction_NS_24const_host_device_scalarIT1_EES1_PKS1_PKT2_SA_S7_PKT4_PKT5_S5_PT6_21rocsparse_index_base_b: ; @_ZN9rocsparseL18bsrxmvn_4x4_kernelILj128ELj32EdlldddEEvT3_20rocsparse_direction_NS_24const_host_device_scalarIT1_EES1_PKS1_PKT2_SA_S7_PKT4_PKT5_S5_PT6_21rocsparse_index_base_b
; %bb.0:
	s_clause 0x2
	s_load_b64 s[8:9], s[0:1], 0x60
	s_load_b128 s[4:7], s[0:1], 0x10
	s_load_b64 s[2:3], s[0:1], 0x50
	s_wait_kmcnt 0x0
	s_bitcmp1_b32 s9, 0
	v_mov_b64_e32 v[2:3], s[4:5]
	s_cselect_b32 s9, -1, 0
	s_delay_alu instid0(SALU_CYCLE_1)
	s_and_b32 vcc_lo, exec_lo, s9
	s_xor_b32 s9, s9, -1
	s_cbranch_vccnz .LBB48_2
; %bb.1:
	v_mov_b32_e32 v1, 0
	flat_load_b64 v[2:3], v1, s[4:5]
.LBB48_2:
	v_mov_b64_e32 v[8:9], s[2:3]
	s_and_not1_b32 vcc_lo, exec_lo, s9
	s_cbranch_vccnz .LBB48_4
; %bb.3:
	s_wait_xcnt 0x0
	v_mov_b32_e32 v1, 0
	flat_load_b64 v[8:9], v1, s[2:3]
.LBB48_4:
	s_wait_loadcnt_dscnt 0x0
	v_cmp_neq_f64_e32 vcc_lo, 0, v[2:3]
	s_delay_alu instid0(VALU_DEP_2) | instskip(SKIP_1) | instid1(SALU_CYCLE_1)
	v_cmp_neq_f64_e64 s2, 1.0, v[8:9]
	s_or_b32 s2, vcc_lo, s2
	s_and_saveexec_b32 s3, s2
	s_cbranch_execz .LBB48_10
; %bb.5:
	s_load_b64 s[2:3], s[0:1], 0x20
	s_bfe_u32 s4, ttmp6, 0x4000c
	s_and_b32 s5, ttmp6, 15
	s_add_co_i32 s4, s4, 1
	s_getreg_b32 s9, hwreg(HW_REG_IB_STS2, 6, 4)
	s_mul_i32 s4, ttmp9, s4
	v_dual_lshrrev_b32 v1, 5, v0 :: v_dual_mov_b32 v7, 0
	s_add_co_i32 s5, s5, s4
	s_cmp_eq_u32 s9, 0
	s_cselect_b32 s4, ttmp9, s5
	s_delay_alu instid0(VALU_DEP_1) | instid1(SALU_CYCLE_1)
	v_lshl_or_b32 v6, s4, 2, v1
	s_mov_b32 s4, 0
	s_wait_kmcnt 0x0
	s_cmp_lg_u64 s[2:3], 0
	s_cbranch_scc0 .LBB48_11
; %bb.6:
	v_cmp_gt_i64_e32 vcc_lo, s[6:7], v[6:7]
	s_mov_b32 s5, 0
                                        ; implicit-def: $vgpr10_vgpr11
                                        ; implicit-def: $vgpr4_vgpr5
	s_and_saveexec_b32 s6, vcc_lo
	s_delay_alu instid0(SALU_CYCLE_1)
	s_xor_b32 s6, exec_lo, s6
	s_cbranch_execz .LBB48_8
; %bb.7:
	v_lshl_add_u64 v[4:5], v[6:7], 3, s[2:3]
	s_mov_b32 s9, 0
	s_mov_b32 s4, exec_lo
	global_load_b64 v[4:5], v[4:5], off
	s_wait_loadcnt 0x0
	v_sub_nc_u64_e64 v[10:11], v[4:5], s[8:9]
	v_mov_b64_e32 v[4:5], s[8:9]
.LBB48_8:
	s_or_b32 exec_lo, exec_lo, s6
	s_delay_alu instid0(SALU_CYCLE_1)
	s_and_b32 vcc_lo, exec_lo, s5
	s_cbranch_vccnz .LBB48_12
.LBB48_9:
	s_and_b32 exec_lo, exec_lo, s4
	s_cbranch_execnz .LBB48_15
.LBB48_10:
	s_sendmsg sendmsg(MSG_DEALLOC_VGPRS)
	s_endpgm
.LBB48_11:
                                        ; implicit-def: $vgpr10_vgpr11
                                        ; implicit-def: $vgpr4_vgpr5
	s_cbranch_execz .LBB48_9
.LBB48_12:
	s_load_b64 s[2:3], s[0:1], 0x0
	s_wait_kmcnt 0x0
	v_cmp_gt_i64_e32 vcc_lo, s[2:3], v[6:7]
	s_and_saveexec_b32 s2, vcc_lo
; %bb.13:
	s_mov_b32 s9, 0
	s_or_b32 s4, s4, exec_lo
; %bb.14:
	s_or_b32 exec_lo, exec_lo, s2
	v_mov_b64_e32 v[4:5], s[8:9]
	v_mov_b64_e32 v[10:11], v[6:7]
	s_and_b32 exec_lo, exec_lo, s4
	s_cbranch_execz .LBB48_10
.LBB48_15:
	s_load_b256 s[4:11], s[0:1], 0x28
	s_delay_alu instid0(VALU_DEP_1) | instskip(SKIP_3) | instid1(VALU_DEP_2)
	v_lshlrev_b64_e32 v[6:7], 3, v[10:11]
	v_dual_mov_b32 v1, 0 :: v_dual_bitop2_b32 v0, 31, v0 bitop3:0x40
	s_load_b32 s3, s[0:1], 0x8
	s_wait_kmcnt 0x0
	v_add_nc_u64_e32 v[12:13], s[4:5], v[6:7]
	v_add_nc_u64_e32 v[6:7], s[6:7], v[6:7]
	s_cmp_eq_u64 s[6:7], 0
	s_load_b64 s[4:5], s[0:1], 0x48
	s_cselect_b32 vcc_lo, -1, 0
	s_cmp_eq_u32 s3, 1
	global_load_b64 v[24:25], v[12:13], off
	s_wait_xcnt 0x0
	v_add_nc_u64_e32 v[12:13], 8, v[12:13]
	s_delay_alu instid0(VALU_DEP_1) | instskip(SKIP_3) | instid1(VALU_DEP_1)
	v_dual_cndmask_b32 v7, v7, v13 :: v_dual_cndmask_b32 v6, v6, v12
	global_load_b64 v[6:7], v[6:7], off
	s_wait_loadcnt 0x1
	v_sub_nc_u64_e32 v[12:13], v[24:25], v[4:5]
	v_add_nc_u64_e32 v[18:19], v[12:13], v[0:1]
	s_wait_loadcnt 0x0
	v_sub_nc_u64_e32 v[20:21], v[6:7], v[4:5]
	s_delay_alu instid0(VALU_DEP_2) | instskip(NEXT) | instid1(VALU_DEP_2)
	v_lshlrev_b64_e32 v[12:13], 7, v[18:19]
	v_cmp_lt_i64_e64 s2, v[18:19], v[20:21]
	s_delay_alu instid0(VALU_DEP_2)
	v_add_nc_u64_e32 v[22:23], s[10:11], v[12:13]
	s_cbranch_scc1 .LBB48_27
; %bb.16:
	v_mov_b64_e32 v[6:7], 0
	v_mov_b64_e32 v[12:13], 0
	;; [unrolled: 1-line block ×4, first 2 shown]
	s_and_saveexec_b32 s3, s2
	s_cbranch_execz .LBB48_26
; %bb.17:
	v_dual_mov_b32 v7, v1 :: v_dual_bitop2_b32 v6, 32, v0 bitop3:0x54
	v_sub_nc_u64_e32 v[12:13], v[4:5], v[0:1]
	v_not_b32_e32 v15, v25
	v_not_b32_e32 v14, v24
	v_mov_b64_e32 v[16:17], 0
	v_sub_nc_u64_e32 v[6:7], v[6:7], v[4:5]
	v_mov_b64_e32 v[26:27], v[18:19]
	v_mov_b64_e32 v[28:29], v[22:23]
	v_add_nc_u64_e32 v[12:13], v[12:13], v[14:15]
	v_mov_b64_e32 v[14:15], 0
	v_mov_b32_e32 v35, 0
	s_mov_b32 s6, exec_lo
	v_add_nc_u64_e32 v[6:7], v[6:7], v[24:25]
	s_delay_alu instid0(VALU_DEP_1) | instskip(NEXT) | instid1(VALU_DEP_1)
	v_max_i64 v[6:7], v[6:7], v[20:21]
	v_add_nc_u64_e32 v[30:31], v[12:13], v[6:7]
	v_mov_b64_e32 v[12:13], 0
	v_mov_b64_e32 v[6:7], 0
	s_delay_alu instid0(VALU_DEP_3) | instskip(NEXT) | instid1(VALU_DEP_1)
	v_and_b32_e32 v34, 0x60, v30
	v_cmpx_ne_u64_e32 0x60, v[34:35]
	s_cbranch_execz .LBB48_21
; %bb.18:
	v_lshrrev_b32_e32 v6, 5, v30
	v_mov_b64_e32 v[12:13], 0
	v_mov_b64_e32 v[16:17], 0
	;; [unrolled: 1-line block ×4, first 2 shown]
	v_add_nc_u32_e32 v6, 1, v6
	v_mov_b64_e32 v[26:27], v[18:19]
	v_lshl_add_u64 v[32:33], v[18:19], 3, s[8:9]
	s_mov_b32 s7, 0
	s_delay_alu instid0(VALU_DEP_3) | instskip(SKIP_1) | instid1(VALU_DEP_2)
	v_and_b32_e32 v34, 3, v6
	v_mov_b64_e32 v[6:7], 0
	v_sub_nc_u64_e32 v[34:35], 0, v[34:35]
.LBB48_19:                              ; =>This Inner Loop Header: Depth=1
	global_load_b64 v[36:37], v[32:33], off
	v_add_nc_u64_e32 v[34:35], 1, v[34:35]
	v_add_nc_u64_e32 v[26:27], 32, v[26:27]
	s_wait_xcnt 0x0
	v_add_nc_u64_e32 v[32:33], 0x100, v[32:33]
	s_delay_alu instid0(VALU_DEP_3)
	v_cmp_eq_u64_e32 vcc_lo, 0, v[34:35]
	s_or_b32 s7, vcc_lo, s7
	s_wait_loadcnt 0x0
	v_sub_nc_u64_e32 v[44:45], v[36:37], v[4:5]
	s_clause 0x1
	global_load_b128 v[36:39], v[28:29], off offset:48
	global_load_b128 v[40:43], v[28:29], off offset:32
	v_lshlrev_b64_e32 v[56:57], 5, v[44:45]
	s_clause 0x2
	global_load_b128 v[44:47], v[28:29], off offset:16
	global_load_b128 v[48:51], v[28:29], off
	global_load_b128 v[52:55], v[28:29], off offset:112
	s_wait_kmcnt 0x0
	v_add_nc_u64_e32 v[76:77], s[4:5], v[56:57]
	s_clause 0x2
	global_load_b128 v[56:59], v[28:29], off offset:96
	global_load_b128 v[60:63], v[28:29], off offset:80
	global_load_b128 v[64:67], v[28:29], off offset:64
	s_clause 0x1
	global_load_b128 v[68:71], v[76:77], off
	global_load_b128 v[72:75], v[76:77], off offset:16
	s_wait_xcnt 0x2
	v_add_nc_u64_e32 v[28:29], 0x1000, v[28:29]
	s_wait_loadcnt 0x1
	v_fmac_f64_e32 v[14:15], v[48:49], v[68:69]
	v_fmac_f64_e32 v[16:17], v[40:41], v[68:69]
	;; [unrolled: 1-line block ×4, first 2 shown]
	s_delay_alu instid0(VALU_DEP_4) | instskip(NEXT) | instid1(VALU_DEP_4)
	v_fmac_f64_e32 v[14:15], v[50:51], v[70:71]
	v_fmac_f64_e32 v[16:17], v[42:43], v[70:71]
	s_delay_alu instid0(VALU_DEP_4) | instskip(NEXT) | instid1(VALU_DEP_4)
	v_fmac_f64_e32 v[12:13], v[66:67], v[70:71]
	v_fmac_f64_e32 v[6:7], v[58:59], v[70:71]
	s_wait_loadcnt 0x0
	s_delay_alu instid0(VALU_DEP_4) | instskip(NEXT) | instid1(VALU_DEP_4)
	v_fmac_f64_e32 v[14:15], v[44:45], v[72:73]
	v_fmac_f64_e32 v[16:17], v[36:37], v[72:73]
	s_delay_alu instid0(VALU_DEP_4) | instskip(NEXT) | instid1(VALU_DEP_4)
	v_fmac_f64_e32 v[12:13], v[60:61], v[72:73]
	v_fmac_f64_e32 v[6:7], v[52:53], v[72:73]
	;; [unrolled: 3-line block ×4, first 2 shown]
	s_and_not1_b32 exec_lo, exec_lo, s7
	s_cbranch_execnz .LBB48_19
; %bb.20:
	s_or_b32 exec_lo, exec_lo, s7
.LBB48_21:
	s_delay_alu instid0(SALU_CYCLE_1) | instskip(NEXT) | instid1(SALU_CYCLE_1)
	s_or_b32 exec_lo, exec_lo, s6
	s_mov_b32 s6, exec_lo
	v_cmpx_lt_u64_e32 0x5f, v[30:31]
	s_cbranch_execz .LBB48_25
; %bb.22:
	v_lshl_add_u64 v[30:31], v[26:27], 3, s[8:9]
	s_mov_b32 s7, 0
	s_delay_alu instid0(VALU_DEP_1)
	v_add_nc_u64_e32 v[30:31], 0x200, v[30:31]
.LBB48_23:                              ; =>This Inner Loop Header: Depth=1
	global_load_b64 v[124:125], v[30:31], off offset:-512
	s_clause 0xd
	global_load_b128 v[32:35], v[28:29], off offset:48
	global_load_b128 v[36:39], v[28:29], off offset:32
	global_load_b128 v[40:43], v[28:29], off offset:16
	global_load_b128 v[44:47], v[28:29], off
	global_load_b128 v[48:51], v[28:29], off offset:112
	global_load_b128 v[52:55], v[28:29], off offset:96
	global_load_b128 v[56:59], v[28:29], off offset:80
	global_load_b128 v[60:63], v[28:29], off offset:64
	global_load_b128 v[64:67], v[28:29], off offset:4144
	global_load_b128 v[68:71], v[28:29], off offset:4128
	global_load_b128 v[72:75], v[28:29], off offset:4112
	global_load_b128 v[76:79], v[28:29], off offset:4096
	global_load_b128 v[80:83], v[28:29], off offset:4208
	global_load_b128 v[84:87], v[28:29], off offset:4192
	s_clause 0x2
	global_load_b64 v[132:133], v[30:31], off offset:-256
	global_load_b64 v[134:135], v[30:31], off
	global_load_b64 v[136:137], v[30:31], off offset:256
	s_clause 0x8
	global_load_b128 v[88:91], v[28:29], off offset:4176
	global_load_b128 v[92:95], v[28:29], off offset:4160
	;; [unrolled: 1-line block ×9, first 2 shown]
	v_add_nc_u64_e32 v[26:27], 0x80, v[26:27]
	s_wait_xcnt 0x9
	v_add_nc_u64_e32 v[30:31], 0x400, v[30:31]
	s_delay_alu instid0(VALU_DEP_2) | instskip(SKIP_3) | instid1(VALU_DEP_1)
	v_cmp_ge_i64_e32 vcc_lo, v[26:27], v[20:21]
	s_or_b32 s7, vcc_lo, s7
	s_wait_loadcnt 0x1a
	v_sub_nc_u64_e32 v[124:125], v[124:125], v[4:5]
	v_lshlrev_b64_e32 v[124:125], 5, v[124:125]
	s_wait_kmcnt 0x0
	s_delay_alu instid0(VALU_DEP_1)
	v_add_nc_u64_e32 v[138:139], s[4:5], v[124:125]
	s_wait_loadcnt 0xb
	v_sub_nc_u64_e32 v[132:133], v[132:133], v[4:5]
	s_wait_loadcnt 0xa
	v_sub_nc_u64_e32 v[134:135], v[134:135], v[4:5]
	;; [unrolled: 2-line block ×3, first 2 shown]
	s_clause 0x1
	global_load_b128 v[124:127], v[138:139], off
	global_load_b128 v[128:131], v[138:139], off offset:16
	v_lshlrev_b64_e32 v[132:133], 5, v[132:133]
	v_lshlrev_b64_e32 v[134:135], 5, v[134:135]
	;; [unrolled: 1-line block ×3, first 2 shown]
	s_delay_alu instid0(VALU_DEP_3) | instskip(SKIP_1) | instid1(VALU_DEP_3)
	v_add_nc_u64_e32 v[132:133], s[4:5], v[132:133]
	s_wait_xcnt 0x0
	v_add_nc_u64_e32 v[138:139], s[4:5], v[134:135]
	s_delay_alu instid0(VALU_DEP_3)
	v_add_nc_u64_e32 v[136:137], s[4:5], v[136:137]
	s_wait_loadcnt 0x1
	v_fmac_f64_e32 v[12:13], v[60:61], v[124:125]
	v_fmac_f64_e32 v[14:15], v[44:45], v[124:125]
	v_fmac_f64_e32 v[16:17], v[36:37], v[124:125]
	v_fmac_f64_e32 v[6:7], v[52:53], v[124:125]
	s_delay_alu instid0(VALU_DEP_4)
	v_fmac_f64_e32 v[12:13], v[62:63], v[126:127]
	global_load_b128 v[60:63], v[132:133], off
	v_fmac_f64_e32 v[14:15], v[46:47], v[126:127]
	global_load_b128 v[44:47], v[28:29], off offset:8256
	v_fmac_f64_e32 v[16:17], v[38:39], v[126:127]
	global_load_b128 v[36:39], v[28:29], off offset:12336
	v_fmac_f64_e32 v[6:7], v[54:55], v[126:127]
	s_clause 0x1
	global_load_b128 v[52:55], v[28:29], off offset:12320
	global_load_b128 v[124:127], v[28:29], off offset:12304
	s_wait_loadcnt 0x5
	v_fmac_f64_e32 v[12:13], v[56:57], v[128:129]
	v_fmac_f64_e32 v[14:15], v[40:41], v[128:129]
	;; [unrolled: 1-line block ×4, first 2 shown]
	s_delay_alu instid0(VALU_DEP_4)
	v_fmac_f64_e32 v[12:13], v[58:59], v[130:131]
	global_load_b128 v[56:59], v[28:29], off offset:12288
	v_fmac_f64_e32 v[14:15], v[42:43], v[130:131]
	global_load_b128 v[40:43], v[132:133], off offset:16
	v_fmac_f64_e32 v[16:17], v[34:35], v[130:131]
	global_load_b128 v[32:35], v[138:139], off
	v_fmac_f64_e32 v[6:7], v[50:51], v[130:131]
	s_clause 0x1
	global_load_b128 v[48:51], v[28:29], off offset:12400
	global_load_b128 v[128:131], v[28:29], off offset:12384
	global_load_b128 v[132:135], v[138:139], off offset:16
	s_wait_loadcnt 0xa
	v_fmac_f64_e32 v[14:15], v[76:77], v[60:61]
	v_fmac_f64_e32 v[16:17], v[68:69], v[60:61]
	;; [unrolled: 1-line block ×4, first 2 shown]
	s_delay_alu instid0(VALU_DEP_4)
	v_fmac_f64_e32 v[14:15], v[78:79], v[62:63]
	global_load_b128 v[76:79], v[28:29], off offset:12352
	v_fmac_f64_e32 v[16:17], v[70:71], v[62:63]
	global_load_b128 v[68:71], v[136:137], off
	v_fmac_f64_e32 v[12:13], v[94:95], v[62:63]
	global_load_b128 v[92:95], v[28:29], off offset:12368
	v_fmac_f64_e32 v[6:7], v[86:87], v[62:63]
	global_load_b128 v[60:63], v[136:137], off offset:16
	s_wait_xcnt 0x1
	v_add_nc_u64_e32 v[28:29], 0x4000, v[28:29]
	s_wait_loadcnt 0x8
	v_fmac_f64_e32 v[14:15], v[72:73], v[40:41]
	v_fmac_f64_e32 v[16:17], v[64:65], v[40:41]
	v_fmac_f64_e32 v[12:13], v[88:89], v[40:41]
	v_fmac_f64_e32 v[6:7], v[80:81], v[40:41]
	s_delay_alu instid0(VALU_DEP_4) | instskip(NEXT) | instid1(VALU_DEP_4)
	v_fmac_f64_e32 v[14:15], v[74:75], v[42:43]
	v_fmac_f64_e32 v[16:17], v[66:67], v[42:43]
	s_delay_alu instid0(VALU_DEP_4) | instskip(NEXT) | instid1(VALU_DEP_4)
	v_fmac_f64_e32 v[12:13], v[90:91], v[42:43]
	v_fmac_f64_e32 v[6:7], v[82:83], v[42:43]
	s_wait_loadcnt 0x7
	s_delay_alu instid0(VALU_DEP_4) | instskip(NEXT) | instid1(VALU_DEP_4)
	v_fmac_f64_e32 v[14:15], v[108:109], v[32:33]
	v_fmac_f64_e32 v[16:17], v[100:101], v[32:33]
	s_delay_alu instid0(VALU_DEP_4) | instskip(NEXT) | instid1(VALU_DEP_4)
	v_fmac_f64_e32 v[12:13], v[44:45], v[32:33]
	v_fmac_f64_e32 v[6:7], v[116:117], v[32:33]
	s_delay_alu instid0(VALU_DEP_4) | instskip(NEXT) | instid1(VALU_DEP_4)
	v_fmac_f64_e32 v[14:15], v[110:111], v[34:35]
	v_fmac_f64_e32 v[16:17], v[102:103], v[34:35]
	s_delay_alu instid0(VALU_DEP_4) | instskip(NEXT) | instid1(VALU_DEP_4)
	v_fmac_f64_e32 v[12:13], v[46:47], v[34:35]
	v_fmac_f64_e32 v[6:7], v[118:119], v[34:35]
	s_wait_loadcnt 0x4
	s_delay_alu instid0(VALU_DEP_4) | instskip(NEXT) | instid1(VALU_DEP_4)
	v_fmac_f64_e32 v[14:15], v[104:105], v[132:133]
	v_fmac_f64_e32 v[16:17], v[96:97], v[132:133]
	s_delay_alu instid0(VALU_DEP_4) | instskip(NEXT) | instid1(VALU_DEP_4)
	v_fmac_f64_e32 v[12:13], v[120:121], v[132:133]
	v_fmac_f64_e32 v[6:7], v[112:113], v[132:133]
	s_delay_alu instid0(VALU_DEP_4) | instskip(NEXT) | instid1(VALU_DEP_4)
	v_fmac_f64_e32 v[14:15], v[106:107], v[134:135]
	v_fmac_f64_e32 v[16:17], v[98:99], v[134:135]
	s_delay_alu instid0(VALU_DEP_4) | instskip(NEXT) | instid1(VALU_DEP_4)
	v_fmac_f64_e32 v[12:13], v[122:123], v[134:135]
	v_fmac_f64_e32 v[6:7], v[114:115], v[134:135]
	s_wait_loadcnt 0x2
	s_delay_alu instid0(VALU_DEP_4) | instskip(NEXT) | instid1(VALU_DEP_4)
	v_fmac_f64_e32 v[14:15], v[56:57], v[68:69]
	v_fmac_f64_e32 v[16:17], v[52:53], v[68:69]
	s_delay_alu instid0(VALU_DEP_4) | instskip(NEXT) | instid1(VALU_DEP_4)
	v_fmac_f64_e32 v[12:13], v[76:77], v[68:69]
	v_fmac_f64_e32 v[6:7], v[128:129], v[68:69]
	s_delay_alu instid0(VALU_DEP_4) | instskip(NEXT) | instid1(VALU_DEP_4)
	v_fmac_f64_e32 v[14:15], v[58:59], v[70:71]
	v_fmac_f64_e32 v[16:17], v[54:55], v[70:71]
	s_delay_alu instid0(VALU_DEP_4) | instskip(NEXT) | instid1(VALU_DEP_4)
	v_fmac_f64_e32 v[12:13], v[78:79], v[70:71]
	v_fmac_f64_e32 v[6:7], v[130:131], v[70:71]
	s_wait_loadcnt 0x0
	s_delay_alu instid0(VALU_DEP_4) | instskip(NEXT) | instid1(VALU_DEP_4)
	v_fmac_f64_e32 v[14:15], v[124:125], v[60:61]
	v_fmac_f64_e32 v[16:17], v[36:37], v[60:61]
	s_delay_alu instid0(VALU_DEP_4) | instskip(NEXT) | instid1(VALU_DEP_4)
	v_fmac_f64_e32 v[12:13], v[92:93], v[60:61]
	v_fmac_f64_e32 v[6:7], v[48:49], v[60:61]
	s_delay_alu instid0(VALU_DEP_4) | instskip(NEXT) | instid1(VALU_DEP_4)
	v_fmac_f64_e32 v[14:15], v[126:127], v[62:63]
	v_fmac_f64_e32 v[16:17], v[38:39], v[62:63]
	s_delay_alu instid0(VALU_DEP_4) | instskip(NEXT) | instid1(VALU_DEP_4)
	v_fmac_f64_e32 v[12:13], v[94:95], v[62:63]
	v_fmac_f64_e32 v[6:7], v[50:51], v[62:63]
	s_and_not1_b32 exec_lo, exec_lo, s7
	s_cbranch_execnz .LBB48_23
; %bb.24:
	s_or_b32 exec_lo, exec_lo, s7
.LBB48_25:
	s_delay_alu instid0(SALU_CYCLE_1)
	s_or_b32 exec_lo, exec_lo, s6
.LBB48_26:
	s_delay_alu instid0(SALU_CYCLE_1)
	s_or_b32 exec_lo, exec_lo, s3
	s_cbranch_execz .LBB48_28
	s_branch .LBB48_39
.LBB48_27:
                                        ; implicit-def: $vgpr6_vgpr7
                                        ; implicit-def: $vgpr12_vgpr13
                                        ; implicit-def: $vgpr16_vgpr17
                                        ; implicit-def: $vgpr14_vgpr15
.LBB48_28:
	v_mov_b64_e32 v[6:7], 0
	v_mov_b64_e32 v[12:13], 0
	;; [unrolled: 1-line block ×4, first 2 shown]
	s_and_saveexec_b32 s3, s2
	s_cbranch_execz .LBB48_38
; %bb.29:
	v_dual_mov_b32 v7, v1 :: v_dual_bitop2_b32 v6, 32, v0 bitop3:0x54
	v_sub_nc_u64_e32 v[12:13], v[4:5], v[0:1]
	v_not_b32_e32 v15, v25
	v_not_b32_e32 v14, v24
	v_mov_b64_e32 v[16:17], 0
	v_sub_nc_u64_e32 v[6:7], v[6:7], v[4:5]
	v_mov_b32_e32 v27, 0
	s_mov_b32 s2, exec_lo
	v_add_nc_u64_e32 v[12:13], v[12:13], v[14:15]
	v_mov_b64_e32 v[14:15], 0
	s_delay_alu instid0(VALU_DEP_4) | instskip(NEXT) | instid1(VALU_DEP_1)
	v_add_nc_u64_e32 v[6:7], v[6:7], v[24:25]
	v_max_i64 v[6:7], v[6:7], v[20:21]
	s_delay_alu instid0(VALU_DEP_1) | instskip(SKIP_2) | instid1(VALU_DEP_3)
	v_add_nc_u64_e32 v[24:25], v[12:13], v[6:7]
	v_mov_b64_e32 v[12:13], 0
	v_mov_b64_e32 v[6:7], 0
	v_and_b32_e32 v26, 0x60, v24
	s_delay_alu instid0(VALU_DEP_1)
	v_cmpx_ne_u64_e32 0x60, v[26:27]
	s_cbranch_execz .LBB48_33
; %bb.30:
	v_lshrrev_b32_e32 v1, 5, v24
	v_mov_b64_e32 v[6:7], 0
	v_mov_b64_e32 v[12:13], 0
	;; [unrolled: 1-line block ×4, first 2 shown]
	v_add_nc_u32_e32 v1, 1, v1
	v_lshl_add_u64 v[28:29], v[18:19], 3, s[8:9]
	s_mov_b32 s6, 0
	s_delay_alu instid0(VALU_DEP_2) | instskip(NEXT) | instid1(VALU_DEP_1)
	v_and_b32_e32 v26, 3, v1
	v_sub_nc_u64_e32 v[26:27], 0, v[26:27]
.LBB48_31:                              ; =>This Inner Loop Header: Depth=1
	global_load_b64 v[30:31], v[28:29], off
	v_add_nc_u64_e32 v[26:27], 1, v[26:27]
	v_add_nc_u64_e32 v[18:19], 32, v[18:19]
	s_wait_xcnt 0x0
	v_add_nc_u64_e32 v[28:29], 0x100, v[28:29]
	s_delay_alu instid0(VALU_DEP_3) | instskip(SKIP_3) | instid1(VALU_DEP_1)
	v_cmp_eq_u64_e32 vcc_lo, 0, v[26:27]
	s_or_b32 s6, vcc_lo, s6
	s_wait_loadcnt 0x0
	v_sub_nc_u64_e32 v[30:31], v[30:31], v[4:5]
	v_lshlrev_b64_e32 v[30:31], 5, v[30:31]
	s_wait_kmcnt 0x0
	s_delay_alu instid0(VALU_DEP_1)
	v_add_nc_u64_e32 v[70:71], s[4:5], v[30:31]
	s_clause 0x1
	global_load_b128 v[30:33], v[22:23], off offset:16
	global_load_b128 v[34:37], v[22:23], off
	s_clause 0x1
	global_load_b128 v[38:41], v[70:71], off
	global_load_b128 v[42:45], v[70:71], off offset:16
	s_clause 0x5
	global_load_b128 v[46:49], v[22:23], off offset:32
	global_load_b128 v[50:53], v[22:23], off offset:48
	;; [unrolled: 1-line block ×6, first 2 shown]
	s_wait_xcnt 0x0
	v_add_nc_u64_e32 v[22:23], 0x1000, v[22:23]
	s_wait_loadcnt 0x7
	v_fmac_f64_e32 v[14:15], v[34:35], v[38:39]
	v_fmac_f64_e32 v[16:17], v[36:37], v[38:39]
	;; [unrolled: 1-line block ×4, first 2 shown]
	s_wait_loadcnt 0x5
	s_delay_alu instid0(VALU_DEP_4) | instskip(NEXT) | instid1(VALU_DEP_4)
	v_fmac_f64_e32 v[14:15], v[46:47], v[40:41]
	v_fmac_f64_e32 v[16:17], v[48:49], v[40:41]
	s_wait_loadcnt 0x4
	s_delay_alu instid0(VALU_DEP_4) | instskip(NEXT) | instid1(VALU_DEP_4)
	v_fmac_f64_e32 v[12:13], v[50:51], v[40:41]
	v_fmac_f64_e32 v[6:7], v[52:53], v[40:41]
	;; [unrolled: 4-line block ×6, first 2 shown]
	s_and_not1_b32 exec_lo, exec_lo, s6
	s_cbranch_execnz .LBB48_31
; %bb.32:
	s_or_b32 exec_lo, exec_lo, s6
.LBB48_33:
	s_delay_alu instid0(SALU_CYCLE_1) | instskip(NEXT) | instid1(SALU_CYCLE_1)
	s_or_b32 exec_lo, exec_lo, s2
	s_mov_b32 s2, exec_lo
	v_cmpx_lt_u64_e32 0x5f, v[24:25]
	s_cbranch_execz .LBB48_37
; %bb.34:
	v_lshl_add_u64 v[24:25], v[18:19], 3, s[8:9]
	s_mov_b32 s6, 0
	s_delay_alu instid0(VALU_DEP_1)
	v_add_nc_u64_e32 v[24:25], 0x200, v[24:25]
.LBB48_35:                              ; =>This Inner Loop Header: Depth=1
	s_clause 0x1
	global_load_b64 v[82:83], v[24:25], off offset:-512
	global_load_b64 v[84:85], v[24:25], off offset:-256
	s_clause 0x9
	global_load_b128 v[26:29], v[22:23], off offset:48
	global_load_b128 v[30:33], v[22:23], off offset:32
	;; [unrolled: 1-line block ×3, first 2 shown]
	global_load_b128 v[38:41], v[22:23], off
	global_load_b128 v[42:45], v[22:23], off offset:112
	global_load_b128 v[46:49], v[22:23], off offset:96
	;; [unrolled: 1-line block ×6, first 2 shown]
	s_clause 0x1
	global_load_b64 v[106:107], v[24:25], off
	global_load_b64 v[114:115], v[24:25], off offset:256
	s_clause 0x3
	global_load_b128 v[66:69], v[22:23], off offset:4112
	global_load_b128 v[70:73], v[22:23], off offset:4096
	;; [unrolled: 1-line block ×4, first 2 shown]
	v_add_nc_u64_e32 v[18:19], 0x80, v[18:19]
	s_wait_xcnt 0x4
	v_add_nc_u64_e32 v[24:25], 0x400, v[24:25]
	s_delay_alu instid0(VALU_DEP_2)
	v_cmp_ge_i64_e32 vcc_lo, v[18:19], v[20:21]
	s_or_b32 s6, vcc_lo, s6
	s_wait_loadcnt 0x11
	v_sub_nc_u64_e32 v[82:83], v[82:83], v[4:5]
	s_wait_loadcnt 0x10
	v_sub_nc_u64_e32 v[84:85], v[84:85], v[4:5]
	s_delay_alu instid0(VALU_DEP_2) | instskip(NEXT) | instid1(VALU_DEP_2)
	v_lshlrev_b64_e32 v[82:83], 5, v[82:83]
	v_lshlrev_b64_e32 v[84:85], 5, v[84:85]
	s_wait_loadcnt 0x5
	v_sub_nc_u64_e32 v[106:107], v[106:107], v[4:5]
	s_wait_kmcnt 0x0
	s_delay_alu instid0(VALU_DEP_3) | instskip(NEXT) | instid1(VALU_DEP_3)
	v_add_nc_u64_e32 v[108:109], s[4:5], v[82:83]
	v_add_nc_u64_e32 v[110:111], s[4:5], v[84:85]
	s_clause 0x3
	global_load_b128 v[82:85], v[108:109], off
	global_load_b128 v[86:89], v[108:109], off offset:16
	global_load_b128 v[90:93], v[110:111], off
	global_load_b128 v[94:97], v[110:111], off offset:16
	s_clause 0x1
	global_load_b128 v[98:101], v[22:23], off offset:4192
	global_load_b128 v[102:105], v[22:23], off offset:4208
	s_wait_xcnt 0x2
	v_lshlrev_b64_e32 v[110:111], 5, v[106:107]
	global_load_b128 v[106:109], v[22:23], off offset:8208
	v_add_nc_u64_e32 v[116:117], s[4:5], v[110:111]
	s_wait_loadcnt 0x6
	v_fmac_f64_e32 v[14:15], v[38:39], v[82:83]
	v_fmac_f64_e32 v[16:17], v[40:41], v[82:83]
	global_load_b128 v[38:41], v[22:23], off offset:8192
	v_fmac_f64_e32 v[12:13], v[34:35], v[82:83]
	v_fmac_f64_e32 v[6:7], v[36:37], v[82:83]
	global_load_b128 v[34:37], v[116:117], off
	v_fmac_f64_e32 v[14:15], v[30:31], v[84:85]
	v_fmac_f64_e32 v[16:17], v[32:33], v[84:85]
	global_load_b128 v[30:33], v[22:23], off offset:8224
	v_fmac_f64_e32 v[12:13], v[26:27], v[84:85]
	v_fmac_f64_e32 v[6:7], v[28:29], v[84:85]
	s_clause 0x1
	global_load_b128 v[26:29], v[22:23], off offset:8240
	global_load_b128 v[82:85], v[22:23], off offset:8256
	s_wait_loadcnt 0xa
	v_fmac_f64_e32 v[14:15], v[54:55], v[86:87]
	v_fmac_f64_e32 v[16:17], v[56:57], v[86:87]
	global_load_b128 v[54:57], v[22:23], off offset:8272
	global_load_b128 v[110:113], v[116:117], off offset:16
	v_fmac_f64_e32 v[12:13], v[50:51], v[86:87]
	v_fmac_f64_e32 v[6:7], v[52:53], v[86:87]
	global_load_b128 v[50:53], v[22:23], off offset:8288
	v_sub_nc_u64_e32 v[86:87], v[114:115], v[4:5]
	s_delay_alu instid0(VALU_DEP_1) | instskip(NEXT) | instid1(VALU_DEP_1)
	v_lshlrev_b64_e32 v[86:87], 5, v[86:87]
	v_add_nc_u64_e32 v[114:115], s[4:5], v[86:87]
	v_fmac_f64_e32 v[14:15], v[46:47], v[88:89]
	v_fmac_f64_e32 v[16:17], v[48:49], v[88:89]
	global_load_b128 v[46:49], v[22:23], off offset:8304
	v_fmac_f64_e32 v[12:13], v[42:43], v[88:89]
	v_fmac_f64_e32 v[6:7], v[44:45], v[88:89]
	s_clause 0x1
	global_load_b128 v[42:45], v[22:23], off offset:12304
	global_load_b128 v[86:89], v[22:23], off offset:12288
	s_wait_loadcnt 0xf
	v_fmac_f64_e32 v[14:15], v[70:71], v[90:91]
	v_fmac_f64_e32 v[16:17], v[72:73], v[90:91]
	global_load_b128 v[70:73], v[114:115], off
	v_fmac_f64_e32 v[12:13], v[66:67], v[90:91]
	v_fmac_f64_e32 v[6:7], v[68:69], v[90:91]
	global_load_b128 v[66:69], v[22:23], off offset:12320
	v_fmac_f64_e32 v[14:15], v[62:63], v[92:93]
	v_fmac_f64_e32 v[16:17], v[64:65], v[92:93]
	global_load_b128 v[62:65], v[22:23], off offset:12336
	v_fmac_f64_e32 v[12:13], v[58:59], v[92:93]
	v_fmac_f64_e32 v[6:7], v[60:61], v[92:93]
	s_clause 0x1
	global_load_b128 v[58:61], v[22:23], off offset:12352
	global_load_b128 v[90:93], v[22:23], off offset:12368
	s_wait_loadcnt 0x13
	v_fmac_f64_e32 v[14:15], v[78:79], v[94:95]
	v_fmac_f64_e32 v[16:17], v[80:81], v[94:95]
	global_load_b128 v[78:81], v[114:115], off offset:16
	v_fmac_f64_e32 v[12:13], v[74:75], v[94:95]
	v_fmac_f64_e32 v[6:7], v[76:77], v[94:95]
	global_load_b128 v[74:77], v[22:23], off offset:12384
	s_wait_loadcnt 0x14
	v_fmac_f64_e32 v[14:15], v[98:99], v[96:97]
	v_fmac_f64_e32 v[16:17], v[100:101], v[96:97]
	global_load_b128 v[98:101], v[22:23], off offset:12400
	s_wait_loadcnt 0x14
	v_fmac_f64_e32 v[12:13], v[102:103], v[96:97]
	v_fmac_f64_e32 v[6:7], v[104:105], v[96:97]
	s_wait_xcnt 0x0
	v_add_nc_u64_e32 v[22:23], 0x4000, v[22:23]
	s_wait_loadcnt 0x11
	v_fmac_f64_e32 v[14:15], v[38:39], v[34:35]
	v_fmac_f64_e32 v[16:17], v[40:41], v[34:35]
	;; [unrolled: 1-line block ×4, first 2 shown]
	s_wait_loadcnt 0x10
	s_delay_alu instid0(VALU_DEP_4) | instskip(NEXT) | instid1(VALU_DEP_4)
	v_fmac_f64_e32 v[14:15], v[30:31], v[36:37]
	v_fmac_f64_e32 v[16:17], v[32:33], v[36:37]
	s_wait_loadcnt 0xf
	s_delay_alu instid0(VALU_DEP_4) | instskip(NEXT) | instid1(VALU_DEP_4)
	v_fmac_f64_e32 v[12:13], v[26:27], v[36:37]
	v_fmac_f64_e32 v[6:7], v[28:29], v[36:37]
	s_wait_loadcnt 0xc
	s_delay_alu instid0(VALU_DEP_4) | instskip(NEXT) | instid1(VALU_DEP_4)
	v_fmac_f64_e32 v[14:15], v[82:83], v[110:111]
	v_fmac_f64_e32 v[16:17], v[84:85], v[110:111]
	s_delay_alu instid0(VALU_DEP_4) | instskip(NEXT) | instid1(VALU_DEP_4)
	v_fmac_f64_e32 v[12:13], v[54:55], v[110:111]
	v_fmac_f64_e32 v[6:7], v[56:57], v[110:111]
	s_wait_loadcnt 0xb
	s_delay_alu instid0(VALU_DEP_4) | instskip(NEXT) | instid1(VALU_DEP_4)
	v_fmac_f64_e32 v[14:15], v[50:51], v[112:113]
	v_fmac_f64_e32 v[16:17], v[52:53], v[112:113]
	s_wait_loadcnt 0xa
	s_delay_alu instid0(VALU_DEP_4) | instskip(NEXT) | instid1(VALU_DEP_4)
	v_fmac_f64_e32 v[12:13], v[46:47], v[112:113]
	v_fmac_f64_e32 v[6:7], v[48:49], v[112:113]
	s_wait_loadcnt 0x7
	s_delay_alu instid0(VALU_DEP_4) | instskip(NEXT) | instid1(VALU_DEP_4)
	v_fmac_f64_e32 v[14:15], v[86:87], v[70:71]
	v_fmac_f64_e32 v[16:17], v[88:89], v[70:71]
	s_delay_alu instid0(VALU_DEP_4) | instskip(NEXT) | instid1(VALU_DEP_4)
	v_fmac_f64_e32 v[12:13], v[42:43], v[70:71]
	v_fmac_f64_e32 v[6:7], v[44:45], v[70:71]
	;; [unrolled: 15-line block ×3, first 2 shown]
	s_wait_loadcnt 0x1
	s_delay_alu instid0(VALU_DEP_4) | instskip(NEXT) | instid1(VALU_DEP_4)
	v_fmac_f64_e32 v[14:15], v[74:75], v[80:81]
	v_fmac_f64_e32 v[16:17], v[76:77], v[80:81]
	s_wait_loadcnt 0x0
	s_delay_alu instid0(VALU_DEP_4) | instskip(NEXT) | instid1(VALU_DEP_4)
	v_fmac_f64_e32 v[12:13], v[98:99], v[80:81]
	v_fmac_f64_e32 v[6:7], v[100:101], v[80:81]
	s_and_not1_b32 exec_lo, exec_lo, s6
	s_cbranch_execnz .LBB48_35
; %bb.36:
	s_or_b32 exec_lo, exec_lo, s6
.LBB48_37:
	s_delay_alu instid0(SALU_CYCLE_1)
	s_or_b32 exec_lo, exec_lo, s2
.LBB48_38:
	s_delay_alu instid0(SALU_CYCLE_1)
	s_or_b32 exec_lo, exec_lo, s3
.LBB48_39:
	v_mbcnt_lo_u32_b32 v1, -1, 0
	s_delay_alu instid0(VALU_DEP_1) | instskip(NEXT) | instid1(VALU_DEP_1)
	v_xor_b32_e32 v4, 16, v1
	v_cmp_gt_i32_e32 vcc_lo, 32, v4
	v_cndmask_b32_e32 v4, v1, v4, vcc_lo
	s_delay_alu instid0(VALU_DEP_1)
	v_lshlrev_b32_e32 v23, 2, v4
	ds_bpermute_b32 v4, v23, v14
	ds_bpermute_b32 v5, v23, v15
	;; [unrolled: 1-line block ×4, first 2 shown]
	s_wait_dscnt 0x2
	v_add_f64_e32 v[4:5], v[14:15], v[4:5]
	s_wait_dscnt 0x0
	v_dual_add_f64 v[14:15], v[16:17], v[18:19] :: v_dual_bitop2_b32 v16, 8, v1 bitop3:0x14
	ds_bpermute_b32 v20, v23, v12
	ds_bpermute_b32 v21, v23, v13
	;; [unrolled: 1-line block ×4, first 2 shown]
	v_cmp_gt_i32_e32 vcc_lo, 32, v16
	v_cndmask_b32_e32 v16, v1, v16, vcc_lo
	s_wait_dscnt 0x2
	v_add_f64_e32 v[12:13], v[12:13], v[20:21]
	s_wait_dscnt 0x0
	s_delay_alu instid0(VALU_DEP_2)
	v_dual_add_f64 v[6:7], v[6:7], v[22:23] :: v_dual_lshlrev_b32 v23, 2, v16
	ds_bpermute_b32 v16, v23, v4
	ds_bpermute_b32 v17, v23, v5
	s_wait_dscnt 0x0
	v_add_f64_e32 v[4:5], v[4:5], v[16:17]
	v_xor_b32_e32 v16, 4, v1
	ds_bpermute_b32 v18, v23, v14
	ds_bpermute_b32 v19, v23, v15
	ds_bpermute_b32 v20, v23, v12
	ds_bpermute_b32 v21, v23, v13
	ds_bpermute_b32 v22, v23, v6
	ds_bpermute_b32 v23, v23, v7
	v_cmp_gt_i32_e32 vcc_lo, 32, v16
	s_wait_dscnt 0x4
	v_dual_add_f64 v[14:15], v[14:15], v[18:19] :: v_dual_cndmask_b32 v16, v1, v16, vcc_lo
	s_wait_dscnt 0x2
	v_add_f64_e32 v[12:13], v[12:13], v[20:21]
	s_wait_dscnt 0x0
	s_delay_alu instid0(VALU_DEP_2)
	v_dual_add_f64 v[6:7], v[6:7], v[22:23] :: v_dual_lshlrev_b32 v23, 2, v16
	ds_bpermute_b32 v16, v23, v4
	ds_bpermute_b32 v17, v23, v5
	s_wait_dscnt 0x0
	v_add_f64_e32 v[4:5], v[4:5], v[16:17]
	ds_bpermute_b32 v18, v23, v14
	ds_bpermute_b32 v19, v23, v15
	s_wait_dscnt 0x0
	v_add_f64_e32 v[16:17], v[14:15], v[18:19]
	ds_bpermute_b32 v20, v23, v12
	ds_bpermute_b32 v21, v23, v13
	;; [unrolled: 1-line block ×4, first 2 shown]
	s_wait_dscnt 0x2
	v_add_f64_e32 v[18:19], v[12:13], v[20:21]
	s_wait_dscnt 0x0
	v_dual_add_f64 v[6:7], v[6:7], v[22:23] :: v_dual_bitop2_b32 v12, 2, v1 bitop3:0x14
	s_delay_alu instid0(VALU_DEP_1) | instskip(SKIP_1) | instid1(VALU_DEP_1)
	v_cmp_gt_i32_e32 vcc_lo, 32, v12
	v_cndmask_b32_e32 v12, v1, v12, vcc_lo
	v_lshlrev_b32_e32 v14, 2, v12
	ds_bpermute_b32 v12, v14, v4
	ds_bpermute_b32 v13, v14, v5
	;; [unrolled: 1-line block ×8, first 2 shown]
	s_wait_dscnt 0x6
	v_add_f64_e32 v[14:15], v[4:5], v[12:13]
	s_wait_dscnt 0x4
	v_add_f64_e32 v[12:13], v[16:17], v[20:21]
	v_xor_b32_e32 v16, 1, v1
	s_delay_alu instid0(VALU_DEP_1)
	v_cmp_gt_i32_e32 vcc_lo, 32, v16
	s_wait_dscnt 0x2
	v_add_f64_e32 v[4:5], v[18:19], v[22:23]
	s_wait_dscnt 0x0
	v_add_f64_e32 v[6:7], v[6:7], v[24:25]
	v_cndmask_b32_e32 v1, v1, v16, vcc_lo
	v_cmp_eq_u32_e32 vcc_lo, 31, v0
	s_delay_alu instid0(VALU_DEP_2)
	v_lshlrev_b32_e32 v1, 2, v1
	ds_bpermute_b32 v22, v1, v14
	ds_bpermute_b32 v23, v1, v15
	ds_bpermute_b32 v20, v1, v12
	ds_bpermute_b32 v21, v1, v13
	ds_bpermute_b32 v18, v1, v4
	ds_bpermute_b32 v19, v1, v5
	ds_bpermute_b32 v16, v1, v6
	ds_bpermute_b32 v17, v1, v7
	s_and_b32 exec_lo, exec_lo, vcc_lo
	s_cbranch_execz .LBB48_10
; %bb.40:
	s_wait_dscnt 0x6
	v_add_f64_e32 v[0:1], v[14:15], v[22:23]
	s_wait_dscnt 0x4
	v_add_f64_e32 v[12:13], v[12:13], v[20:21]
	;; [unrolled: 2-line block ×4, first 2 shown]
	s_load_b64 s[0:1], s[0:1], 0x58
	v_lshlrev_b64_e32 v[10:11], 5, v[10:11]
	s_mov_b32 s2, exec_lo
	v_mul_f64_e32 v[4:5], v[2:3], v[0:1]
	v_mul_f64_e32 v[6:7], v[2:3], v[12:13]
	;; [unrolled: 1-line block ×4, first 2 shown]
	v_cmpx_eq_f64_e32 0, v[8:9]
	s_xor_b32 s2, exec_lo, s2
	s_cbranch_execz .LBB48_42
; %bb.41:
	s_wait_kmcnt 0x0
	v_add_nc_u64_e32 v[8:9], s[0:1], v[10:11]
                                        ; implicit-def: $vgpr10_vgpr11
	s_clause 0x1
	global_store_b128 v[8:9], v[4:7], off
	global_store_b128 v[8:9], v[0:3], off offset:16
                                        ; implicit-def: $vgpr8_vgpr9
                                        ; implicit-def: $vgpr4_vgpr5
                                        ; implicit-def: $vgpr0_vgpr1
.LBB48_42:
	s_wait_xcnt 0x0
	s_and_not1_saveexec_b32 s2, s2
	s_cbranch_execz .LBB48_10
; %bb.43:
	s_wait_kmcnt 0x0
	v_add_nc_u64_e32 v[18:19], s[0:1], v[10:11]
	s_clause 0x1
	global_load_b128 v[10:13], v[18:19], off
	global_load_b128 v[14:17], v[18:19], off offset:16
	s_wait_loadcnt 0x1
	v_fmac_f64_e32 v[4:5], v[8:9], v[10:11]
	v_fmac_f64_e32 v[6:7], v[8:9], v[12:13]
	s_wait_loadcnt 0x0
	v_fmac_f64_e32 v[0:1], v[8:9], v[14:15]
	v_fmac_f64_e32 v[2:3], v[8:9], v[16:17]
	s_clause 0x1
	global_store_b128 v[18:19], v[4:7], off
	global_store_b128 v[18:19], v[0:3], off offset:16
	s_sendmsg sendmsg(MSG_DEALLOC_VGPRS)
	s_endpgm
	.section	.rodata,"a",@progbits
	.p2align	6, 0x0
	.amdhsa_kernel _ZN9rocsparseL18bsrxmvn_4x4_kernelILj128ELj32EdlldddEEvT3_20rocsparse_direction_NS_24const_host_device_scalarIT1_EES1_PKS1_PKT2_SA_S7_PKT4_PKT5_S5_PT6_21rocsparse_index_base_b
		.amdhsa_group_segment_fixed_size 0
		.amdhsa_private_segment_fixed_size 0
		.amdhsa_kernarg_size 104
		.amdhsa_user_sgpr_count 2
		.amdhsa_user_sgpr_dispatch_ptr 0
		.amdhsa_user_sgpr_queue_ptr 0
		.amdhsa_user_sgpr_kernarg_segment_ptr 1
		.amdhsa_user_sgpr_dispatch_id 0
		.amdhsa_user_sgpr_kernarg_preload_length 0
		.amdhsa_user_sgpr_kernarg_preload_offset 0
		.amdhsa_user_sgpr_private_segment_size 0
		.amdhsa_wavefront_size32 1
		.amdhsa_uses_dynamic_stack 0
		.amdhsa_enable_private_segment 0
		.amdhsa_system_sgpr_workgroup_id_x 1
		.amdhsa_system_sgpr_workgroup_id_y 0
		.amdhsa_system_sgpr_workgroup_id_z 0
		.amdhsa_system_sgpr_workgroup_info 0
		.amdhsa_system_vgpr_workitem_id 0
		.amdhsa_next_free_vgpr 140
		.amdhsa_next_free_sgpr 12
		.amdhsa_named_barrier_count 0
		.amdhsa_reserve_vcc 1
		.amdhsa_float_round_mode_32 0
		.amdhsa_float_round_mode_16_64 0
		.amdhsa_float_denorm_mode_32 3
		.amdhsa_float_denorm_mode_16_64 3
		.amdhsa_fp16_overflow 0
		.amdhsa_memory_ordered 1
		.amdhsa_forward_progress 1
		.amdhsa_inst_pref_size 37
		.amdhsa_round_robin_scheduling 0
		.amdhsa_exception_fp_ieee_invalid_op 0
		.amdhsa_exception_fp_denorm_src 0
		.amdhsa_exception_fp_ieee_div_zero 0
		.amdhsa_exception_fp_ieee_overflow 0
		.amdhsa_exception_fp_ieee_underflow 0
		.amdhsa_exception_fp_ieee_inexact 0
		.amdhsa_exception_int_div_zero 0
	.end_amdhsa_kernel
	.section	.text._ZN9rocsparseL18bsrxmvn_4x4_kernelILj128ELj32EdlldddEEvT3_20rocsparse_direction_NS_24const_host_device_scalarIT1_EES1_PKS1_PKT2_SA_S7_PKT4_PKT5_S5_PT6_21rocsparse_index_base_b,"axG",@progbits,_ZN9rocsparseL18bsrxmvn_4x4_kernelILj128ELj32EdlldddEEvT3_20rocsparse_direction_NS_24const_host_device_scalarIT1_EES1_PKS1_PKT2_SA_S7_PKT4_PKT5_S5_PT6_21rocsparse_index_base_b,comdat
.Lfunc_end48:
	.size	_ZN9rocsparseL18bsrxmvn_4x4_kernelILj128ELj32EdlldddEEvT3_20rocsparse_direction_NS_24const_host_device_scalarIT1_EES1_PKS1_PKT2_SA_S7_PKT4_PKT5_S5_PT6_21rocsparse_index_base_b, .Lfunc_end48-_ZN9rocsparseL18bsrxmvn_4x4_kernelILj128ELj32EdlldddEEvT3_20rocsparse_direction_NS_24const_host_device_scalarIT1_EES1_PKS1_PKT2_SA_S7_PKT4_PKT5_S5_PT6_21rocsparse_index_base_b
                                        ; -- End function
	.set _ZN9rocsparseL18bsrxmvn_4x4_kernelILj128ELj32EdlldddEEvT3_20rocsparse_direction_NS_24const_host_device_scalarIT1_EES1_PKS1_PKT2_SA_S7_PKT4_PKT5_S5_PT6_21rocsparse_index_base_b.num_vgpr, 140
	.set _ZN9rocsparseL18bsrxmvn_4x4_kernelILj128ELj32EdlldddEEvT3_20rocsparse_direction_NS_24const_host_device_scalarIT1_EES1_PKS1_PKT2_SA_S7_PKT4_PKT5_S5_PT6_21rocsparse_index_base_b.num_agpr, 0
	.set _ZN9rocsparseL18bsrxmvn_4x4_kernelILj128ELj32EdlldddEEvT3_20rocsparse_direction_NS_24const_host_device_scalarIT1_EES1_PKS1_PKT2_SA_S7_PKT4_PKT5_S5_PT6_21rocsparse_index_base_b.numbered_sgpr, 12
	.set _ZN9rocsparseL18bsrxmvn_4x4_kernelILj128ELj32EdlldddEEvT3_20rocsparse_direction_NS_24const_host_device_scalarIT1_EES1_PKS1_PKT2_SA_S7_PKT4_PKT5_S5_PT6_21rocsparse_index_base_b.num_named_barrier, 0
	.set _ZN9rocsparseL18bsrxmvn_4x4_kernelILj128ELj32EdlldddEEvT3_20rocsparse_direction_NS_24const_host_device_scalarIT1_EES1_PKS1_PKT2_SA_S7_PKT4_PKT5_S5_PT6_21rocsparse_index_base_b.private_seg_size, 0
	.set _ZN9rocsparseL18bsrxmvn_4x4_kernelILj128ELj32EdlldddEEvT3_20rocsparse_direction_NS_24const_host_device_scalarIT1_EES1_PKS1_PKT2_SA_S7_PKT4_PKT5_S5_PT6_21rocsparse_index_base_b.uses_vcc, 1
	.set _ZN9rocsparseL18bsrxmvn_4x4_kernelILj128ELj32EdlldddEEvT3_20rocsparse_direction_NS_24const_host_device_scalarIT1_EES1_PKS1_PKT2_SA_S7_PKT4_PKT5_S5_PT6_21rocsparse_index_base_b.uses_flat_scratch, 0
	.set _ZN9rocsparseL18bsrxmvn_4x4_kernelILj128ELj32EdlldddEEvT3_20rocsparse_direction_NS_24const_host_device_scalarIT1_EES1_PKS1_PKT2_SA_S7_PKT4_PKT5_S5_PT6_21rocsparse_index_base_b.has_dyn_sized_stack, 0
	.set _ZN9rocsparseL18bsrxmvn_4x4_kernelILj128ELj32EdlldddEEvT3_20rocsparse_direction_NS_24const_host_device_scalarIT1_EES1_PKS1_PKT2_SA_S7_PKT4_PKT5_S5_PT6_21rocsparse_index_base_b.has_recursion, 0
	.set _ZN9rocsparseL18bsrxmvn_4x4_kernelILj128ELj32EdlldddEEvT3_20rocsparse_direction_NS_24const_host_device_scalarIT1_EES1_PKS1_PKT2_SA_S7_PKT4_PKT5_S5_PT6_21rocsparse_index_base_b.has_indirect_call, 0
	.section	.AMDGPU.csdata,"",@progbits
; Kernel info:
; codeLenInByte = 4660
; TotalNumSgprs: 14
; NumVgprs: 140
; ScratchSize: 0
; MemoryBound: 1
; FloatMode: 240
; IeeeMode: 1
; LDSByteSize: 0 bytes/workgroup (compile time only)
; SGPRBlocks: 0
; VGPRBlocks: 8
; NumSGPRsForWavesPerEU: 14
; NumVGPRsForWavesPerEU: 140
; NamedBarCnt: 0
; Occupancy: 7
; WaveLimiterHint : 1
; COMPUTE_PGM_RSRC2:SCRATCH_EN: 0
; COMPUTE_PGM_RSRC2:USER_SGPR: 2
; COMPUTE_PGM_RSRC2:TRAP_HANDLER: 0
; COMPUTE_PGM_RSRC2:TGID_X_EN: 1
; COMPUTE_PGM_RSRC2:TGID_Y_EN: 0
; COMPUTE_PGM_RSRC2:TGID_Z_EN: 0
; COMPUTE_PGM_RSRC2:TIDIG_COMP_CNT: 0
	.section	.text._ZN9rocsparseL18bsrxmvn_4x4_kernelILj128ELj64EdlldddEEvT3_20rocsparse_direction_NS_24const_host_device_scalarIT1_EES1_PKS1_PKT2_SA_S7_PKT4_PKT5_S5_PT6_21rocsparse_index_base_b,"axG",@progbits,_ZN9rocsparseL18bsrxmvn_4x4_kernelILj128ELj64EdlldddEEvT3_20rocsparse_direction_NS_24const_host_device_scalarIT1_EES1_PKS1_PKT2_SA_S7_PKT4_PKT5_S5_PT6_21rocsparse_index_base_b,comdat
	.globl	_ZN9rocsparseL18bsrxmvn_4x4_kernelILj128ELj64EdlldddEEvT3_20rocsparse_direction_NS_24const_host_device_scalarIT1_EES1_PKS1_PKT2_SA_S7_PKT4_PKT5_S5_PT6_21rocsparse_index_base_b ; -- Begin function _ZN9rocsparseL18bsrxmvn_4x4_kernelILj128ELj64EdlldddEEvT3_20rocsparse_direction_NS_24const_host_device_scalarIT1_EES1_PKS1_PKT2_SA_S7_PKT4_PKT5_S5_PT6_21rocsparse_index_base_b
	.p2align	8
	.type	_ZN9rocsparseL18bsrxmvn_4x4_kernelILj128ELj64EdlldddEEvT3_20rocsparse_direction_NS_24const_host_device_scalarIT1_EES1_PKS1_PKT2_SA_S7_PKT4_PKT5_S5_PT6_21rocsparse_index_base_b,@function
_ZN9rocsparseL18bsrxmvn_4x4_kernelILj128ELj64EdlldddEEvT3_20rocsparse_direction_NS_24const_host_device_scalarIT1_EES1_PKS1_PKT2_SA_S7_PKT4_PKT5_S5_PT6_21rocsparse_index_base_b: ; @_ZN9rocsparseL18bsrxmvn_4x4_kernelILj128ELj64EdlldddEEvT3_20rocsparse_direction_NS_24const_host_device_scalarIT1_EES1_PKS1_PKT2_SA_S7_PKT4_PKT5_S5_PT6_21rocsparse_index_base_b
; %bb.0:
	s_clause 0x2
	s_load_b64 s[8:9], s[0:1], 0x60
	s_load_b128 s[4:7], s[0:1], 0x10
	s_load_b64 s[2:3], s[0:1], 0x50
	s_wait_kmcnt 0x0
	s_bitcmp1_b32 s9, 0
	v_mov_b64_e32 v[2:3], s[4:5]
	s_cselect_b32 s9, -1, 0
	s_delay_alu instid0(SALU_CYCLE_1)
	s_and_b32 vcc_lo, exec_lo, s9
	s_xor_b32 s9, s9, -1
	s_cbranch_vccnz .LBB49_2
; %bb.1:
	v_mov_b32_e32 v1, 0
	flat_load_b64 v[2:3], v1, s[4:5]
.LBB49_2:
	v_mov_b64_e32 v[8:9], s[2:3]
	s_and_not1_b32 vcc_lo, exec_lo, s9
	s_cbranch_vccnz .LBB49_4
; %bb.3:
	s_wait_xcnt 0x0
	v_mov_b32_e32 v1, 0
	flat_load_b64 v[8:9], v1, s[2:3]
.LBB49_4:
	s_wait_loadcnt_dscnt 0x0
	v_cmp_neq_f64_e32 vcc_lo, 0, v[2:3]
	s_delay_alu instid0(VALU_DEP_2) | instskip(SKIP_1) | instid1(SALU_CYCLE_1)
	v_cmp_neq_f64_e64 s2, 1.0, v[8:9]
	s_or_b32 s2, vcc_lo, s2
	s_and_saveexec_b32 s3, s2
	s_cbranch_execz .LBB49_10
; %bb.5:
	s_load_b64 s[2:3], s[0:1], 0x20
	s_bfe_u32 s4, ttmp6, 0x4000c
	s_and_b32 s5, ttmp6, 15
	s_add_co_i32 s4, s4, 1
	s_getreg_b32 s9, hwreg(HW_REG_IB_STS2, 6, 4)
	s_mul_i32 s4, ttmp9, s4
	v_dual_lshrrev_b32 v1, 6, v0 :: v_dual_mov_b32 v7, 0
	s_add_co_i32 s5, s5, s4
	s_cmp_eq_u32 s9, 0
	s_cselect_b32 s4, ttmp9, s5
	s_delay_alu instid0(VALU_DEP_1) | instid1(SALU_CYCLE_1)
	v_lshl_or_b32 v6, s4, 1, v1
	s_mov_b32 s4, 0
	s_wait_kmcnt 0x0
	s_cmp_lg_u64 s[2:3], 0
	s_cbranch_scc0 .LBB49_11
; %bb.6:
	v_cmp_gt_i64_e32 vcc_lo, s[6:7], v[6:7]
	s_mov_b32 s5, 0
                                        ; implicit-def: $vgpr10_vgpr11
                                        ; implicit-def: $vgpr4_vgpr5
	s_and_saveexec_b32 s6, vcc_lo
	s_delay_alu instid0(SALU_CYCLE_1)
	s_xor_b32 s6, exec_lo, s6
	s_cbranch_execz .LBB49_8
; %bb.7:
	v_lshl_add_u64 v[4:5], v[6:7], 3, s[2:3]
	s_mov_b32 s9, 0
	s_mov_b32 s4, exec_lo
	global_load_b64 v[4:5], v[4:5], off
	s_wait_loadcnt 0x0
	v_sub_nc_u64_e64 v[10:11], v[4:5], s[8:9]
	v_mov_b64_e32 v[4:5], s[8:9]
.LBB49_8:
	s_or_b32 exec_lo, exec_lo, s6
	s_delay_alu instid0(SALU_CYCLE_1)
	s_and_b32 vcc_lo, exec_lo, s5
	s_cbranch_vccnz .LBB49_12
.LBB49_9:
	s_and_b32 exec_lo, exec_lo, s4
	s_cbranch_execnz .LBB49_15
.LBB49_10:
	s_sendmsg sendmsg(MSG_DEALLOC_VGPRS)
	s_endpgm
.LBB49_11:
                                        ; implicit-def: $vgpr10_vgpr11
                                        ; implicit-def: $vgpr4_vgpr5
	s_cbranch_execz .LBB49_9
.LBB49_12:
	s_load_b64 s[2:3], s[0:1], 0x0
	s_wait_kmcnt 0x0
	v_cmp_gt_i64_e32 vcc_lo, s[2:3], v[6:7]
	s_and_saveexec_b32 s2, vcc_lo
; %bb.13:
	s_mov_b32 s9, 0
	s_or_b32 s4, s4, exec_lo
; %bb.14:
	s_or_b32 exec_lo, exec_lo, s2
	v_mov_b64_e32 v[4:5], s[8:9]
	v_mov_b64_e32 v[10:11], v[6:7]
	s_and_b32 exec_lo, exec_lo, s4
	s_cbranch_execz .LBB49_10
.LBB49_15:
	s_load_b256 s[4:11], s[0:1], 0x28
	s_delay_alu instid0(VALU_DEP_1) | instskip(SKIP_3) | instid1(VALU_DEP_2)
	v_lshlrev_b64_e32 v[6:7], 3, v[10:11]
	v_dual_mov_b32 v1, 0 :: v_dual_bitop2_b32 v0, 63, v0 bitop3:0x40
	s_load_b32 s3, s[0:1], 0x8
	s_wait_kmcnt 0x0
	v_add_nc_u64_e32 v[12:13], s[4:5], v[6:7]
	v_add_nc_u64_e32 v[6:7], s[6:7], v[6:7]
	s_cmp_eq_u64 s[6:7], 0
	s_load_b64 s[4:5], s[0:1], 0x48
	s_cselect_b32 vcc_lo, -1, 0
	s_cmp_eq_u32 s3, 1
	global_load_b64 v[24:25], v[12:13], off
	s_wait_xcnt 0x0
	v_add_nc_u64_e32 v[12:13], 8, v[12:13]
	s_delay_alu instid0(VALU_DEP_1) | instskip(SKIP_3) | instid1(VALU_DEP_1)
	v_dual_cndmask_b32 v7, v7, v13 :: v_dual_cndmask_b32 v6, v6, v12
	global_load_b64 v[6:7], v[6:7], off
	s_wait_loadcnt 0x1
	v_sub_nc_u64_e32 v[12:13], v[24:25], v[4:5]
	v_add_nc_u64_e32 v[18:19], v[12:13], v[0:1]
	s_wait_loadcnt 0x0
	v_sub_nc_u64_e32 v[20:21], v[6:7], v[4:5]
	s_delay_alu instid0(VALU_DEP_2) | instskip(NEXT) | instid1(VALU_DEP_2)
	v_lshlrev_b64_e32 v[12:13], 7, v[18:19]
	v_cmp_lt_i64_e64 s2, v[18:19], v[20:21]
	s_delay_alu instid0(VALU_DEP_2)
	v_add_nc_u64_e32 v[22:23], s[10:11], v[12:13]
	s_cbranch_scc1 .LBB49_27
; %bb.16:
	v_mov_b64_e32 v[6:7], 0
	v_mov_b64_e32 v[12:13], 0
	;; [unrolled: 1-line block ×4, first 2 shown]
	s_and_saveexec_b32 s3, s2
	s_cbranch_execz .LBB49_26
; %bb.17:
	v_dual_mov_b32 v7, v1 :: v_dual_bitop2_b32 v6, 64, v0 bitop3:0x54
	v_sub_nc_u64_e32 v[12:13], v[4:5], v[0:1]
	v_not_b32_e32 v15, v25
	v_not_b32_e32 v14, v24
	v_mov_b64_e32 v[16:17], 0
	v_sub_nc_u64_e32 v[6:7], v[6:7], v[4:5]
	v_mov_b64_e32 v[26:27], v[18:19]
	v_mov_b64_e32 v[28:29], v[22:23]
	v_add_nc_u64_e32 v[12:13], v[12:13], v[14:15]
	v_mov_b64_e32 v[14:15], 0
	v_mov_b32_e32 v35, 0
	s_mov_b32 s6, exec_lo
	v_add_nc_u64_e32 v[6:7], v[6:7], v[24:25]
	s_delay_alu instid0(VALU_DEP_1) | instskip(NEXT) | instid1(VALU_DEP_1)
	v_max_i64 v[6:7], v[6:7], v[20:21]
	v_add_nc_u64_e32 v[30:31], v[12:13], v[6:7]
	v_mov_b64_e32 v[12:13], 0
	v_mov_b64_e32 v[6:7], 0
	s_delay_alu instid0(VALU_DEP_3) | instskip(NEXT) | instid1(VALU_DEP_1)
	v_and_b32_e32 v34, 0xc0, v30
	v_cmpx_ne_u64_e32 0xc0, v[34:35]
	s_cbranch_execz .LBB49_21
; %bb.18:
	v_lshrrev_b32_e32 v6, 6, v30
	v_mov_b64_e32 v[12:13], 0
	v_mov_b64_e32 v[16:17], 0
	v_mov_b64_e32 v[14:15], 0
	v_mov_b64_e32 v[28:29], v[22:23]
	v_add_nc_u32_e32 v6, 1, v6
	v_mov_b64_e32 v[26:27], v[18:19]
	v_lshl_add_u64 v[32:33], v[18:19], 3, s[8:9]
	s_mov_b32 s7, 0
	s_delay_alu instid0(VALU_DEP_3) | instskip(SKIP_1) | instid1(VALU_DEP_2)
	v_and_b32_e32 v34, 3, v6
	v_mov_b64_e32 v[6:7], 0
	v_sub_nc_u64_e32 v[34:35], 0, v[34:35]
.LBB49_19:                              ; =>This Inner Loop Header: Depth=1
	global_load_b64 v[36:37], v[32:33], off
	v_add_nc_u64_e32 v[34:35], 1, v[34:35]
	v_add_nc_u64_e32 v[26:27], 64, v[26:27]
	s_wait_xcnt 0x0
	v_add_nc_u64_e32 v[32:33], 0x200, v[32:33]
	s_delay_alu instid0(VALU_DEP_3)
	v_cmp_eq_u64_e32 vcc_lo, 0, v[34:35]
	s_or_b32 s7, vcc_lo, s7
	s_wait_loadcnt 0x0
	v_sub_nc_u64_e32 v[44:45], v[36:37], v[4:5]
	s_clause 0x1
	global_load_b128 v[36:39], v[28:29], off offset:48
	global_load_b128 v[40:43], v[28:29], off offset:32
	v_lshlrev_b64_e32 v[56:57], 5, v[44:45]
	s_clause 0x2
	global_load_b128 v[44:47], v[28:29], off offset:16
	global_load_b128 v[48:51], v[28:29], off
	global_load_b128 v[52:55], v[28:29], off offset:112
	s_wait_kmcnt 0x0
	v_add_nc_u64_e32 v[76:77], s[4:5], v[56:57]
	s_clause 0x2
	global_load_b128 v[56:59], v[28:29], off offset:96
	global_load_b128 v[60:63], v[28:29], off offset:80
	;; [unrolled: 1-line block ×3, first 2 shown]
	s_clause 0x1
	global_load_b128 v[68:71], v[76:77], off
	global_load_b128 v[72:75], v[76:77], off offset:16
	s_wait_xcnt 0x2
	v_add_nc_u64_e32 v[28:29], 0x2000, v[28:29]
	s_wait_loadcnt 0x1
	v_fmac_f64_e32 v[14:15], v[48:49], v[68:69]
	v_fmac_f64_e32 v[16:17], v[40:41], v[68:69]
	;; [unrolled: 1-line block ×4, first 2 shown]
	s_delay_alu instid0(VALU_DEP_4) | instskip(NEXT) | instid1(VALU_DEP_4)
	v_fmac_f64_e32 v[14:15], v[50:51], v[70:71]
	v_fmac_f64_e32 v[16:17], v[42:43], v[70:71]
	s_delay_alu instid0(VALU_DEP_4) | instskip(NEXT) | instid1(VALU_DEP_4)
	v_fmac_f64_e32 v[12:13], v[66:67], v[70:71]
	v_fmac_f64_e32 v[6:7], v[58:59], v[70:71]
	s_wait_loadcnt 0x0
	s_delay_alu instid0(VALU_DEP_4) | instskip(NEXT) | instid1(VALU_DEP_4)
	v_fmac_f64_e32 v[14:15], v[44:45], v[72:73]
	v_fmac_f64_e32 v[16:17], v[36:37], v[72:73]
	s_delay_alu instid0(VALU_DEP_4) | instskip(NEXT) | instid1(VALU_DEP_4)
	v_fmac_f64_e32 v[12:13], v[60:61], v[72:73]
	v_fmac_f64_e32 v[6:7], v[52:53], v[72:73]
	;; [unrolled: 3-line block ×4, first 2 shown]
	s_and_not1_b32 exec_lo, exec_lo, s7
	s_cbranch_execnz .LBB49_19
; %bb.20:
	s_or_b32 exec_lo, exec_lo, s7
.LBB49_21:
	s_delay_alu instid0(SALU_CYCLE_1) | instskip(NEXT) | instid1(SALU_CYCLE_1)
	s_or_b32 exec_lo, exec_lo, s6
	s_mov_b32 s6, exec_lo
	v_cmpx_lt_u64_e32 0xbf, v[30:31]
	s_cbranch_execz .LBB49_25
; %bb.22:
	v_lshl_add_u64 v[30:31], v[26:27], 3, s[8:9]
	s_mov_b32 s7, 0
	s_delay_alu instid0(VALU_DEP_1)
	v_add_nc_u64_e32 v[30:31], 0x400, v[30:31]
.LBB49_23:                              ; =>This Inner Loop Header: Depth=1
	global_load_b64 v[124:125], v[30:31], off offset:-1024
	s_clause 0xd
	global_load_b128 v[32:35], v[28:29], off offset:48
	global_load_b128 v[36:39], v[28:29], off offset:32
	;; [unrolled: 1-line block ×3, first 2 shown]
	global_load_b128 v[44:47], v[28:29], off
	global_load_b128 v[48:51], v[28:29], off offset:112
	global_load_b128 v[52:55], v[28:29], off offset:96
	;; [unrolled: 1-line block ×10, first 2 shown]
	s_clause 0x2
	global_load_b64 v[132:133], v[30:31], off offset:-512
	global_load_b64 v[134:135], v[30:31], off
	global_load_b64 v[136:137], v[30:31], off offset:512
	s_clause 0x8
	global_load_b128 v[88:91], v[28:29], off offset:8272
	global_load_b128 v[92:95], v[28:29], off offset:8256
	;; [unrolled: 1-line block ×9, first 2 shown]
	v_add_nc_u64_e32 v[26:27], 0x100, v[26:27]
	s_wait_xcnt 0x9
	v_add_nc_u64_e32 v[30:31], 0x800, v[30:31]
	s_delay_alu instid0(VALU_DEP_2) | instskip(SKIP_3) | instid1(VALU_DEP_1)
	v_cmp_ge_i64_e32 vcc_lo, v[26:27], v[20:21]
	s_or_b32 s7, vcc_lo, s7
	s_wait_loadcnt 0x1a
	v_sub_nc_u64_e32 v[124:125], v[124:125], v[4:5]
	v_lshlrev_b64_e32 v[124:125], 5, v[124:125]
	s_wait_kmcnt 0x0
	s_delay_alu instid0(VALU_DEP_1)
	v_add_nc_u64_e32 v[138:139], s[4:5], v[124:125]
	s_wait_loadcnt 0xb
	v_sub_nc_u64_e32 v[132:133], v[132:133], v[4:5]
	s_wait_loadcnt 0xa
	v_sub_nc_u64_e32 v[134:135], v[134:135], v[4:5]
	;; [unrolled: 2-line block ×3, first 2 shown]
	s_clause 0x1
	global_load_b128 v[124:127], v[138:139], off
	global_load_b128 v[128:131], v[138:139], off offset:16
	v_lshlrev_b64_e32 v[132:133], 5, v[132:133]
	v_lshlrev_b64_e32 v[134:135], 5, v[134:135]
	;; [unrolled: 1-line block ×3, first 2 shown]
	s_delay_alu instid0(VALU_DEP_3) | instskip(SKIP_1) | instid1(VALU_DEP_3)
	v_add_nc_u64_e32 v[132:133], s[4:5], v[132:133]
	s_wait_xcnt 0x0
	v_add_nc_u64_e32 v[138:139], s[4:5], v[134:135]
	s_delay_alu instid0(VALU_DEP_3)
	v_add_nc_u64_e32 v[136:137], s[4:5], v[136:137]
	s_wait_loadcnt 0x1
	v_fmac_f64_e32 v[12:13], v[60:61], v[124:125]
	v_fmac_f64_e32 v[14:15], v[44:45], v[124:125]
	;; [unrolled: 1-line block ×4, first 2 shown]
	s_delay_alu instid0(VALU_DEP_4)
	v_fmac_f64_e32 v[12:13], v[62:63], v[126:127]
	global_load_b128 v[60:63], v[132:133], off
	v_fmac_f64_e32 v[14:15], v[46:47], v[126:127]
	global_load_b128 v[44:47], v[28:29], off offset:16448
	v_fmac_f64_e32 v[16:17], v[38:39], v[126:127]
	global_load_b128 v[36:39], v[28:29], off offset:24624
	v_fmac_f64_e32 v[6:7], v[54:55], v[126:127]
	s_clause 0x1
	global_load_b128 v[52:55], v[28:29], off offset:24608
	global_load_b128 v[124:127], v[28:29], off offset:24592
	s_wait_loadcnt 0x5
	v_fmac_f64_e32 v[12:13], v[56:57], v[128:129]
	v_fmac_f64_e32 v[14:15], v[40:41], v[128:129]
	;; [unrolled: 1-line block ×4, first 2 shown]
	s_delay_alu instid0(VALU_DEP_4)
	v_fmac_f64_e32 v[12:13], v[58:59], v[130:131]
	global_load_b128 v[56:59], v[28:29], off offset:24576
	v_fmac_f64_e32 v[14:15], v[42:43], v[130:131]
	global_load_b128 v[40:43], v[132:133], off offset:16
	v_fmac_f64_e32 v[16:17], v[34:35], v[130:131]
	global_load_b128 v[32:35], v[138:139], off
	v_fmac_f64_e32 v[6:7], v[50:51], v[130:131]
	s_clause 0x1
	global_load_b128 v[48:51], v[28:29], off offset:24688
	global_load_b128 v[128:131], v[28:29], off offset:24672
	;; [unrolled: 1-line block ×3, first 2 shown]
	s_wait_loadcnt 0xa
	v_fmac_f64_e32 v[14:15], v[76:77], v[60:61]
	v_fmac_f64_e32 v[16:17], v[68:69], v[60:61]
	;; [unrolled: 1-line block ×4, first 2 shown]
	s_delay_alu instid0(VALU_DEP_4)
	v_fmac_f64_e32 v[14:15], v[78:79], v[62:63]
	global_load_b128 v[76:79], v[28:29], off offset:24640
	v_fmac_f64_e32 v[16:17], v[70:71], v[62:63]
	global_load_b128 v[68:71], v[136:137], off
	v_fmac_f64_e32 v[12:13], v[94:95], v[62:63]
	global_load_b128 v[92:95], v[28:29], off offset:24656
	v_fmac_f64_e32 v[6:7], v[86:87], v[62:63]
	global_load_b128 v[60:63], v[136:137], off offset:16
	s_wait_xcnt 0x1
	v_add_nc_u64_e32 v[28:29], 0x8000, v[28:29]
	s_wait_loadcnt 0x8
	v_fmac_f64_e32 v[14:15], v[72:73], v[40:41]
	v_fmac_f64_e32 v[16:17], v[64:65], v[40:41]
	;; [unrolled: 1-line block ×4, first 2 shown]
	s_delay_alu instid0(VALU_DEP_4) | instskip(NEXT) | instid1(VALU_DEP_4)
	v_fmac_f64_e32 v[14:15], v[74:75], v[42:43]
	v_fmac_f64_e32 v[16:17], v[66:67], v[42:43]
	s_delay_alu instid0(VALU_DEP_4) | instskip(NEXT) | instid1(VALU_DEP_4)
	v_fmac_f64_e32 v[12:13], v[90:91], v[42:43]
	v_fmac_f64_e32 v[6:7], v[82:83], v[42:43]
	s_wait_loadcnt 0x7
	s_delay_alu instid0(VALU_DEP_4) | instskip(NEXT) | instid1(VALU_DEP_4)
	v_fmac_f64_e32 v[14:15], v[108:109], v[32:33]
	v_fmac_f64_e32 v[16:17], v[100:101], v[32:33]
	s_delay_alu instid0(VALU_DEP_4) | instskip(NEXT) | instid1(VALU_DEP_4)
	v_fmac_f64_e32 v[12:13], v[44:45], v[32:33]
	v_fmac_f64_e32 v[6:7], v[116:117], v[32:33]
	s_delay_alu instid0(VALU_DEP_4) | instskip(NEXT) | instid1(VALU_DEP_4)
	v_fmac_f64_e32 v[14:15], v[110:111], v[34:35]
	v_fmac_f64_e32 v[16:17], v[102:103], v[34:35]
	s_delay_alu instid0(VALU_DEP_4) | instskip(NEXT) | instid1(VALU_DEP_4)
	v_fmac_f64_e32 v[12:13], v[46:47], v[34:35]
	v_fmac_f64_e32 v[6:7], v[118:119], v[34:35]
	s_wait_loadcnt 0x4
	s_delay_alu instid0(VALU_DEP_4) | instskip(NEXT) | instid1(VALU_DEP_4)
	v_fmac_f64_e32 v[14:15], v[104:105], v[132:133]
	v_fmac_f64_e32 v[16:17], v[96:97], v[132:133]
	s_delay_alu instid0(VALU_DEP_4) | instskip(NEXT) | instid1(VALU_DEP_4)
	v_fmac_f64_e32 v[12:13], v[120:121], v[132:133]
	v_fmac_f64_e32 v[6:7], v[112:113], v[132:133]
	;; [unrolled: 13-line block ×4, first 2 shown]
	s_delay_alu instid0(VALU_DEP_4) | instskip(NEXT) | instid1(VALU_DEP_4)
	v_fmac_f64_e32 v[14:15], v[126:127], v[62:63]
	v_fmac_f64_e32 v[16:17], v[38:39], v[62:63]
	s_delay_alu instid0(VALU_DEP_4) | instskip(NEXT) | instid1(VALU_DEP_4)
	v_fmac_f64_e32 v[12:13], v[94:95], v[62:63]
	v_fmac_f64_e32 v[6:7], v[50:51], v[62:63]
	s_and_not1_b32 exec_lo, exec_lo, s7
	s_cbranch_execnz .LBB49_23
; %bb.24:
	s_or_b32 exec_lo, exec_lo, s7
.LBB49_25:
	s_delay_alu instid0(SALU_CYCLE_1)
	s_or_b32 exec_lo, exec_lo, s6
.LBB49_26:
	s_delay_alu instid0(SALU_CYCLE_1)
	s_or_b32 exec_lo, exec_lo, s3
	s_cbranch_execz .LBB49_28
	s_branch .LBB49_39
.LBB49_27:
                                        ; implicit-def: $vgpr6_vgpr7
                                        ; implicit-def: $vgpr12_vgpr13
                                        ; implicit-def: $vgpr16_vgpr17
                                        ; implicit-def: $vgpr14_vgpr15
.LBB49_28:
	v_mov_b64_e32 v[6:7], 0
	v_mov_b64_e32 v[12:13], 0
	;; [unrolled: 1-line block ×4, first 2 shown]
	s_and_saveexec_b32 s3, s2
	s_cbranch_execz .LBB49_38
; %bb.29:
	v_dual_mov_b32 v7, v1 :: v_dual_bitop2_b32 v6, 64, v0 bitop3:0x54
	v_sub_nc_u64_e32 v[12:13], v[4:5], v[0:1]
	v_not_b32_e32 v15, v25
	v_not_b32_e32 v14, v24
	v_mov_b64_e32 v[16:17], 0
	v_sub_nc_u64_e32 v[6:7], v[6:7], v[4:5]
	v_mov_b32_e32 v27, 0
	s_mov_b32 s2, exec_lo
	v_add_nc_u64_e32 v[12:13], v[12:13], v[14:15]
	v_mov_b64_e32 v[14:15], 0
	s_delay_alu instid0(VALU_DEP_4) | instskip(NEXT) | instid1(VALU_DEP_1)
	v_add_nc_u64_e32 v[6:7], v[6:7], v[24:25]
	v_max_i64 v[6:7], v[6:7], v[20:21]
	s_delay_alu instid0(VALU_DEP_1) | instskip(SKIP_2) | instid1(VALU_DEP_3)
	v_add_nc_u64_e32 v[24:25], v[12:13], v[6:7]
	v_mov_b64_e32 v[12:13], 0
	v_mov_b64_e32 v[6:7], 0
	v_and_b32_e32 v26, 0xc0, v24
	s_delay_alu instid0(VALU_DEP_1)
	v_cmpx_ne_u64_e32 0xc0, v[26:27]
	s_cbranch_execz .LBB49_33
; %bb.30:
	v_lshrrev_b32_e32 v1, 6, v24
	v_mov_b64_e32 v[6:7], 0
	v_mov_b64_e32 v[12:13], 0
	v_mov_b64_e32 v[16:17], 0
	v_mov_b64_e32 v[14:15], 0
	v_add_nc_u32_e32 v1, 1, v1
	v_lshl_add_u64 v[28:29], v[18:19], 3, s[8:9]
	s_mov_b32 s6, 0
	s_delay_alu instid0(VALU_DEP_2) | instskip(NEXT) | instid1(VALU_DEP_1)
	v_and_b32_e32 v26, 3, v1
	v_sub_nc_u64_e32 v[26:27], 0, v[26:27]
.LBB49_31:                              ; =>This Inner Loop Header: Depth=1
	global_load_b64 v[30:31], v[28:29], off
	v_add_nc_u64_e32 v[26:27], 1, v[26:27]
	v_add_nc_u64_e32 v[18:19], 64, v[18:19]
	s_wait_xcnt 0x0
	v_add_nc_u64_e32 v[28:29], 0x200, v[28:29]
	s_delay_alu instid0(VALU_DEP_3) | instskip(SKIP_3) | instid1(VALU_DEP_1)
	v_cmp_eq_u64_e32 vcc_lo, 0, v[26:27]
	s_or_b32 s6, vcc_lo, s6
	s_wait_loadcnt 0x0
	v_sub_nc_u64_e32 v[30:31], v[30:31], v[4:5]
	v_lshlrev_b64_e32 v[30:31], 5, v[30:31]
	s_wait_kmcnt 0x0
	s_delay_alu instid0(VALU_DEP_1)
	v_add_nc_u64_e32 v[70:71], s[4:5], v[30:31]
	s_clause 0x1
	global_load_b128 v[30:33], v[22:23], off offset:16
	global_load_b128 v[34:37], v[22:23], off
	s_clause 0x1
	global_load_b128 v[38:41], v[70:71], off
	global_load_b128 v[42:45], v[70:71], off offset:16
	s_clause 0x5
	global_load_b128 v[46:49], v[22:23], off offset:32
	global_load_b128 v[50:53], v[22:23], off offset:48
	;; [unrolled: 1-line block ×6, first 2 shown]
	s_wait_xcnt 0x0
	v_add_nc_u64_e32 v[22:23], 0x2000, v[22:23]
	s_wait_loadcnt 0x7
	v_fmac_f64_e32 v[14:15], v[34:35], v[38:39]
	v_fmac_f64_e32 v[16:17], v[36:37], v[38:39]
	v_fmac_f64_e32 v[12:13], v[30:31], v[38:39]
	v_fmac_f64_e32 v[6:7], v[32:33], v[38:39]
	s_wait_loadcnt 0x5
	s_delay_alu instid0(VALU_DEP_4) | instskip(NEXT) | instid1(VALU_DEP_4)
	v_fmac_f64_e32 v[14:15], v[46:47], v[40:41]
	v_fmac_f64_e32 v[16:17], v[48:49], v[40:41]
	s_wait_loadcnt 0x4
	s_delay_alu instid0(VALU_DEP_4) | instskip(NEXT) | instid1(VALU_DEP_4)
	v_fmac_f64_e32 v[12:13], v[50:51], v[40:41]
	v_fmac_f64_e32 v[6:7], v[52:53], v[40:41]
	;; [unrolled: 4-line block ×6, first 2 shown]
	s_and_not1_b32 exec_lo, exec_lo, s6
	s_cbranch_execnz .LBB49_31
; %bb.32:
	s_or_b32 exec_lo, exec_lo, s6
.LBB49_33:
	s_delay_alu instid0(SALU_CYCLE_1) | instskip(NEXT) | instid1(SALU_CYCLE_1)
	s_or_b32 exec_lo, exec_lo, s2
	s_mov_b32 s2, exec_lo
	v_cmpx_lt_u64_e32 0xbf, v[24:25]
	s_cbranch_execz .LBB49_37
; %bb.34:
	v_lshl_add_u64 v[24:25], v[18:19], 3, s[8:9]
	s_mov_b32 s6, 0
	s_delay_alu instid0(VALU_DEP_1)
	v_add_nc_u64_e32 v[24:25], 0x400, v[24:25]
.LBB49_35:                              ; =>This Inner Loop Header: Depth=1
	s_clause 0x1
	global_load_b64 v[82:83], v[24:25], off offset:-1024
	global_load_b64 v[84:85], v[24:25], off offset:-512
	s_clause 0x9
	global_load_b128 v[26:29], v[22:23], off offset:48
	global_load_b128 v[30:33], v[22:23], off offset:32
	;; [unrolled: 1-line block ×3, first 2 shown]
	global_load_b128 v[38:41], v[22:23], off
	global_load_b128 v[42:45], v[22:23], off offset:112
	global_load_b128 v[46:49], v[22:23], off offset:96
	;; [unrolled: 1-line block ×6, first 2 shown]
	s_clause 0x1
	global_load_b64 v[106:107], v[24:25], off
	global_load_b64 v[114:115], v[24:25], off offset:512
	s_clause 0x3
	global_load_b128 v[66:69], v[22:23], off offset:8208
	global_load_b128 v[70:73], v[22:23], off offset:8192
	;; [unrolled: 1-line block ×4, first 2 shown]
	v_add_nc_u64_e32 v[18:19], 0x100, v[18:19]
	s_wait_xcnt 0x4
	v_add_nc_u64_e32 v[24:25], 0x800, v[24:25]
	s_delay_alu instid0(VALU_DEP_2)
	v_cmp_ge_i64_e32 vcc_lo, v[18:19], v[20:21]
	s_or_b32 s6, vcc_lo, s6
	s_wait_loadcnt 0x11
	v_sub_nc_u64_e32 v[82:83], v[82:83], v[4:5]
	s_wait_loadcnt 0x10
	v_sub_nc_u64_e32 v[84:85], v[84:85], v[4:5]
	s_delay_alu instid0(VALU_DEP_2) | instskip(NEXT) | instid1(VALU_DEP_2)
	v_lshlrev_b64_e32 v[82:83], 5, v[82:83]
	v_lshlrev_b64_e32 v[84:85], 5, v[84:85]
	s_wait_loadcnt 0x5
	v_sub_nc_u64_e32 v[106:107], v[106:107], v[4:5]
	s_wait_kmcnt 0x0
	s_delay_alu instid0(VALU_DEP_3) | instskip(NEXT) | instid1(VALU_DEP_3)
	v_add_nc_u64_e32 v[108:109], s[4:5], v[82:83]
	v_add_nc_u64_e32 v[110:111], s[4:5], v[84:85]
	s_clause 0x3
	global_load_b128 v[82:85], v[108:109], off
	global_load_b128 v[86:89], v[108:109], off offset:16
	global_load_b128 v[90:93], v[110:111], off
	global_load_b128 v[94:97], v[110:111], off offset:16
	s_clause 0x1
	global_load_b128 v[98:101], v[22:23], off offset:8288
	global_load_b128 v[102:105], v[22:23], off offset:8304
	s_wait_xcnt 0x2
	v_lshlrev_b64_e32 v[110:111], 5, v[106:107]
	global_load_b128 v[106:109], v[22:23], off offset:16400
	v_add_nc_u64_e32 v[116:117], s[4:5], v[110:111]
	s_wait_loadcnt 0x6
	v_fmac_f64_e32 v[14:15], v[38:39], v[82:83]
	v_fmac_f64_e32 v[16:17], v[40:41], v[82:83]
	global_load_b128 v[38:41], v[22:23], off offset:16384
	v_fmac_f64_e32 v[12:13], v[34:35], v[82:83]
	v_fmac_f64_e32 v[6:7], v[36:37], v[82:83]
	global_load_b128 v[34:37], v[116:117], off
	v_fmac_f64_e32 v[14:15], v[30:31], v[84:85]
	v_fmac_f64_e32 v[16:17], v[32:33], v[84:85]
	global_load_b128 v[30:33], v[22:23], off offset:16416
	v_fmac_f64_e32 v[12:13], v[26:27], v[84:85]
	v_fmac_f64_e32 v[6:7], v[28:29], v[84:85]
	s_clause 0x1
	global_load_b128 v[26:29], v[22:23], off offset:16432
	global_load_b128 v[82:85], v[22:23], off offset:16448
	s_wait_loadcnt 0xa
	v_fmac_f64_e32 v[14:15], v[54:55], v[86:87]
	v_fmac_f64_e32 v[16:17], v[56:57], v[86:87]
	global_load_b128 v[54:57], v[22:23], off offset:16464
	global_load_b128 v[110:113], v[116:117], off offset:16
	v_fmac_f64_e32 v[12:13], v[50:51], v[86:87]
	v_fmac_f64_e32 v[6:7], v[52:53], v[86:87]
	global_load_b128 v[50:53], v[22:23], off offset:16480
	v_sub_nc_u64_e32 v[86:87], v[114:115], v[4:5]
	s_delay_alu instid0(VALU_DEP_1) | instskip(NEXT) | instid1(VALU_DEP_1)
	v_lshlrev_b64_e32 v[86:87], 5, v[86:87]
	v_add_nc_u64_e32 v[114:115], s[4:5], v[86:87]
	v_fmac_f64_e32 v[14:15], v[46:47], v[88:89]
	v_fmac_f64_e32 v[16:17], v[48:49], v[88:89]
	global_load_b128 v[46:49], v[22:23], off offset:16496
	v_fmac_f64_e32 v[12:13], v[42:43], v[88:89]
	v_fmac_f64_e32 v[6:7], v[44:45], v[88:89]
	s_clause 0x1
	global_load_b128 v[42:45], v[22:23], off offset:24592
	global_load_b128 v[86:89], v[22:23], off offset:24576
	s_wait_loadcnt 0xf
	v_fmac_f64_e32 v[14:15], v[70:71], v[90:91]
	v_fmac_f64_e32 v[16:17], v[72:73], v[90:91]
	global_load_b128 v[70:73], v[114:115], off
	v_fmac_f64_e32 v[12:13], v[66:67], v[90:91]
	v_fmac_f64_e32 v[6:7], v[68:69], v[90:91]
	global_load_b128 v[66:69], v[22:23], off offset:24608
	v_fmac_f64_e32 v[14:15], v[62:63], v[92:93]
	v_fmac_f64_e32 v[16:17], v[64:65], v[92:93]
	global_load_b128 v[62:65], v[22:23], off offset:24624
	v_fmac_f64_e32 v[12:13], v[58:59], v[92:93]
	v_fmac_f64_e32 v[6:7], v[60:61], v[92:93]
	s_clause 0x1
	global_load_b128 v[58:61], v[22:23], off offset:24640
	global_load_b128 v[90:93], v[22:23], off offset:24656
	s_wait_loadcnt 0x13
	v_fmac_f64_e32 v[14:15], v[78:79], v[94:95]
	v_fmac_f64_e32 v[16:17], v[80:81], v[94:95]
	global_load_b128 v[78:81], v[114:115], off offset:16
	v_fmac_f64_e32 v[12:13], v[74:75], v[94:95]
	v_fmac_f64_e32 v[6:7], v[76:77], v[94:95]
	global_load_b128 v[74:77], v[22:23], off offset:24672
	s_wait_loadcnt 0x14
	v_fmac_f64_e32 v[14:15], v[98:99], v[96:97]
	v_fmac_f64_e32 v[16:17], v[100:101], v[96:97]
	global_load_b128 v[98:101], v[22:23], off offset:24688
	s_wait_loadcnt 0x14
	v_fmac_f64_e32 v[12:13], v[102:103], v[96:97]
	v_fmac_f64_e32 v[6:7], v[104:105], v[96:97]
	s_wait_xcnt 0x0
	v_add_nc_u64_e32 v[22:23], 0x8000, v[22:23]
	s_wait_loadcnt 0x11
	v_fmac_f64_e32 v[14:15], v[38:39], v[34:35]
	v_fmac_f64_e32 v[16:17], v[40:41], v[34:35]
	v_fmac_f64_e32 v[12:13], v[106:107], v[34:35]
	v_fmac_f64_e32 v[6:7], v[108:109], v[34:35]
	s_wait_loadcnt 0x10
	s_delay_alu instid0(VALU_DEP_4) | instskip(NEXT) | instid1(VALU_DEP_4)
	v_fmac_f64_e32 v[14:15], v[30:31], v[36:37]
	v_fmac_f64_e32 v[16:17], v[32:33], v[36:37]
	s_wait_loadcnt 0xf
	s_delay_alu instid0(VALU_DEP_4) | instskip(NEXT) | instid1(VALU_DEP_4)
	v_fmac_f64_e32 v[12:13], v[26:27], v[36:37]
	v_fmac_f64_e32 v[6:7], v[28:29], v[36:37]
	s_wait_loadcnt 0xc
	s_delay_alu instid0(VALU_DEP_4) | instskip(NEXT) | instid1(VALU_DEP_4)
	v_fmac_f64_e32 v[14:15], v[82:83], v[110:111]
	v_fmac_f64_e32 v[16:17], v[84:85], v[110:111]
	s_delay_alu instid0(VALU_DEP_4) | instskip(NEXT) | instid1(VALU_DEP_4)
	v_fmac_f64_e32 v[12:13], v[54:55], v[110:111]
	v_fmac_f64_e32 v[6:7], v[56:57], v[110:111]
	s_wait_loadcnt 0xb
	s_delay_alu instid0(VALU_DEP_4) | instskip(NEXT) | instid1(VALU_DEP_4)
	v_fmac_f64_e32 v[14:15], v[50:51], v[112:113]
	v_fmac_f64_e32 v[16:17], v[52:53], v[112:113]
	s_wait_loadcnt 0xa
	s_delay_alu instid0(VALU_DEP_4) | instskip(NEXT) | instid1(VALU_DEP_4)
	v_fmac_f64_e32 v[12:13], v[46:47], v[112:113]
	v_fmac_f64_e32 v[6:7], v[48:49], v[112:113]
	s_wait_loadcnt 0x7
	s_delay_alu instid0(VALU_DEP_4) | instskip(NEXT) | instid1(VALU_DEP_4)
	v_fmac_f64_e32 v[14:15], v[86:87], v[70:71]
	v_fmac_f64_e32 v[16:17], v[88:89], v[70:71]
	s_delay_alu instid0(VALU_DEP_4) | instskip(NEXT) | instid1(VALU_DEP_4)
	v_fmac_f64_e32 v[12:13], v[42:43], v[70:71]
	v_fmac_f64_e32 v[6:7], v[44:45], v[70:71]
	;; [unrolled: 15-line block ×3, first 2 shown]
	s_wait_loadcnt 0x1
	s_delay_alu instid0(VALU_DEP_4) | instskip(NEXT) | instid1(VALU_DEP_4)
	v_fmac_f64_e32 v[14:15], v[74:75], v[80:81]
	v_fmac_f64_e32 v[16:17], v[76:77], v[80:81]
	s_wait_loadcnt 0x0
	s_delay_alu instid0(VALU_DEP_4) | instskip(NEXT) | instid1(VALU_DEP_4)
	v_fmac_f64_e32 v[12:13], v[98:99], v[80:81]
	v_fmac_f64_e32 v[6:7], v[100:101], v[80:81]
	s_and_not1_b32 exec_lo, exec_lo, s6
	s_cbranch_execnz .LBB49_35
; %bb.36:
	s_or_b32 exec_lo, exec_lo, s6
.LBB49_37:
	s_delay_alu instid0(SALU_CYCLE_1)
	s_or_b32 exec_lo, exec_lo, s2
.LBB49_38:
	s_delay_alu instid0(SALU_CYCLE_1)
	s_or_b32 exec_lo, exec_lo, s3
.LBB49_39:
	v_mbcnt_lo_u32_b32 v1, -1, 0
	s_delay_alu instid0(VALU_DEP_1) | instskip(NEXT) | instid1(VALU_DEP_1)
	v_or_b32_e32 v4, 32, v1
	v_cmp_gt_i32_e32 vcc_lo, 32, v4
	v_cndmask_b32_e32 v4, v1, v4, vcc_lo
	s_delay_alu instid0(VALU_DEP_1)
	v_lshlrev_b32_e32 v23, 2, v4
	ds_bpermute_b32 v4, v23, v14
	ds_bpermute_b32 v5, v23, v15
	ds_bpermute_b32 v18, v23, v16
	ds_bpermute_b32 v19, v23, v17
	s_wait_dscnt 0x2
	v_add_f64_e32 v[4:5], v[14:15], v[4:5]
	s_wait_dscnt 0x0
	v_dual_add_f64 v[14:15], v[16:17], v[18:19] :: v_dual_bitop2_b32 v16, 16, v1 bitop3:0x14
	ds_bpermute_b32 v20, v23, v12
	ds_bpermute_b32 v21, v23, v13
	;; [unrolled: 1-line block ×4, first 2 shown]
	v_cmp_gt_i32_e32 vcc_lo, 32, v16
	v_cndmask_b32_e32 v16, v1, v16, vcc_lo
	s_wait_dscnt 0x2
	v_add_f64_e32 v[12:13], v[12:13], v[20:21]
	s_wait_dscnt 0x0
	s_delay_alu instid0(VALU_DEP_2)
	v_dual_add_f64 v[6:7], v[6:7], v[22:23] :: v_dual_lshlrev_b32 v23, 2, v16
	ds_bpermute_b32 v16, v23, v4
	ds_bpermute_b32 v17, v23, v5
	s_wait_dscnt 0x0
	v_add_f64_e32 v[4:5], v[4:5], v[16:17]
	v_xor_b32_e32 v16, 8, v1
	ds_bpermute_b32 v18, v23, v14
	ds_bpermute_b32 v19, v23, v15
	;; [unrolled: 1-line block ×6, first 2 shown]
	v_cmp_gt_i32_e32 vcc_lo, 32, v16
	s_wait_dscnt 0x4
	v_dual_add_f64 v[14:15], v[14:15], v[18:19] :: v_dual_cndmask_b32 v16, v1, v16, vcc_lo
	s_wait_dscnt 0x2
	v_add_f64_e32 v[12:13], v[12:13], v[20:21]
	s_wait_dscnt 0x0
	s_delay_alu instid0(VALU_DEP_2)
	v_dual_add_f64 v[6:7], v[6:7], v[22:23] :: v_dual_lshlrev_b32 v23, 2, v16
	ds_bpermute_b32 v18, v23, v14
	ds_bpermute_b32 v19, v23, v15
	s_wait_dscnt 0x0
	v_add_f64_e32 v[14:15], v[14:15], v[18:19]
	ds_bpermute_b32 v16, v23, v4
	ds_bpermute_b32 v17, v23, v5
	;; [unrolled: 1-line block ×6, first 2 shown]
	s_wait_dscnt 0x4
	v_add_f64_e32 v[4:5], v[4:5], v[16:17]
	v_xor_b32_e32 v16, 4, v1
	s_wait_dscnt 0x2
	v_add_f64_e32 v[12:13], v[12:13], v[20:21]
	s_wait_dscnt 0x0
	v_add_f64_e32 v[6:7], v[6:7], v[22:23]
	v_cmp_gt_i32_e32 vcc_lo, 32, v16
	v_cndmask_b32_e32 v16, v1, v16, vcc_lo
	s_delay_alu instid0(VALU_DEP_1)
	v_lshlrev_b32_e32 v23, 2, v16
	ds_bpermute_b32 v18, v23, v14
	ds_bpermute_b32 v19, v23, v15
	;; [unrolled: 1-line block ×4, first 2 shown]
	s_wait_dscnt 0x0
	v_add_f64_e32 v[4:5], v[4:5], v[16:17]
	v_add_f64_e32 v[16:17], v[14:15], v[18:19]
	ds_bpermute_b32 v20, v23, v12
	ds_bpermute_b32 v21, v23, v13
	;; [unrolled: 1-line block ×4, first 2 shown]
	s_wait_dscnt 0x2
	v_add_f64_e32 v[18:19], v[12:13], v[20:21]
	s_wait_dscnt 0x0
	v_dual_add_f64 v[6:7], v[6:7], v[22:23] :: v_dual_bitop2_b32 v12, 2, v1 bitop3:0x14
	s_delay_alu instid0(VALU_DEP_1) | instskip(SKIP_1) | instid1(VALU_DEP_1)
	v_cmp_gt_i32_e32 vcc_lo, 32, v12
	v_cndmask_b32_e32 v12, v1, v12, vcc_lo
	v_lshlrev_b32_e32 v14, 2, v12
	ds_bpermute_b32 v12, v14, v4
	ds_bpermute_b32 v13, v14, v5
	;; [unrolled: 1-line block ×8, first 2 shown]
	s_wait_dscnt 0x6
	v_add_f64_e32 v[14:15], v[4:5], v[12:13]
	s_wait_dscnt 0x4
	v_add_f64_e32 v[12:13], v[16:17], v[20:21]
	v_xor_b32_e32 v16, 1, v1
	s_delay_alu instid0(VALU_DEP_1)
	v_cmp_gt_i32_e32 vcc_lo, 32, v16
	s_wait_dscnt 0x2
	v_add_f64_e32 v[4:5], v[18:19], v[22:23]
	s_wait_dscnt 0x0
	v_add_f64_e32 v[6:7], v[6:7], v[24:25]
	v_cndmask_b32_e32 v1, v1, v16, vcc_lo
	v_cmp_eq_u32_e32 vcc_lo, 63, v0
	s_delay_alu instid0(VALU_DEP_2)
	v_lshlrev_b32_e32 v1, 2, v1
	ds_bpermute_b32 v22, v1, v14
	ds_bpermute_b32 v23, v1, v15
	;; [unrolled: 1-line block ×8, first 2 shown]
	s_and_b32 exec_lo, exec_lo, vcc_lo
	s_cbranch_execz .LBB49_10
; %bb.40:
	s_wait_dscnt 0x6
	v_add_f64_e32 v[0:1], v[14:15], v[22:23]
	s_wait_dscnt 0x4
	v_add_f64_e32 v[12:13], v[12:13], v[20:21]
	;; [unrolled: 2-line block ×4, first 2 shown]
	s_load_b64 s[0:1], s[0:1], 0x58
	v_lshlrev_b64_e32 v[10:11], 5, v[10:11]
	s_mov_b32 s2, exec_lo
	v_mul_f64_e32 v[4:5], v[2:3], v[0:1]
	v_mul_f64_e32 v[6:7], v[2:3], v[12:13]
	;; [unrolled: 1-line block ×4, first 2 shown]
	v_cmpx_eq_f64_e32 0, v[8:9]
	s_xor_b32 s2, exec_lo, s2
	s_cbranch_execz .LBB49_42
; %bb.41:
	s_wait_kmcnt 0x0
	v_add_nc_u64_e32 v[8:9], s[0:1], v[10:11]
                                        ; implicit-def: $vgpr10_vgpr11
	s_clause 0x1
	global_store_b128 v[8:9], v[4:7], off
	global_store_b128 v[8:9], v[0:3], off offset:16
                                        ; implicit-def: $vgpr8_vgpr9
                                        ; implicit-def: $vgpr4_vgpr5
                                        ; implicit-def: $vgpr0_vgpr1
.LBB49_42:
	s_wait_xcnt 0x0
	s_and_not1_saveexec_b32 s2, s2
	s_cbranch_execz .LBB49_10
; %bb.43:
	s_wait_kmcnt 0x0
	v_add_nc_u64_e32 v[18:19], s[0:1], v[10:11]
	s_clause 0x1
	global_load_b128 v[10:13], v[18:19], off
	global_load_b128 v[14:17], v[18:19], off offset:16
	s_wait_loadcnt 0x1
	v_fmac_f64_e32 v[4:5], v[8:9], v[10:11]
	v_fmac_f64_e32 v[6:7], v[8:9], v[12:13]
	s_wait_loadcnt 0x0
	v_fmac_f64_e32 v[0:1], v[8:9], v[14:15]
	v_fmac_f64_e32 v[2:3], v[8:9], v[16:17]
	s_clause 0x1
	global_store_b128 v[18:19], v[4:7], off
	global_store_b128 v[18:19], v[0:3], off offset:16
	s_sendmsg sendmsg(MSG_DEALLOC_VGPRS)
	s_endpgm
	.section	.rodata,"a",@progbits
	.p2align	6, 0x0
	.amdhsa_kernel _ZN9rocsparseL18bsrxmvn_4x4_kernelILj128ELj64EdlldddEEvT3_20rocsparse_direction_NS_24const_host_device_scalarIT1_EES1_PKS1_PKT2_SA_S7_PKT4_PKT5_S5_PT6_21rocsparse_index_base_b
		.amdhsa_group_segment_fixed_size 0
		.amdhsa_private_segment_fixed_size 0
		.amdhsa_kernarg_size 104
		.amdhsa_user_sgpr_count 2
		.amdhsa_user_sgpr_dispatch_ptr 0
		.amdhsa_user_sgpr_queue_ptr 0
		.amdhsa_user_sgpr_kernarg_segment_ptr 1
		.amdhsa_user_sgpr_dispatch_id 0
		.amdhsa_user_sgpr_kernarg_preload_length 0
		.amdhsa_user_sgpr_kernarg_preload_offset 0
		.amdhsa_user_sgpr_private_segment_size 0
		.amdhsa_wavefront_size32 1
		.amdhsa_uses_dynamic_stack 0
		.amdhsa_enable_private_segment 0
		.amdhsa_system_sgpr_workgroup_id_x 1
		.amdhsa_system_sgpr_workgroup_id_y 0
		.amdhsa_system_sgpr_workgroup_id_z 0
		.amdhsa_system_sgpr_workgroup_info 0
		.amdhsa_system_vgpr_workitem_id 0
		.amdhsa_next_free_vgpr 140
		.amdhsa_next_free_sgpr 12
		.amdhsa_named_barrier_count 0
		.amdhsa_reserve_vcc 1
		.amdhsa_float_round_mode_32 0
		.amdhsa_float_round_mode_16_64 0
		.amdhsa_float_denorm_mode_32 3
		.amdhsa_float_denorm_mode_16_64 3
		.amdhsa_fp16_overflow 0
		.amdhsa_memory_ordered 1
		.amdhsa_forward_progress 1
		.amdhsa_inst_pref_size 38
		.amdhsa_round_robin_scheduling 0
		.amdhsa_exception_fp_ieee_invalid_op 0
		.amdhsa_exception_fp_denorm_src 0
		.amdhsa_exception_fp_ieee_div_zero 0
		.amdhsa_exception_fp_ieee_overflow 0
		.amdhsa_exception_fp_ieee_underflow 0
		.amdhsa_exception_fp_ieee_inexact 0
		.amdhsa_exception_int_div_zero 0
	.end_amdhsa_kernel
	.section	.text._ZN9rocsparseL18bsrxmvn_4x4_kernelILj128ELj64EdlldddEEvT3_20rocsparse_direction_NS_24const_host_device_scalarIT1_EES1_PKS1_PKT2_SA_S7_PKT4_PKT5_S5_PT6_21rocsparse_index_base_b,"axG",@progbits,_ZN9rocsparseL18bsrxmvn_4x4_kernelILj128ELj64EdlldddEEvT3_20rocsparse_direction_NS_24const_host_device_scalarIT1_EES1_PKS1_PKT2_SA_S7_PKT4_PKT5_S5_PT6_21rocsparse_index_base_b,comdat
.Lfunc_end49:
	.size	_ZN9rocsparseL18bsrxmvn_4x4_kernelILj128ELj64EdlldddEEvT3_20rocsparse_direction_NS_24const_host_device_scalarIT1_EES1_PKS1_PKT2_SA_S7_PKT4_PKT5_S5_PT6_21rocsparse_index_base_b, .Lfunc_end49-_ZN9rocsparseL18bsrxmvn_4x4_kernelILj128ELj64EdlldddEEvT3_20rocsparse_direction_NS_24const_host_device_scalarIT1_EES1_PKS1_PKT2_SA_S7_PKT4_PKT5_S5_PT6_21rocsparse_index_base_b
                                        ; -- End function
	.set _ZN9rocsparseL18bsrxmvn_4x4_kernelILj128ELj64EdlldddEEvT3_20rocsparse_direction_NS_24const_host_device_scalarIT1_EES1_PKS1_PKT2_SA_S7_PKT4_PKT5_S5_PT6_21rocsparse_index_base_b.num_vgpr, 140
	.set _ZN9rocsparseL18bsrxmvn_4x4_kernelILj128ELj64EdlldddEEvT3_20rocsparse_direction_NS_24const_host_device_scalarIT1_EES1_PKS1_PKT2_SA_S7_PKT4_PKT5_S5_PT6_21rocsparse_index_base_b.num_agpr, 0
	.set _ZN9rocsparseL18bsrxmvn_4x4_kernelILj128ELj64EdlldddEEvT3_20rocsparse_direction_NS_24const_host_device_scalarIT1_EES1_PKS1_PKT2_SA_S7_PKT4_PKT5_S5_PT6_21rocsparse_index_base_b.numbered_sgpr, 12
	.set _ZN9rocsparseL18bsrxmvn_4x4_kernelILj128ELj64EdlldddEEvT3_20rocsparse_direction_NS_24const_host_device_scalarIT1_EES1_PKS1_PKT2_SA_S7_PKT4_PKT5_S5_PT6_21rocsparse_index_base_b.num_named_barrier, 0
	.set _ZN9rocsparseL18bsrxmvn_4x4_kernelILj128ELj64EdlldddEEvT3_20rocsparse_direction_NS_24const_host_device_scalarIT1_EES1_PKS1_PKT2_SA_S7_PKT4_PKT5_S5_PT6_21rocsparse_index_base_b.private_seg_size, 0
	.set _ZN9rocsparseL18bsrxmvn_4x4_kernelILj128ELj64EdlldddEEvT3_20rocsparse_direction_NS_24const_host_device_scalarIT1_EES1_PKS1_PKT2_SA_S7_PKT4_PKT5_S5_PT6_21rocsparse_index_base_b.uses_vcc, 1
	.set _ZN9rocsparseL18bsrxmvn_4x4_kernelILj128ELj64EdlldddEEvT3_20rocsparse_direction_NS_24const_host_device_scalarIT1_EES1_PKS1_PKT2_SA_S7_PKT4_PKT5_S5_PT6_21rocsparse_index_base_b.uses_flat_scratch, 0
	.set _ZN9rocsparseL18bsrxmvn_4x4_kernelILj128ELj64EdlldddEEvT3_20rocsparse_direction_NS_24const_host_device_scalarIT1_EES1_PKS1_PKT2_SA_S7_PKT4_PKT5_S5_PT6_21rocsparse_index_base_b.has_dyn_sized_stack, 0
	.set _ZN9rocsparseL18bsrxmvn_4x4_kernelILj128ELj64EdlldddEEvT3_20rocsparse_direction_NS_24const_host_device_scalarIT1_EES1_PKS1_PKT2_SA_S7_PKT4_PKT5_S5_PT6_21rocsparse_index_base_b.has_recursion, 0
	.set _ZN9rocsparseL18bsrxmvn_4x4_kernelILj128ELj64EdlldddEEvT3_20rocsparse_direction_NS_24const_host_device_scalarIT1_EES1_PKS1_PKT2_SA_S7_PKT4_PKT5_S5_PT6_21rocsparse_index_base_b.has_indirect_call, 0
	.section	.AMDGPU.csdata,"",@progbits
; Kernel info:
; codeLenInByte = 4772
; TotalNumSgprs: 14
; NumVgprs: 140
; ScratchSize: 0
; MemoryBound: 1
; FloatMode: 240
; IeeeMode: 1
; LDSByteSize: 0 bytes/workgroup (compile time only)
; SGPRBlocks: 0
; VGPRBlocks: 8
; NumSGPRsForWavesPerEU: 14
; NumVGPRsForWavesPerEU: 140
; NamedBarCnt: 0
; Occupancy: 7
; WaveLimiterHint : 1
; COMPUTE_PGM_RSRC2:SCRATCH_EN: 0
; COMPUTE_PGM_RSRC2:USER_SGPR: 2
; COMPUTE_PGM_RSRC2:TRAP_HANDLER: 0
; COMPUTE_PGM_RSRC2:TGID_X_EN: 1
; COMPUTE_PGM_RSRC2:TGID_Y_EN: 0
; COMPUTE_PGM_RSRC2:TGID_Z_EN: 0
; COMPUTE_PGM_RSRC2:TIDIG_COMP_CNT: 0
	.section	.text._ZN9rocsparseL18bsrxmvn_4x4_kernelILj128ELj4E21rocsparse_complex_numIfEllS2_S2_S2_EEvT3_20rocsparse_direction_NS_24const_host_device_scalarIT1_EES3_PKS3_PKT2_SC_S9_PKT4_PKT5_S7_PT6_21rocsparse_index_base_b,"axG",@progbits,_ZN9rocsparseL18bsrxmvn_4x4_kernelILj128ELj4E21rocsparse_complex_numIfEllS2_S2_S2_EEvT3_20rocsparse_direction_NS_24const_host_device_scalarIT1_EES3_PKS3_PKT2_SC_S9_PKT4_PKT5_S7_PT6_21rocsparse_index_base_b,comdat
	.globl	_ZN9rocsparseL18bsrxmvn_4x4_kernelILj128ELj4E21rocsparse_complex_numIfEllS2_S2_S2_EEvT3_20rocsparse_direction_NS_24const_host_device_scalarIT1_EES3_PKS3_PKT2_SC_S9_PKT4_PKT5_S7_PT6_21rocsparse_index_base_b ; -- Begin function _ZN9rocsparseL18bsrxmvn_4x4_kernelILj128ELj4E21rocsparse_complex_numIfEllS2_S2_S2_EEvT3_20rocsparse_direction_NS_24const_host_device_scalarIT1_EES3_PKS3_PKT2_SC_S9_PKT4_PKT5_S7_PT6_21rocsparse_index_base_b
	.p2align	8
	.type	_ZN9rocsparseL18bsrxmvn_4x4_kernelILj128ELj4E21rocsparse_complex_numIfEllS2_S2_S2_EEvT3_20rocsparse_direction_NS_24const_host_device_scalarIT1_EES3_PKS3_PKT2_SC_S9_PKT4_PKT5_S7_PT6_21rocsparse_index_base_b,@function
_ZN9rocsparseL18bsrxmvn_4x4_kernelILj128ELj4E21rocsparse_complex_numIfEllS2_S2_S2_EEvT3_20rocsparse_direction_NS_24const_host_device_scalarIT1_EES3_PKS3_PKT2_SC_S9_PKT4_PKT5_S7_PT6_21rocsparse_index_base_b: ; @_ZN9rocsparseL18bsrxmvn_4x4_kernelILj128ELj4E21rocsparse_complex_numIfEllS2_S2_S2_EEvT3_20rocsparse_direction_NS_24const_host_device_scalarIT1_EES3_PKS3_PKT2_SC_S9_PKT4_PKT5_S7_PT6_21rocsparse_index_base_b
; %bb.0:
	s_clause 0x2
	s_load_b64 s[8:9], s[0:1], 0x60
	s_load_b128 s[4:7], s[0:1], 0x10
	s_load_b64 s[2:3], s[0:1], 0x50
	v_mov_b32_e32 v11, 0
	s_add_nc_u64 s[10:11], s[0:1], 16
	s_add_nc_u64 s[12:13], s[0:1], 0x50
	s_wait_kmcnt 0x0
	s_bitcmp1_b32 s9, 0
	s_cselect_b32 s5, s11, s5
	s_cselect_b32 s4, s10, s4
	;; [unrolled: 1-line block ×4, first 2 shown]
	s_clause 0x1
	flat_load_b64 v[2:3], v11, s[4:5]
	flat_load_b64 v[4:5], v11, s[2:3]
	s_wait_loadcnt_dscnt 0x101
	v_cmp_neq_f32_e32 vcc_lo, 0, v2
	s_wait_xcnt 0x0
	v_cmp_neq_f32_e64 s3, 0, v3
	s_wait_loadcnt_dscnt 0x0
	v_cmp_neq_f32_e64 s4, 1.0, v4
	v_cmp_neq_f32_e64 s2, 0, v5
	s_or_b32 s5, vcc_lo, s3
	s_mov_b32 s3, 0
	s_or_b32 s4, s4, s2
	s_delay_alu instid0(SALU_CYCLE_1) | instskip(NEXT) | instid1(SALU_CYCLE_1)
	s_or_b32 s4, s5, s4
	s_and_saveexec_b32 s5, s4
	s_cbranch_execz .LBB50_6
; %bb.1:
	s_load_b64 s[4:5], s[0:1], 0x20
	s_bfe_u32 s9, ttmp6, 0x4000c
	s_and_b32 s10, ttmp6, 15
	s_add_co_i32 s9, s9, 1
	s_getreg_b32 s11, hwreg(HW_REG_IB_STS2, 6, 4)
	s_mul_i32 s9, ttmp9, s9
	v_lshrrev_b32_e32 v1, 2, v0
	s_add_co_i32 s10, s10, s9
	s_cmp_eq_u32 s11, 0
	s_cselect_b32 s9, ttmp9, s10
	s_delay_alu instid0(VALU_DEP_1) | instid1(SALU_CYCLE_1)
	v_lshl_or_b32 v10, s9, 5, v1
	s_wait_kmcnt 0x0
	s_cmp_lg_u64 s[4:5], 0
	s_cbranch_scc0 .LBB50_7
; %bb.2:
	s_delay_alu instid0(VALU_DEP_1) | instskip(SKIP_2) | instid1(SALU_CYCLE_1)
	v_cmp_gt_i64_e32 vcc_lo, s[6:7], v[10:11]
	s_mov_b32 s6, 0
                                        ; implicit-def: $vgpr6_vgpr7
                                        ; implicit-def: $vgpr8_vgpr9
	s_and_saveexec_b32 s7, vcc_lo
	s_xor_b32 s7, exec_lo, s7
	s_cbranch_execz .LBB50_4
; %bb.3:
	v_lshl_add_u64 v[6:7], v[10:11], 3, s[4:5]
	s_mov_b32 s9, 0
	s_mov_b32 s3, exec_lo
	v_mov_b64_e32 v[8:9], s[8:9]
	global_load_b64 v[6:7], v[6:7], off
	s_wait_loadcnt 0x0
	v_sub_nc_u64_e64 v[6:7], v[6:7], s[8:9]
.LBB50_4:
	s_or_b32 exec_lo, exec_lo, s7
	s_delay_alu instid0(SALU_CYCLE_1)
	s_and_b32 vcc_lo, exec_lo, s6
	s_cbranch_vccnz .LBB50_8
.LBB50_5:
	s_and_b32 exec_lo, exec_lo, s3
	s_cbranch_execnz .LBB50_11
.LBB50_6:
	s_sendmsg sendmsg(MSG_DEALLOC_VGPRS)
	s_endpgm
.LBB50_7:
                                        ; implicit-def: $vgpr6_vgpr7
                                        ; implicit-def: $vgpr8_vgpr9
	s_cbranch_execz .LBB50_5
.LBB50_8:
	s_load_b64 s[4:5], s[0:1], 0x0
	s_wait_kmcnt 0x0
	v_cmp_gt_i64_e32 vcc_lo, s[4:5], v[10:11]
	s_and_saveexec_b32 s4, vcc_lo
; %bb.9:
	s_mov_b32 s9, 0
	s_or_b32 s3, s3, exec_lo
; %bb.10:
	s_or_b32 exec_lo, exec_lo, s4
	v_mov_b64_e32 v[8:9], s[8:9]
	v_mov_b64_e32 v[6:7], v[10:11]
	s_and_b32 exec_lo, exec_lo, s3
	s_cbranch_execz .LBB50_6
.LBB50_11:
	s_load_b256 s[4:11], s[0:1], 0x28
	s_delay_alu instid0(VALU_DEP_1) | instskip(SKIP_2) | instid1(VALU_DEP_2)
	v_lshlrev_b64_e32 v[10:11], 3, v[6:7]
	v_dual_mov_b32 v1, 0 :: v_dual_bitop2_b32 v0, 3, v0 bitop3:0x40
	s_wait_kmcnt 0x0
	v_add_nc_u64_e32 v[12:13], s[4:5], v[10:11]
	v_add_nc_u64_e32 v[10:11], s[6:7], v[10:11]
	s_cmp_eq_u64 s[6:7], 0
	s_clause 0x1
	s_load_b32 s6, s[0:1], 0x8
	s_load_b64 s[4:5], s[0:1], 0x48
	s_cselect_b32 vcc_lo, -1, 0
	global_load_b64 v[24:25], v[12:13], off
	s_wait_xcnt 0x0
	v_add_nc_u64_e32 v[12:13], 8, v[12:13]
	s_delay_alu instid0(VALU_DEP_1)
	v_dual_cndmask_b32 v11, v11, v13 :: v_dual_cndmask_b32 v10, v10, v12
	global_load_b64 v[12:13], v[10:11], off
	s_wait_kmcnt 0x0
	s_cmp_eq_u32 s6, 1
	s_wait_loadcnt 0x1
	s_wait_xcnt 0x0
	v_sub_nc_u64_e32 v[10:11], v[24:25], v[8:9]
	s_delay_alu instid0(VALU_DEP_1) | instskip(SKIP_2) | instid1(VALU_DEP_2)
	v_add_nc_u64_e32 v[10:11], v[10:11], v[0:1]
	s_wait_loadcnt 0x0
	v_sub_nc_u64_e32 v[12:13], v[12:13], v[8:9]
	v_lshlrev_b64_e32 v[14:15], 7, v[10:11]
	s_delay_alu instid0(VALU_DEP_2) | instskip(NEXT) | instid1(VALU_DEP_2)
	v_cmp_lt_i64_e64 s3, v[10:11], v[12:13]
	v_add_nc_u64_e32 v[14:15], s[10:11], v[14:15]
	s_cbranch_scc1 .LBB50_23
; %bb.12:
	v_dual_mov_b32 v23, v1 :: v_dual_mov_b32 v22, v1
	v_dual_mov_b32 v17, v1 :: v_dual_mov_b32 v16, v1
	;; [unrolled: 1-line block ×4, first 2 shown]
	s_and_saveexec_b32 s6, s3
	s_cbranch_execz .LBB50_22
; %bb.13:
	v_dual_mov_b32 v17, v1 :: v_dual_bitop2_b32 v16, 4, v0 bitop3:0x54
	v_sub_nc_u64_e32 v[18:19], v[8:9], v[0:1]
	v_not_b32_e32 v21, v25
	v_not_b32_e32 v20, v24
	v_mov_b64_e32 v[28:29], v[14:15]
	v_sub_nc_u64_e32 v[16:17], v[16:17], v[8:9]
	v_mov_b64_e32 v[26:27], v[10:11]
	s_delay_alu instid0(VALU_DEP_4) | instskip(NEXT) | instid1(VALU_DEP_3)
	v_add_nc_u64_e32 v[18:19], v[18:19], v[20:21]
	v_add_nc_u64_e32 v[16:17], v[16:17], v[24:25]
	s_delay_alu instid0(VALU_DEP_1) | instskip(NEXT) | instid1(VALU_DEP_1)
	v_max_i64 v[16:17], v[16:17], v[12:13]
	v_add_nc_u64_e32 v[30:31], v[18:19], v[16:17]
	s_delay_alu instid0(VALU_DEP_1) | instskip(NEXT) | instid1(VALU_DEP_1)
	v_dual_mov_b32 v19, 0 :: v_dual_bitop2_b32 v18, 12, v30 bitop3:0x40
	v_dual_mov_b32 v21, v19 :: v_dual_mov_b32 v20, v19
	v_dual_mov_b32 v17, v19 :: v_dual_mov_b32 v16, v19
	s_delay_alu instid0(VALU_DEP_3)
	v_cmp_ne_u64_e32 vcc_lo, 12, v[18:19]
	v_dual_mov_b32 v22, v19 :: v_dual_mov_b32 v18, v19
	v_mov_b32_e32 v23, v19
	s_and_saveexec_b32 s7, vcc_lo
	s_cbranch_execz .LBB50_17
; %bb.14:
	v_dual_mov_b32 v19, 0 :: v_dual_lshrrev_b32 v16, 2, v30
	v_mov_b64_e32 v[26:27], v[10:11]
	v_mov_b64_e32 v[28:29], v[14:15]
	v_lshl_add_u64 v[32:33], v[10:11], 3, s[8:9]
	s_delay_alu instid0(VALU_DEP_4) | instskip(SKIP_1) | instid1(VALU_DEP_2)
	v_dual_add_nc_u32 v16, 1, v16 :: v_dual_mov_b32 v20, v19
	v_dual_mov_b32 v17, v19 :: v_dual_mov_b32 v22, v19
	v_dual_mov_b32 v23, v19 :: v_dual_bitop2_b32 v18, 3, v16 bitop3:0x40
	v_dual_mov_b32 v21, v19 :: v_dual_mov_b32 v16, v19
	s_mov_b32 s10, 0
	s_delay_alu instid0(VALU_DEP_2)
	v_sub_nc_u64_e32 v[34:35], 0, v[18:19]
	v_mov_b32_e32 v18, v19
.LBB50_15:                              ; =>This Inner Loop Header: Depth=1
	global_load_b64 v[36:37], v[32:33], off
	v_add_nc_u64_e32 v[34:35], 1, v[34:35]
	v_add_nc_u64_e32 v[26:27], 4, v[26:27]
	s_wait_xcnt 0x0
	v_add_nc_u64_e32 v[32:33], 32, v[32:33]
	s_delay_alu instid0(VALU_DEP_3)
	v_cmp_eq_u64_e32 vcc_lo, 0, v[34:35]
	s_or_b32 s10, vcc_lo, s10
	s_wait_loadcnt 0x0
	v_sub_nc_u64_e32 v[44:45], v[36:37], v[8:9]
	s_clause 0x1
	global_load_b128 v[36:39], v[28:29], off offset:16
	global_load_b128 v[40:43], v[28:29], off
	v_lshlrev_b64_e32 v[56:57], 5, v[44:45]
	s_clause 0x2
	global_load_b128 v[44:47], v[28:29], off offset:48
	global_load_b128 v[48:51], v[28:29], off offset:32
	;; [unrolled: 1-line block ×3, first 2 shown]
	v_add_nc_u64_e32 v[76:77], s[4:5], v[56:57]
	s_clause 0x2
	global_load_b128 v[56:59], v[28:29], off offset:80
	global_load_b128 v[60:63], v[28:29], off offset:112
	;; [unrolled: 1-line block ×3, first 2 shown]
	s_clause 0x1
	global_load_b128 v[68:71], v[76:77], off
	global_load_b128 v[72:75], v[76:77], off offset:16
	s_wait_xcnt 0x2
	v_add_nc_u64_e32 v[28:29], 0x200, v[28:29]
	s_wait_loadcnt 0x9
	v_xor_b32_e32 v78, 0x80000000, v39
	s_wait_loadcnt 0x8
	s_wait_xcnt 0x0
	v_xor_b32_e32 v76, 0x80000000, v43
	v_dual_mov_b32 v77, v42 :: v_dual_mov_b32 v79, v38
	s_wait_loadcnt 0x7
	v_xor_b32_e32 v82, 0x80000000, v47
	s_wait_loadcnt 0x6
	v_xor_b32_e32 v80, 0x80000000, v51
	v_dual_mov_b32 v81, v50 :: v_dual_mov_b32 v83, v46
	s_wait_loadcnt 0x5
	v_xor_b32_e32 v84, 0x80000000, v55
	v_mov_b32_e32 v85, v54
	s_wait_loadcnt 0x4
	v_xor_b32_e32 v86, 0x80000000, v59
	v_mov_b32_e32 v87, v58
	s_wait_loadcnt 0x2
	v_xor_b32_e32 v88, 0x80000000, v67
	s_wait_loadcnt 0x1
	v_pk_fma_f32 v[22:23], v[40:41], v[68:69], v[22:23] op_sel_hi:[1,0,1]
	v_pk_fma_f32 v[18:19], v[48:49], v[68:69], v[18:19] op_sel_hi:[1,0,1]
	;; [unrolled: 1-line block ×4, first 2 shown]
	v_mov_b32_e32 v89, v66
	v_pk_fma_f32 v[22:23], v[40:41], v[68:69], v[22:23] op_sel:[1,1,0] op_sel_hi:[0,1,1] neg_lo:[1,0,0]
	v_pk_fma_f32 v[18:19], v[48:49], v[68:69], v[18:19] op_sel:[1,1,0] op_sel_hi:[0,1,1] neg_lo:[1,0,0]
	;; [unrolled: 1-line block ×4, first 2 shown]
	v_mov_b32_e32 v40, v71
	v_pk_fma_f32 v[22:23], v[42:43], v[70:71], v[22:23] op_sel_hi:[1,0,1]
	v_pk_fma_f32 v[18:19], v[50:51], v[70:71], v[18:19] op_sel_hi:[1,0,1]
	;; [unrolled: 1-line block ×4, first 2 shown]
	s_delay_alu instid0(VALU_DEP_4) | instskip(NEXT) | instid1(VALU_DEP_4)
	v_pk_fma_f32 v[22:23], v[76:77], v[40:41], v[22:23] op_sel_hi:[1,0,1]
	v_pk_fma_f32 v[18:19], v[80:81], v[40:41], v[18:19] op_sel_hi:[1,0,1]
	s_delay_alu instid0(VALU_DEP_4) | instskip(NEXT) | instid1(VALU_DEP_4)
	v_pk_fma_f32 v[20:21], v[84:85], v[40:41], v[20:21] op_sel_hi:[1,0,1]
	v_pk_fma_f32 v[16:17], v[88:89], v[40:41], v[16:17] op_sel_hi:[1,0,1]
	v_xor_b32_e32 v40, 0x80000000, v63
	s_wait_loadcnt 0x0
	v_pk_fma_f32 v[22:23], v[36:37], v[72:73], v[22:23] op_sel_hi:[1,0,1]
	v_pk_fma_f32 v[18:19], v[44:45], v[72:73], v[18:19] op_sel_hi:[1,0,1]
	;; [unrolled: 1-line block ×4, first 2 shown]
	v_mov_b32_e32 v41, v62
	v_pk_fma_f32 v[22:23], v[36:37], v[72:73], v[22:23] op_sel:[1,1,0] op_sel_hi:[0,1,1] neg_lo:[1,0,0]
	v_pk_fma_f32 v[18:19], v[44:45], v[72:73], v[18:19] op_sel:[1,1,0] op_sel_hi:[0,1,1] neg_lo:[1,0,0]
	;; [unrolled: 1-line block ×4, first 2 shown]
	v_mov_b32_e32 v36, v75
	v_pk_fma_f32 v[22:23], v[38:39], v[74:75], v[22:23] op_sel_hi:[1,0,1]
	v_pk_fma_f32 v[18:19], v[46:47], v[74:75], v[18:19] op_sel_hi:[1,0,1]
	v_pk_fma_f32 v[20:21], v[58:59], v[74:75], v[20:21] op_sel_hi:[1,0,1]
	v_pk_fma_f32 v[16:17], v[62:63], v[74:75], v[16:17] op_sel_hi:[1,0,1]
	s_delay_alu instid0(VALU_DEP_4) | instskip(NEXT) | instid1(VALU_DEP_4)
	v_pk_fma_f32 v[22:23], v[78:79], v[36:37], v[22:23] op_sel_hi:[1,0,1]
	v_pk_fma_f32 v[18:19], v[82:83], v[36:37], v[18:19] op_sel_hi:[1,0,1]
	s_delay_alu instid0(VALU_DEP_4) | instskip(NEXT) | instid1(VALU_DEP_4)
	v_pk_fma_f32 v[20:21], v[86:87], v[36:37], v[20:21] op_sel_hi:[1,0,1]
	v_pk_fma_f32 v[16:17], v[40:41], v[36:37], v[16:17] op_sel_hi:[1,0,1]
	s_and_not1_b32 exec_lo, exec_lo, s10
	s_cbranch_execnz .LBB50_15
; %bb.16:
	s_or_b32 exec_lo, exec_lo, s10
.LBB50_17:
	s_delay_alu instid0(SALU_CYCLE_1) | instskip(NEXT) | instid1(SALU_CYCLE_1)
	s_or_b32 exec_lo, exec_lo, s7
	s_mov_b32 s7, exec_lo
	v_cmpx_lt_u64_e32 11, v[30:31]
	s_cbranch_execz .LBB50_21
; %bb.18:
	v_lshl_add_u64 v[30:31], v[26:27], 3, s[8:9]
	s_mov_b32 s10, 0
	s_delay_alu instid0(VALU_DEP_1)
	v_add_nc_u64_e32 v[30:31], 64, v[30:31]
.LBB50_19:                              ; =>This Inner Loop Header: Depth=1
	global_load_b64 v[136:137], v[30:31], off offset:-64
	s_clause 0x11
	global_load_b128 v[32:35], v[28:29], off
	global_load_b128 v[36:39], v[28:29], off offset:16
	global_load_b128 v[40:43], v[28:29], off offset:48
	;; [unrolled: 1-line block ×17, first 2 shown]
	s_clause 0x2
	global_load_b64 v[144:145], v[30:31], off offset:-32
	global_load_b64 v[146:147], v[30:31], off
	global_load_b64 v[148:149], v[30:31], off offset:32
	s_clause 0x7
	global_load_b128 v[104:107], v[28:29], off offset:1040
	global_load_b128 v[108:111], v[28:29], off offset:1024
	global_load_b128 v[112:115], v[28:29], off offset:1136
	global_load_b128 v[116:119], v[28:29], off offset:1120
	global_load_b128 v[120:123], v[28:29], off offset:1104
	global_load_b128 v[124:127], v[28:29], off offset:1088
	global_load_b128 v[128:131], v[28:29], off offset:1584
	global_load_b128 v[132:135], v[28:29], off offset:1568
	v_add_nc_u64_e32 v[26:27], 16, v[26:27]
	s_wait_xcnt 0x8
	v_add_nc_u64_e32 v[30:31], 0x80, v[30:31]
	s_delay_alu instid0(VALU_DEP_2)
	v_cmp_ge_i64_e32 vcc_lo, v[26:27], v[12:13]
	s_or_b32 s10, vcc_lo, s10
	s_wait_loadcnt 0x1d
	v_sub_nc_u64_e32 v[136:137], v[136:137], v[8:9]
	s_wait_loadcnt 0x1c
	v_xor_b32_e32 v150, 0x80000000, v35
	v_mov_b32_e32 v151, v34
	s_delay_alu instid0(VALU_DEP_3) | instskip(SKIP_3) | instid1(VALU_DEP_3)
	v_lshlrev_b64_e32 v[136:137], 5, v[136:137]
	s_wait_loadcnt 0x11
	v_xor_b32_e32 v156, 0x80000000, v79
	v_mov_b32_e32 v157, v78
	v_add_nc_u64_e32 v[152:153], s[4:5], v[136:137]
	s_clause 0x1
	global_load_b128 v[136:139], v[152:153], off
	global_load_b128 v[140:143], v[152:153], off offset:16
	s_wait_xcnt 0x0
	v_xor_b32_e32 v152, 0x80000000, v47
	v_mov_b32_e32 v153, v46
	s_wait_loadcnt 0x1
	v_pk_fma_f32 v[18:19], v[44:45], v[136:137], v[18:19] op_sel_hi:[1,0,1]
	v_pk_fma_f32 v[22:23], v[32:33], v[136:137], v[22:23] op_sel_hi:[1,0,1]
	;; [unrolled: 1-line block ×3, first 2 shown]
	s_delay_alu instid0(VALU_DEP_3) | instskip(NEXT) | instid1(VALU_DEP_3)
	v_pk_fma_f32 v[18:19], v[44:45], v[136:137], v[18:19] op_sel:[1,1,0] op_sel_hi:[0,1,1] neg_lo:[1,0,0]
	v_pk_fma_f32 v[22:23], v[32:33], v[136:137], v[22:23] op_sel:[1,1,0] op_sel_hi:[0,1,1] neg_lo:[1,0,0]
	s_delay_alu instid0(VALU_DEP_3) | instskip(NEXT) | instid1(VALU_DEP_3)
	v_pk_fma_f32 v[16:17], v[68:69], v[136:137], v[16:17] op_sel:[1,1,0] op_sel_hi:[0,1,1] neg_lo:[1,0,0]
	v_pk_fma_f32 v[154:155], v[46:47], v[138:139], v[18:19] op_sel_hi:[1,0,1]
	v_pk_fma_f32 v[18:19], v[76:77], v[136:137], v[20:21] op_sel_hi:[1,0,1]
	s_delay_alu instid0(VALU_DEP_4) | instskip(NEXT) | instid1(VALU_DEP_4)
	v_pk_fma_f32 v[22:23], v[34:35], v[138:139], v[22:23] op_sel_hi:[1,0,1]
	v_pk_fma_f32 v[16:17], v[70:71], v[138:139], v[16:17] op_sel_hi:[1,0,1]
	s_clause 0x1
	global_load_b128 v[32:35], v[28:29], off offset:1552
	global_load_b128 v[44:47], v[28:29], off offset:1600
	v_pk_fma_f32 v[18:19], v[76:77], v[136:137], v[18:19] op_sel:[1,1,0] op_sel_hi:[0,1,1] neg_lo:[1,0,0]
	v_mov_b32_e32 v136, v139
	s_delay_alu instid0(VALU_DEP_2) | instskip(SKIP_1) | instid1(VALU_DEP_3)
	v_pk_fma_f32 v[76:77], v[78:79], v[138:139], v[18:19] op_sel_hi:[1,0,1]
	v_mov_b32_e32 v79, v70
	v_pk_fma_f32 v[22:23], v[150:151], v[136:137], v[22:23] op_sel_hi:[1,0,1]
	v_mov_b32_e32 v151, v38
	v_pk_fma_f32 v[138:139], v[152:153], v[136:137], v[154:155] op_sel_hi:[1,0,1]
	v_pk_fma_f32 v[152:153], v[156:157], v[136:137], v[76:77] op_sel_hi:[1,0,1]
	v_sub_nc_u64_e32 v[76:77], v[144:145], v[8:9]
	v_sub_nc_u64_e32 v[144:145], v[146:147], v[8:9]
	v_xor_b32_e32 v78, 0x80000000, v71
	s_wait_loadcnt 0x2
	v_pk_fma_f32 v[22:23], v[36:37], v[140:141], v[22:23] op_sel_hi:[1,0,1]
	s_clause 0x1
	global_load_b128 v[18:21], v[28:29], off offset:1536
	global_load_b128 v[68:71], v[28:29], off offset:1632
	v_xor_b32_e32 v150, 0x80000000, v39
	v_lshlrev_b64_e32 v[76:77], 5, v[76:77]
	v_pk_fma_f32 v[16:17], v[78:79], v[136:137], v[16:17] op_sel_hi:[1,0,1]
	v_lshlrev_b64_e32 v[78:79], 5, v[144:145]
	v_pk_fma_f32 v[22:23], v[36:37], v[140:141], v[22:23] op_sel:[1,1,0] op_sel_hi:[0,1,1] neg_lo:[1,0,0]
	v_sub_nc_u64_e32 v[136:137], v[148:149], v[8:9]
	v_pk_fma_f32 v[138:139], v[40:41], v[140:141], v[138:139] op_sel_hi:[1,0,1]
	v_xor_b32_e32 v154, 0x80000000, v43
	v_add_nc_u64_e32 v[144:145], s[4:5], v[76:77]
	v_pk_fma_f32 v[22:23], v[38:39], v[142:143], v[22:23] op_sel_hi:[1,0,1]
	v_add_nc_u64_e32 v[148:149], s[4:5], v[78:79]
	v_pk_fma_f32 v[40:41], v[40:41], v[140:141], v[138:139] op_sel:[1,1,0] op_sel_hi:[0,1,1] neg_lo:[1,0,0]
	v_dual_mov_b32 v155, v42 :: v_dual_mov_b32 v147, v74
	s_clause 0x1
	global_load_b128 v[36:39], v[144:145], off
	global_load_b128 v[76:79], v[144:145], off offset:16
	s_wait_xcnt 0x0
	v_pk_fma_f32 v[144:145], v[42:43], v[142:143], v[40:41] op_sel_hi:[1,0,1]
	global_load_b128 v[40:43], v[148:149], off
	v_pk_fma_f32 v[138:139], v[72:73], v[140:141], v[152:153] op_sel_hi:[1,0,1]
	v_xor_b32_e32 v146, 0x80000000, v75
	v_pk_fma_f32 v[16:17], v[64:65], v[140:141], v[16:17] op_sel_hi:[1,0,1]
	v_xor_b32_e32 v156, 0x80000000, v67
	v_mov_b32_e32 v157, v66
	v_pk_fma_f32 v[72:73], v[72:73], v[140:141], v[138:139] op_sel:[1,1,0] op_sel_hi:[0,1,1] neg_lo:[1,0,0]
	s_delay_alu instid0(VALU_DEP_4) | instskip(NEXT) | instid1(VALU_DEP_2)
	v_pk_fma_f32 v[16:17], v[64:65], v[140:141], v[16:17] op_sel:[1,1,0] op_sel_hi:[0,1,1] neg_lo:[1,0,0]
	v_pk_fma_f32 v[152:153], v[74:75], v[142:143], v[72:73] op_sel_hi:[1,0,1]
	v_lshlrev_b64_e32 v[72:73], 5, v[136:137]
	s_delay_alu instid0(VALU_DEP_3)
	v_pk_fma_f32 v[16:17], v[66:67], v[142:143], v[16:17] op_sel_hi:[1,0,1]
	global_load_b128 v[136:139], v[28:29], off offset:1616
	v_add_nc_u64_e32 v[158:159], s[4:5], v[72:73]
	global_load_b128 v[72:75], v[148:149], off offset:16
	s_wait_xcnt 0x0
	v_mov_b32_e32 v148, v143
	global_load_b128 v[140:143], v[28:29], off offset:1648
	s_wait_xcnt 0x0
	v_add_nc_u64_e32 v[28:29], 0x800, v[28:29]
	global_load_b128 v[64:67], v[158:159], off
	v_pk_fma_f32 v[22:23], v[150:151], v[148:149], v[22:23] op_sel_hi:[1,0,1]
	v_pk_fma_f32 v[150:151], v[154:155], v[148:149], v[144:145] op_sel_hi:[1,0,1]
	;; [unrolled: 1-line block ×3, first 2 shown]
	global_load_b128 v[144:147], v[158:159], off offset:16
	v_pk_fma_f32 v[16:17], v[156:157], v[148:149], v[16:17] op_sel_hi:[1,0,1]
	v_xor_b32_e32 v148, 0x80000000, v63
	v_mov_b32_e32 v149, v62
	s_wait_loadcnt 0x7
	v_pk_fma_f32 v[22:23], v[60:61], v[36:37], v[22:23] op_sel_hi:[1,0,1]
	v_pk_fma_f32 v[150:151], v[52:53], v[36:37], v[150:151] op_sel_hi:[1,0,1]
	;; [unrolled: 1-line block ×4, first 2 shown]
	s_delay_alu instid0(VALU_DEP_4) | instskip(NEXT) | instid1(VALU_DEP_4)
	v_pk_fma_f32 v[22:23], v[60:61], v[36:37], v[22:23] op_sel:[1,1,0] op_sel_hi:[0,1,1] neg_lo:[1,0,0]
	v_pk_fma_f32 v[52:53], v[52:53], v[36:37], v[150:151] op_sel:[1,1,0] op_sel_hi:[0,1,1] neg_lo:[1,0,0]
	s_delay_alu instid0(VALU_DEP_4) | instskip(NEXT) | instid1(VALU_DEP_4)
	v_pk_fma_f32 v[92:93], v[92:93], v[36:37], v[152:153] op_sel:[1,1,0] op_sel_hi:[0,1,1] neg_lo:[1,0,0]
	v_pk_fma_f32 v[16:17], v[84:85], v[36:37], v[16:17] op_sel:[1,1,0] op_sel_hi:[0,1,1] neg_lo:[1,0,0]
	v_xor_b32_e32 v60, 0x80000000, v55
	v_pk_fma_f32 v[22:23], v[62:63], v[38:39], v[22:23] op_sel_hi:[1,0,1]
	v_mov_b32_e32 v61, v54
	v_xor_b32_e32 v62, 0x80000000, v95
	v_mov_b32_e32 v63, v94
	v_pk_fma_f32 v[52:53], v[54:55], v[38:39], v[52:53] op_sel_hi:[1,0,1]
	v_xor_b32_e32 v54, 0x80000000, v87
	v_mov_b32_e32 v55, v86
	v_pk_fma_f32 v[92:93], v[94:95], v[38:39], v[92:93] op_sel_hi:[1,0,1]
	v_pk_fma_f32 v[16:17], v[86:87], v[38:39], v[16:17] op_sel_hi:[1,0,1]
	v_dual_mov_b32 v85, v110 :: v_dual_mov_b32 v38, v39
	v_xor_b32_e32 v150, 0x80000000, v59
	v_dual_mov_b32 v151, v58 :: v_dual_mov_b32 v95, v50
	v_xor_b32_e32 v94, 0x80000000, v51
	s_delay_alu instid0(VALU_DEP_4)
	v_pk_fma_f32 v[22:23], v[148:149], v[38:39], v[22:23] op_sel_hi:[1,0,1]
	v_pk_fma_f32 v[52:53], v[60:61], v[38:39], v[52:53] op_sel_hi:[1,0,1]
	;; [unrolled: 1-line block ×4, first 2 shown]
	v_xor_b32_e32 v152, 0x80000000, v91
	s_wait_loadcnt 0x6
	v_pk_fma_f32 v[22:23], v[56:57], v[76:77], v[22:23] op_sel_hi:[1,0,1]
	v_pk_fma_f32 v[52:53], v[48:49], v[76:77], v[52:53] op_sel_hi:[1,0,1]
	;; [unrolled: 1-line block ×4, first 2 shown]
	v_dual_mov_b32 v153, v90 :: v_dual_mov_b32 v37, v82
	v_pk_fma_f32 v[22:23], v[56:57], v[76:77], v[22:23] op_sel:[1,1,0] op_sel_hi:[0,1,1] neg_lo:[1,0,0]
	v_pk_fma_f32 v[48:49], v[48:49], v[76:77], v[52:53] op_sel:[1,1,0] op_sel_hi:[0,1,1] neg_lo:[1,0,0]
	;; [unrolled: 1-line block ×4, first 2 shown]
	v_xor_b32_e32 v36, 0x80000000, v83
	v_pk_fma_f32 v[22:23], v[58:59], v[78:79], v[22:23] op_sel_hi:[1,0,1]
	v_pk_fma_f32 v[48:49], v[50:51], v[78:79], v[48:49] op_sel_hi:[1,0,1]
	v_dual_mov_b32 v51, v130 :: v_dual_mov_b32 v62, v79
	v_pk_fma_f32 v[52:53], v[90:91], v[78:79], v[52:53] op_sel_hi:[1,0,1]
	v_pk_fma_f32 v[16:17], v[82:83], v[78:79], v[16:17] op_sel_hi:[1,0,1]
	v_xor_b32_e32 v84, 0x80000000, v111
	v_xor_b32_e32 v86, 0x80000000, v103
	v_pk_fma_f32 v[22:23], v[150:151], v[62:63], v[22:23] op_sel_hi:[1,0,1]
	v_pk_fma_f32 v[48:49], v[94:95], v[62:63], v[48:49] op_sel_hi:[1,0,1]
	;; [unrolled: 1-line block ×4, first 2 shown]
	v_dual_mov_b32 v87, v102 :: v_dual_mov_b32 v149, v126
	s_wait_loadcnt 0x5
	v_pk_fma_f32 v[22:23], v[108:109], v[40:41], v[22:23] op_sel_hi:[1,0,1]
	v_pk_fma_f32 v[36:37], v[100:101], v[40:41], v[48:49] op_sel_hi:[1,0,1]
	;; [unrolled: 1-line block ×4, first 2 shown]
	v_xor_b32_e32 v148, 0x80000000, v127
	v_pk_fma_f32 v[22:23], v[108:109], v[40:41], v[22:23] op_sel:[1,1,0] op_sel_hi:[0,1,1] neg_lo:[1,0,0]
	v_pk_fma_f32 v[36:37], v[100:101], v[40:41], v[36:37] op_sel:[1,1,0] op_sel_hi:[0,1,1] neg_lo:[1,0,0]
	v_pk_fma_f32 v[48:49], v[124:125], v[40:41], v[48:49] op_sel:[1,1,0] op_sel_hi:[0,1,1] neg_lo:[1,0,0]
	v_pk_fma_f32 v[16:17], v[116:117], v[40:41], v[16:17] op_sel:[1,1,0] op_sel_hi:[0,1,1] neg_lo:[1,0,0]
	v_xor_b32_e32 v60, 0x80000000, v119
	v_dual_mov_b32 v61, v118 :: v_dual_mov_b32 v93, v106
	v_dual_mov_b32 v77, v122 :: v_dual_mov_b32 v40, v43
	v_pk_fma_f32 v[22:23], v[110:111], v[42:43], v[22:23] op_sel_hi:[1,0,1]
	v_pk_fma_f32 v[36:37], v[102:103], v[42:43], v[36:37] op_sel_hi:[1,0,1]
	v_pk_fma_f32 v[48:49], v[126:127], v[42:43], v[48:49] op_sel_hi:[1,0,1]
	v_pk_fma_f32 v[16:17], v[118:119], v[42:43], v[16:17] op_sel_hi:[1,0,1]
	v_xor_b32_e32 v92, 0x80000000, v107
	v_pk_fma_f32 v[22:23], v[84:85], v[40:41], v[22:23] op_sel_hi:[1,0,1]
	v_pk_fma_f32 v[36:37], v[86:87], v[40:41], v[36:37] op_sel_hi:[1,0,1]
	;; [unrolled: 1-line block ×4, first 2 shown]
	v_xor_b32_e32 v56, 0x80000000, v99
	s_wait_loadcnt 0x3
	v_pk_fma_f32 v[22:23], v[104:105], v[72:73], v[22:23] op_sel_hi:[1,0,1]
	v_pk_fma_f32 v[36:37], v[96:97], v[72:73], v[36:37] op_sel_hi:[1,0,1]
	;; [unrolled: 1-line block ×4, first 2 shown]
	v_dual_mov_b32 v57, v98 :: v_dual_mov_b32 v59, v134
	v_pk_fma_f32 v[22:23], v[104:105], v[72:73], v[22:23] op_sel:[1,1,0] op_sel_hi:[0,1,1] neg_lo:[1,0,0]
	v_pk_fma_f32 v[36:37], v[96:97], v[72:73], v[36:37] op_sel:[1,1,0] op_sel_hi:[0,1,1] neg_lo:[1,0,0]
	;; [unrolled: 1-line block ×4, first 2 shown]
	v_xor_b32_e32 v76, 0x80000000, v123
	v_dual_mov_b32 v53, v46 :: v_dual_mov_b32 v41, v114
	v_xor_b32_e32 v40, 0x80000000, v115
	v_mov_b32_e32 v48, v75
	v_pk_fma_f32 v[22:23], v[106:107], v[74:75], v[22:23] op_sel_hi:[1,0,1]
	v_pk_fma_f32 v[36:37], v[98:99], v[74:75], v[36:37] op_sel_hi:[1,0,1]
	;; [unrolled: 1-line block ×4, first 2 shown]
	v_xor_b32_e32 v38, 0x80000000, v21
	v_dual_mov_b32 v39, v20 :: v_dual_mov_b32 v55, v34
	v_xor_b32_e32 v58, 0x80000000, v135
	s_delay_alu instid0(VALU_DEP_4)
	v_pk_fma_f32 v[16:17], v[40:41], v[48:49], v[16:17] op_sel_hi:[1,0,1]
	v_mov_b32_e32 v41, v70
	v_pk_fma_f32 v[22:23], v[92:93], v[48:49], v[22:23] op_sel_hi:[1,0,1]
	v_pk_fma_f32 v[36:37], v[56:57], v[48:49], v[36:37] op_sel_hi:[1,0,1]
	;; [unrolled: 1-line block ×3, first 2 shown]
	s_wait_loadcnt 0x1
	v_pk_fma_f32 v[16:17], v[68:69], v[64:65], v[16:17] op_sel_hi:[1,0,1]
	v_xor_b32_e32 v52, 0x80000000, v47
	v_pk_fma_f32 v[22:23], v[18:19], v[64:65], v[22:23] op_sel_hi:[1,0,1]
	v_pk_fma_f32 v[36:37], v[132:133], v[64:65], v[36:37] op_sel_hi:[1,0,1]
	;; [unrolled: 1-line block ×3, first 2 shown]
	v_pk_fma_f32 v[16:17], v[68:69], v[64:65], v[16:17] op_sel:[1,1,0] op_sel_hi:[0,1,1] neg_lo:[1,0,0]
	v_xor_b32_e32 v40, 0x80000000, v71
	v_pk_fma_f32 v[18:19], v[18:19], v[64:65], v[22:23] op_sel:[1,1,0] op_sel_hi:[0,1,1] neg_lo:[1,0,0]
	v_pk_fma_f32 v[22:23], v[132:133], v[64:65], v[36:37] op_sel:[1,1,0] op_sel_hi:[0,1,1] neg_lo:[1,0,0]
	;; [unrolled: 1-line block ×3, first 2 shown]
	v_dual_mov_b32 v42, v67 :: v_dual_mov_b32 v61, v138
	s_delay_alu instid0(VALU_DEP_4) | instskip(NEXT) | instid1(VALU_DEP_4)
	v_pk_fma_f32 v[18:19], v[20:21], v[66:67], v[18:19] op_sel_hi:[1,0,1]
	v_pk_fma_f32 v[20:21], v[134:135], v[66:67], v[22:23] op_sel_hi:[1,0,1]
	s_delay_alu instid0(VALU_DEP_4)
	v_pk_fma_f32 v[22:23], v[46:47], v[66:67], v[36:37] op_sel_hi:[1,0,1]
	v_pk_fma_f32 v[16:17], v[70:71], v[66:67], v[16:17] op_sel_hi:[1,0,1]
	v_xor_b32_e32 v54, 0x80000000, v35
	v_pk_fma_f32 v[18:19], v[38:39], v[42:43], v[18:19] op_sel_hi:[1,0,1]
	v_pk_fma_f32 v[20:21], v[58:59], v[42:43], v[20:21] op_sel_hi:[1,0,1]
	;; [unrolled: 1-line block ×4, first 2 shown]
	v_xor_b32_e32 v50, 0x80000000, v131
	s_wait_loadcnt 0x0
	v_pk_fma_f32 v[18:19], v[32:33], v[144:145], v[18:19] op_sel_hi:[1,0,1]
	v_pk_fma_f32 v[20:21], v[128:129], v[144:145], v[20:21] op_sel_hi:[1,0,1]
	;; [unrolled: 1-line block ×4, first 2 shown]
	v_xor_b32_e32 v60, 0x80000000, v139
	v_pk_fma_f32 v[18:19], v[32:33], v[144:145], v[18:19] op_sel:[1,1,0] op_sel_hi:[0,1,1] neg_lo:[1,0,0]
	v_pk_fma_f32 v[20:21], v[128:129], v[144:145], v[20:21] op_sel:[1,1,0] op_sel_hi:[0,1,1] neg_lo:[1,0,0]
	v_pk_fma_f32 v[22:23], v[136:137], v[144:145], v[22:23] op_sel:[1,1,0] op_sel_hi:[0,1,1] neg_lo:[1,0,0]
	v_pk_fma_f32 v[16:17], v[140:141], v[144:145], v[16:17] op_sel:[1,1,0] op_sel_hi:[0,1,1] neg_lo:[1,0,0]
	v_xor_b32_e32 v36, 0x80000000, v143
	v_dual_mov_b32 v37, v142 :: v_dual_mov_b32 v32, v147
	v_pk_fma_f32 v[18:19], v[34:35], v[146:147], v[18:19] op_sel_hi:[1,0,1]
	v_pk_fma_f32 v[20:21], v[130:131], v[146:147], v[20:21] op_sel_hi:[1,0,1]
	;; [unrolled: 1-line block ×4, first 2 shown]
	s_delay_alu instid0(VALU_DEP_4) | instskip(NEXT) | instid1(VALU_DEP_4)
	v_pk_fma_f32 v[22:23], v[54:55], v[32:33], v[18:19] op_sel_hi:[1,0,1]
	v_pk_fma_f32 v[18:19], v[50:51], v[32:33], v[20:21] op_sel_hi:[1,0,1]
	s_delay_alu instid0(VALU_DEP_4) | instskip(NEXT) | instid1(VALU_DEP_4)
	v_pk_fma_f32 v[20:21], v[60:61], v[32:33], v[34:35] op_sel_hi:[1,0,1]
	v_pk_fma_f32 v[16:17], v[36:37], v[32:33], v[16:17] op_sel_hi:[1,0,1]
	s_and_not1_b32 exec_lo, exec_lo, s10
	s_cbranch_execnz .LBB50_19
; %bb.20:
	s_or_b32 exec_lo, exec_lo, s10
.LBB50_21:
	s_delay_alu instid0(SALU_CYCLE_1)
	s_or_b32 exec_lo, exec_lo, s7
.LBB50_22:
	s_delay_alu instid0(SALU_CYCLE_1)
	s_or_b32 exec_lo, exec_lo, s6
	s_cbranch_execz .LBB50_24
	s_branch .LBB50_35
.LBB50_23:
                                        ; implicit-def: $vgpr23
                                        ; implicit-def: $vgpr17
                                        ; implicit-def: $vgpr21
                                        ; implicit-def: $vgpr19
.LBB50_24:
	v_dual_mov_b32 v23, 0 :: v_dual_mov_b32 v22, 0
	v_dual_mov_b32 v17, 0 :: v_dual_mov_b32 v16, 0
	;; [unrolled: 1-line block ×4, first 2 shown]
	s_and_saveexec_b32 s6, s3
	s_cbranch_execz .LBB50_34
; %bb.25:
	v_dual_mov_b32 v17, v1 :: v_dual_bitop2_b32 v16, 4, v0 bitop3:0x54
	v_sub_nc_u64_e32 v[18:19], v[8:9], v[0:1]
	v_not_b32_e32 v21, v25
	v_not_b32_e32 v20, v24
	s_delay_alu instid0(VALU_DEP_4) | instskip(NEXT) | instid1(VALU_DEP_2)
	v_sub_nc_u64_e32 v[16:17], v[16:17], v[8:9]
	v_add_nc_u64_e32 v[18:19], v[18:19], v[20:21]
	s_delay_alu instid0(VALU_DEP_2) | instskip(NEXT) | instid1(VALU_DEP_1)
	v_add_nc_u64_e32 v[16:17], v[16:17], v[24:25]
	v_max_i64 v[16:17], v[16:17], v[12:13]
	s_delay_alu instid0(VALU_DEP_1) | instskip(NEXT) | instid1(VALU_DEP_1)
	v_add_nc_u64_e32 v[24:25], v[18:19], v[16:17]
	v_dual_mov_b32 v19, 0 :: v_dual_bitop2_b32 v18, 12, v24 bitop3:0x40
	s_delay_alu instid0(VALU_DEP_1) | instskip(SKIP_2) | instid1(VALU_DEP_4)
	v_dual_mov_b32 v21, v19 :: v_dual_mov_b32 v20, v19
	v_dual_mov_b32 v17, v19 :: v_dual_mov_b32 v16, v19
	v_mov_b32_e32 v22, v19
	v_cmp_ne_u64_e32 vcc_lo, 12, v[18:19]
	v_dual_mov_b32 v18, v19 :: v_dual_mov_b32 v23, v19
	s_and_saveexec_b32 s3, vcc_lo
	s_cbranch_execz .LBB50_29
; %bb.26:
	v_dual_lshrrev_b32 v1, 2, v24 :: v_dual_mov_b32 v19, 0
	v_lshl_add_u64 v[26:27], v[10:11], 3, s[8:9]
	s_mov_b32 s7, 0
	s_delay_alu instid0(VALU_DEP_2) | instskip(SKIP_1) | instid1(VALU_DEP_2)
	v_dual_mov_b32 v20, v19 :: v_dual_add_nc_u32 v1, 1, v1
	v_dual_mov_b32 v16, v19 :: v_dual_mov_b32 v17, v19
	v_dual_mov_b32 v22, v19 :: v_dual_bitop2_b32 v18, 3, v1 bitop3:0x40
	v_dual_mov_b32 v21, v19 :: v_dual_mov_b32 v23, v19
	s_delay_alu instid0(VALU_DEP_2)
	v_sub_nc_u64_e32 v[28:29], 0, v[18:19]
	v_mov_b32_e32 v18, v19
.LBB50_27:                              ; =>This Inner Loop Header: Depth=1
	global_load_b64 v[30:31], v[26:27], off
	v_add_nc_u64_e32 v[28:29], 1, v[28:29]
	v_add_nc_u64_e32 v[10:11], 4, v[10:11]
	s_wait_xcnt 0x0
	v_add_nc_u64_e32 v[26:27], 32, v[26:27]
	s_delay_alu instid0(VALU_DEP_3)
	v_cmp_eq_u64_e32 vcc_lo, 0, v[28:29]
	s_or_b32 s7, vcc_lo, s7
	s_wait_loadcnt 0x0
	v_sub_nc_u64_e32 v[34:35], v[30:31], v[8:9]
	global_load_b128 v[30:33], v[14:15], off
	v_lshlrev_b64_e32 v[46:47], 5, v[34:35]
	s_clause 0x2
	global_load_b128 v[34:37], v[14:15], off offset:32
	global_load_b128 v[38:41], v[14:15], off offset:96
	global_load_b128 v[42:45], v[14:15], off offset:64
	v_add_nc_u64_e32 v[70:71], s[4:5], v[46:47]
	s_clause 0x1
	global_load_b128 v[46:49], v[14:15], off offset:16
	global_load_b128 v[50:53], v[14:15], off offset:48
	s_clause 0x1
	global_load_b128 v[54:57], v[70:71], off
	global_load_b128 v[58:61], v[70:71], off offset:16
	s_clause 0x1
	global_load_b128 v[62:65], v[14:15], off offset:80
	global_load_b128 v[66:69], v[14:15], off offset:112
	s_wait_xcnt 0x0
	v_add_nc_u64_e32 v[14:15], 0x200, v[14:15]
	s_wait_loadcnt 0x9
	v_xor_b32_e32 v70, 0x80000000, v33
	s_wait_loadcnt 0x8
	v_dual_mov_b32 v71, v32 :: v_dual_mov_b32 v73, v36
	v_xor_b32_e32 v72, 0x80000000, v37
	s_wait_loadcnt 0x6
	v_xor_b32_e32 v74, 0x80000000, v45
	v_dual_mov_b32 v75, v44 :: v_dual_mov_b32 v77, v40
	v_xor_b32_e32 v76, 0x80000000, v41
	s_wait_loadcnt 0x5
	v_xor_b32_e32 v78, 0x80000000, v49
	s_wait_loadcnt 0x4
	v_dual_mov_b32 v79, v48 :: v_dual_mov_b32 v81, v52
	s_wait_loadcnt 0x3
	v_pk_fma_f32 v[22:23], v[30:31], v[54:55], v[22:23] op_sel_hi:[1,0,1]
	v_pk_fma_f32 v[18:19], v[32:33], v[54:55], v[18:19] op_sel_hi:[1,0,1]
	v_pk_fma_f32 v[20:21], v[46:47], v[54:55], v[20:21] op_sel_hi:[1,0,1]
	v_pk_fma_f32 v[16:17], v[48:49], v[54:55], v[16:17] op_sel_hi:[1,0,1]
	v_xor_b32_e32 v80, 0x80000000, v53
	v_pk_fma_f32 v[22:23], v[30:31], v[54:55], v[22:23] op_sel:[1,1,0] op_sel_hi:[0,1,1] neg_lo:[1,0,0]
	v_pk_fma_f32 v[18:19], v[70:71], v[54:55], v[18:19] op_sel:[0,1,0]
	v_pk_fma_f32 v[20:21], v[46:47], v[54:55], v[20:21] op_sel:[1,1,0] op_sel_hi:[0,1,1] neg_lo:[1,0,0]
	v_pk_fma_f32 v[16:17], v[78:79], v[54:55], v[16:17] op_sel:[0,1,0]
	s_wait_loadcnt 0x1
	v_dual_mov_b32 v30, v57 :: v_dual_mov_b32 v33, v64
	v_pk_fma_f32 v[22:23], v[34:35], v[56:57], v[22:23] op_sel_hi:[1,0,1]
	v_pk_fma_f32 v[18:19], v[36:37], v[56:57], v[18:19] op_sel_hi:[1,0,1]
	;; [unrolled: 1-line block ×4, first 2 shown]
	v_xor_b32_e32 v32, 0x80000000, v65
	v_pk_fma_f32 v[22:23], v[34:35], v[30:31], v[22:23] op_sel:[1,0,0] op_sel_hi:[0,0,1] neg_lo:[1,0,0]
	v_pk_fma_f32 v[18:19], v[72:73], v[30:31], v[18:19] op_sel_hi:[1,0,1]
	v_pk_fma_f32 v[20:21], v[50:51], v[30:31], v[20:21] op_sel:[1,0,0] op_sel_hi:[0,0,1] neg_lo:[1,0,0]
	v_pk_fma_f32 v[16:17], v[80:81], v[30:31], v[16:17] op_sel_hi:[1,0,1]
	s_wait_loadcnt 0x0
	v_xor_b32_e32 v30, 0x80000000, v69
	v_pk_fma_f32 v[22:23], v[42:43], v[58:59], v[22:23] op_sel_hi:[1,0,1]
	v_pk_fma_f32 v[18:19], v[44:45], v[58:59], v[18:19] op_sel_hi:[1,0,1]
	;; [unrolled: 1-line block ×4, first 2 shown]
	v_mov_b32_e32 v31, v68
	v_pk_fma_f32 v[22:23], v[42:43], v[58:59], v[22:23] op_sel:[1,1,0] op_sel_hi:[0,1,1] neg_lo:[1,0,0]
	v_pk_fma_f32 v[18:19], v[74:75], v[58:59], v[18:19] op_sel:[0,1,0]
	v_pk_fma_f32 v[20:21], v[62:63], v[58:59], v[20:21] op_sel:[1,1,0] op_sel_hi:[0,1,1] neg_lo:[1,0,0]
	v_pk_fma_f32 v[16:17], v[32:33], v[58:59], v[16:17] op_sel:[0,1,0]
	v_mov_b32_e32 v32, v61
	v_pk_fma_f32 v[22:23], v[38:39], v[60:61], v[22:23] op_sel_hi:[1,0,1]
	v_pk_fma_f32 v[18:19], v[40:41], v[60:61], v[18:19] op_sel_hi:[1,0,1]
	;; [unrolled: 1-line block ×4, first 2 shown]
	s_delay_alu instid0(VALU_DEP_4) | instskip(NEXT) | instid1(VALU_DEP_4)
	v_pk_fma_f32 v[22:23], v[38:39], v[32:33], v[22:23] op_sel:[1,0,0] op_sel_hi:[0,0,1] neg_lo:[1,0,0]
	v_pk_fma_f32 v[18:19], v[76:77], v[32:33], v[18:19] op_sel_hi:[1,0,1]
	s_delay_alu instid0(VALU_DEP_4) | instskip(NEXT) | instid1(VALU_DEP_4)
	v_pk_fma_f32 v[20:21], v[66:67], v[32:33], v[20:21] op_sel:[1,0,0] op_sel_hi:[0,0,1] neg_lo:[1,0,0]
	v_pk_fma_f32 v[16:17], v[30:31], v[32:33], v[16:17] op_sel_hi:[1,0,1]
	s_and_not1_b32 exec_lo, exec_lo, s7
	s_cbranch_execnz .LBB50_27
; %bb.28:
	s_or_b32 exec_lo, exec_lo, s7
.LBB50_29:
	s_delay_alu instid0(SALU_CYCLE_1) | instskip(NEXT) | instid1(SALU_CYCLE_1)
	s_or_b32 exec_lo, exec_lo, s3
	s_mov_b32 s3, exec_lo
	v_cmpx_lt_u64_e32 11, v[24:25]
	s_cbranch_execz .LBB50_33
; %bb.30:
	v_lshl_add_u64 v[24:25], v[10:11], 3, s[8:9]
	s_mov_b32 s7, 0
	s_delay_alu instid0(VALU_DEP_1)
	v_add_nc_u64_e32 v[24:25], 64, v[24:25]
.LBB50_31:                              ; =>This Inner Loop Header: Depth=1
	global_load_b64 v[114:115], v[24:25], off offset:-64
	s_clause 0xd
	global_load_b128 v[26:29], v[14:15], off
	global_load_b128 v[30:33], v[14:15], off offset:16
	global_load_b128 v[34:37], v[14:15], off offset:48
	;; [unrolled: 1-line block ×13, first 2 shown]
	s_clause 0x2
	global_load_b64 v[122:123], v[24:25], off offset:-32
	global_load_b64 v[124:125], v[24:25], off
	global_load_b64 v[126:127], v[24:25], off offset:32
	s_clause 0x7
	global_load_b128 v[82:85], v[14:15], off offset:592
	global_load_b128 v[86:89], v[14:15], off offset:576
	;; [unrolled: 1-line block ×8, first 2 shown]
	v_add_nc_u64_e32 v[10:11], 16, v[10:11]
	s_wait_xcnt 0x8
	v_add_nc_u64_e32 v[24:25], 0x80, v[24:25]
	s_delay_alu instid0(VALU_DEP_2)
	v_cmp_ge_i64_e32 vcc_lo, v[10:11], v[12:13]
	s_or_b32 s7, vcc_lo, s7
	s_wait_loadcnt 0x19
	v_sub_nc_u64_e32 v[114:115], v[114:115], v[8:9]
	s_wait_loadcnt 0x18
	v_xor_b32_e32 v128, 0x80000000, v29
	v_mov_b32_e32 v129, v28
	s_delay_alu instid0(VALU_DEP_3) | instskip(NEXT) | instid1(VALU_DEP_1)
	v_lshlrev_b64_e32 v[114:115], 5, v[114:115]
	v_add_nc_u64_e32 v[130:131], s[4:5], v[114:115]
	s_wait_loadcnt 0xa
	v_sub_nc_u64_e32 v[122:123], v[122:123], v[8:9]
	s_wait_loadcnt 0x9
	v_sub_nc_u64_e32 v[124:125], v[124:125], v[8:9]
	;; [unrolled: 2-line block ×3, first 2 shown]
	s_clause 0x1
	global_load_b128 v[114:117], v[130:131], off
	global_load_b128 v[118:121], v[130:131], off offset:16
	v_lshlrev_b64_e32 v[122:123], 5, v[122:123]
	v_lshlrev_b64_e32 v[124:125], 5, v[124:125]
	s_delay_alu instid0(VALU_DEP_2) | instskip(NEXT) | instid1(VALU_DEP_2)
	v_add_nc_u64_e32 v[122:123], s[4:5], v[122:123]
	v_add_nc_u64_e32 v[124:125], s[4:5], v[124:125]
	s_wait_loadcnt 0x1
	v_pk_fma_f32 v[22:23], v[26:27], v[114:115], v[22:23] op_sel_hi:[1,0,1]
	s_wait_xcnt 0x0
	v_pk_fma_f32 v[130:131], v[28:29], v[114:115], v[18:19] op_sel_hi:[1,0,1]
	v_pk_fma_f32 v[18:19], v[30:31], v[114:115], v[20:21] op_sel_hi:[1,0,1]
	v_pk_fma_f32 v[20:21], v[32:33], v[114:115], v[16:17] op_sel_hi:[1,0,1]
	v_pk_fma_f32 v[132:133], v[26:27], v[114:115], v[22:23] op_sel:[1,1,0] op_sel_hi:[0,1,1] neg_lo:[1,0,0]
	v_xor_b32_e32 v22, 0x80000000, v33
	v_mov_b32_e32 v23, v32
	v_pk_fma_f32 v[30:31], v[30:31], v[114:115], v[18:19] op_sel:[1,1,0] op_sel_hi:[0,1,1] neg_lo:[1,0,0]
	v_pk_fma_f32 v[32:33], v[128:129], v[114:115], v[130:131] op_sel:[0,1,0]
	v_pk_fma_f32 v[128:129], v[38:39], v[116:117], v[132:133] op_sel_hi:[1,0,1]
	v_xor_b32_e32 v132, 0x80000000, v41
	v_pk_fma_f32 v[114:115], v[22:23], v[114:115], v[20:21] op_sel:[0,1,0]
	v_pk_fma_f32 v[30:31], v[34:35], v[116:117], v[30:31] op_sel_hi:[1,0,1]
	v_pk_fma_f32 v[130:131], v[40:41], v[116:117], v[32:33] op_sel_hi:[1,0,1]
	v_mov_b32_e32 v133, v40
	v_xor_b32_e32 v40, 0x80000000, v37
	v_pk_fma_f32 v[114:115], v[36:37], v[116:117], v[114:115] op_sel_hi:[1,0,1]
	v_dual_mov_b32 v116, v117 :: v_dual_mov_b32 v41, v36
	s_clause 0x2
	global_load_b128 v[26:29], v[14:15], off offset:1104
	global_load_b128 v[16:19], v[14:15], off offset:1088
	;; [unrolled: 1-line block ×3, first 2 shown]
	v_pk_fma_f32 v[38:39], v[38:39], v[116:117], v[128:129] op_sel:[1,0,0] op_sel_hi:[0,0,1] neg_lo:[1,0,0]
	v_pk_fma_f32 v[130:131], v[132:133], v[116:117], v[130:131] op_sel_hi:[1,0,1]
	v_pk_fma_f32 v[128:129], v[34:35], v[116:117], v[30:31] op_sel:[1,0,0] op_sel_hi:[0,0,1] neg_lo:[1,0,0]
	v_pk_fma_f32 v[114:115], v[40:41], v[116:117], v[114:115] op_sel_hi:[1,0,1]
	v_xor_b32_e32 v116, 0x80000000, v57
	v_mov_b32_e32 v117, v56
	s_wait_loadcnt 0x3
	v_pk_fma_f32 v[38:39], v[54:55], v[118:119], v[38:39] op_sel_hi:[1,0,1]
	v_pk_fma_f32 v[56:57], v[56:57], v[118:119], v[130:131] op_sel_hi:[1,0,1]
	v_xor_b32_e32 v130, 0x80000000, v53
	v_mov_b32_e32 v131, v52
	v_pk_fma_f32 v[114:115], v[52:53], v[118:119], v[114:115] op_sel_hi:[1,0,1]
	v_pk_fma_f32 v[54:55], v[54:55], v[118:119], v[38:39] op_sel:[1,1,0] op_sel_hi:[0,1,1] neg_lo:[1,0,0]
	v_pk_fma_f32 v[56:57], v[116:117], v[118:119], v[56:57] op_sel:[0,1,0]
	v_mov_b32_e32 v117, v48
	v_pk_fma_f32 v[128:129], v[50:51], v[118:119], v[128:129] op_sel_hi:[1,0,1]
	v_pk_fma_f32 v[114:115], v[130:131], v[118:119], v[114:115] op_sel:[0,1,0]
	v_pk_fma_f32 v[130:131], v[46:47], v[120:121], v[54:55] op_sel_hi:[1,0,1]
	v_pk_fma_f32 v[132:133], v[48:49], v[120:121], v[56:57] op_sel_hi:[1,0,1]
	global_load_b128 v[54:57], v[122:123], off
	v_pk_fma_f32 v[128:129], v[50:51], v[118:119], v[128:129] op_sel:[1,1,0] op_sel_hi:[0,1,1] neg_lo:[1,0,0]
	v_mov_b32_e32 v118, v121
	v_xor_b32_e32 v116, 0x80000000, v49
	v_pk_fma_f32 v[114:115], v[44:45], v[120:121], v[114:115] op_sel_hi:[1,0,1]
	global_load_b128 v[34:37], v[14:15], off offset:1536
	v_pk_fma_f32 v[128:129], v[42:43], v[120:121], v[128:129] op_sel_hi:[1,0,1]
	v_pk_fma_f32 v[120:121], v[46:47], v[118:119], v[130:131] op_sel:[1,0,0] op_sel_hi:[0,0,1] neg_lo:[1,0,0]
	global_load_b128 v[46:49], v[122:123], off offset:16
	s_wait_xcnt 0x0
	v_xor_b32_e32 v122, 0x80000000, v45
	v_mov_b32_e32 v123, v44
	v_pk_fma_f32 v[128:129], v[42:43], v[118:119], v[128:129] op_sel:[1,0,0] op_sel_hi:[0,0,1] neg_lo:[1,0,0]
	v_pk_fma_f32 v[130:131], v[116:117], v[118:119], v[132:133] op_sel_hi:[1,0,1]
	v_mov_b32_e32 v133, v72
	global_load_b128 v[42:45], v[14:15], off offset:1552
	v_pk_fma_f32 v[118:119], v[122:123], v[118:119], v[114:115] op_sel_hi:[1,0,1]
	global_load_b128 v[114:117], v[124:125], off
	v_xor_b32_e32 v132, 0x80000000, v73
	s_clause 0x2
	global_load_b128 v[30:33], v[14:15], off offset:1568
	global_load_b128 v[50:53], v[14:15], off offset:1600
	;; [unrolled: 1-line block ×3, first 2 shown]
	s_wait_loadcnt 0x7
	v_pk_fma_f32 v[120:121], v[70:71], v[54:55], v[120:121] op_sel_hi:[1,0,1]
	v_pk_fma_f32 v[118:119], v[68:69], v[54:55], v[118:119] op_sel_hi:[1,0,1]
	;; [unrolled: 1-line block ×3, first 2 shown]
	v_xor_b32_e32 v130, 0x80000000, v65
	v_mov_b32_e32 v131, v64
	v_pk_fma_f32 v[122:123], v[70:71], v[54:55], v[120:121] op_sel:[1,1,0] op_sel_hi:[0,1,1] neg_lo:[1,0,0]
	v_lshlrev_b64_e32 v[70:71], 5, v[126:127]
	v_pk_fma_f32 v[126:127], v[66:67], v[54:55], v[128:129] op_sel_hi:[1,0,1]
	v_xor_b32_e32 v120, 0x80000000, v69
	v_mov_b32_e32 v121, v68
	v_pk_fma_f32 v[128:129], v[132:133], v[54:55], v[72:73] op_sel:[0,1,0]
	v_pk_fma_f32 v[122:123], v[62:63], v[56:57], v[122:123] op_sel_hi:[1,0,1]
	v_pk_fma_f32 v[126:127], v[66:67], v[54:55], v[126:127] op_sel:[1,1,0] op_sel_hi:[0,1,1] neg_lo:[1,0,0]
	global_load_b128 v[66:69], v[124:125], off offset:16
	s_wait_xcnt 0x0
	v_add_nc_u64_e32 v[124:125], s[4:5], v[70:71]
	v_pk_fma_f32 v[54:55], v[120:121], v[54:55], v[118:119] op_sel:[0,1,0]
	v_pk_fma_f32 v[64:65], v[64:65], v[56:57], v[128:129] op_sel_hi:[1,0,1]
	v_mov_b32_e32 v128, v57
	s_clause 0x1
	global_load_b128 v[70:73], v[124:125], off offset:16
	global_load_b128 v[118:121], v[124:125], off
	s_wait_xcnt 0x0
	v_pk_fma_f32 v[124:125], v[58:59], v[56:57], v[126:127] op_sel_hi:[1,0,1]
	v_pk_fma_f32 v[126:127], v[60:61], v[56:57], v[54:55] op_sel_hi:[1,0,1]
	global_load_b128 v[54:57], v[14:15], off offset:1616
	v_pk_fma_f32 v[62:63], v[62:63], v[128:129], v[122:123] op_sel:[1,0,0] op_sel_hi:[0,0,1] neg_lo:[1,0,0]
	v_xor_b32_e32 v122, 0x80000000, v61
	v_mov_b32_e32 v123, v60
	v_pk_fma_f32 v[124:125], v[58:59], v[128:129], v[124:125] op_sel:[1,0,0] op_sel_hi:[0,0,1] neg_lo:[1,0,0]
	global_load_b128 v[58:61], v[14:15], off offset:1648
	v_pk_fma_f32 v[64:65], v[130:131], v[128:129], v[64:65] op_sel_hi:[1,0,1]
	v_mov_b32_e32 v131, v88
	v_pk_fma_f32 v[122:123], v[122:123], v[128:129], v[126:127] op_sel_hi:[1,0,1]
	v_xor_b32_e32 v130, 0x80000000, v89
	v_xor_b32_e32 v126, 0x80000000, v85
	v_dual_mov_b32 v127, v84 :: v_dual_mov_b32 v129, v80
	s_wait_loadcnt 0xa
	v_pk_fma_f32 v[62:63], v[86:87], v[46:47], v[62:63] op_sel_hi:[1,0,1]
	v_pk_fma_f32 v[64:65], v[88:89], v[46:47], v[64:65] op_sel_hi:[1,0,1]
	;; [unrolled: 1-line block ×4, first 2 shown]
	v_xor_b32_e32 v128, 0x80000000, v81
	v_pk_fma_f32 v[62:63], v[86:87], v[46:47], v[62:63] op_sel:[1,1,0] op_sel_hi:[0,1,1] neg_lo:[1,0,0]
	v_pk_fma_f32 v[64:65], v[130:131], v[46:47], v[64:65] op_sel:[0,1,0]
	v_pk_fma_f32 v[82:83], v[82:83], v[46:47], v[124:125] op_sel:[1,1,0] op_sel_hi:[0,1,1] neg_lo:[1,0,0]
	v_pk_fma_f32 v[46:47], v[126:127], v[46:47], v[84:85] op_sel:[0,1,0]
	v_xor_b32_e32 v86, 0x80000000, v77
	v_dual_mov_b32 v87, v76 :: v_dual_mov_b32 v89, v104
	v_mov_b32_e32 v85, v92
	v_pk_fma_f32 v[62:63], v[78:79], v[48:49], v[62:63] op_sel_hi:[1,0,1]
	v_pk_fma_f32 v[64:65], v[80:81], v[48:49], v[64:65] op_sel_hi:[1,0,1]
	;; [unrolled: 1-line block ×4, first 2 shown]
	v_mov_b32_e32 v48, v49
	v_xor_b32_e32 v88, 0x80000000, v105
	v_xor_b32_e32 v122, 0x80000000, v101
	v_dual_mov_b32 v123, v100 :: v_dual_mov_b32 v125, v96
	s_delay_alu instid0(VALU_DEP_4)
	v_pk_fma_f32 v[62:63], v[78:79], v[48:49], v[62:63] op_sel:[1,0,0] op_sel_hi:[0,0,1] neg_lo:[1,0,0]
	v_pk_fma_f32 v[74:75], v[74:75], v[48:49], v[80:81] op_sel:[1,0,0] op_sel_hi:[0,0,1] neg_lo:[1,0,0]
	v_pk_fma_f32 v[64:65], v[128:129], v[48:49], v[64:65] op_sel_hi:[1,0,1]
	v_pk_fma_f32 v[46:47], v[86:87], v[48:49], v[46:47] op_sel_hi:[1,0,1]
	v_xor_b32_e32 v124, 0x80000000, v97
	s_wait_loadcnt 0x8
	v_pk_fma_f32 v[48:49], v[102:103], v[114:115], v[62:63] op_sel_hi:[1,0,1]
	v_xor_b32_e32 v84, 0x80000000, v93
	v_pk_fma_f32 v[62:63], v[104:105], v[114:115], v[64:65] op_sel_hi:[1,0,1]
	v_pk_fma_f32 v[64:65], v[98:99], v[114:115], v[74:75] op_sel_hi:[1,0,1]
	v_pk_fma_f32 v[46:47], v[100:101], v[114:115], v[46:47] op_sel_hi:[1,0,1]
	v_pk_fma_f32 v[48:49], v[102:103], v[114:115], v[48:49] op_sel:[1,1,0] op_sel_hi:[0,1,1] neg_lo:[1,0,0]
	v_dual_mov_b32 v77, v28 :: v_dual_mov_b32 v86, v117
	v_pk_fma_f32 v[62:63], v[88:89], v[114:115], v[62:63] op_sel:[0,1,0]
	v_pk_fma_f32 v[64:65], v[98:99], v[114:115], v[64:65] op_sel:[1,1,0] op_sel_hi:[0,1,1] neg_lo:[1,0,0]
	v_pk_fma_f32 v[46:47], v[122:123], v[114:115], v[46:47] op_sel:[0,1,0]
	v_pk_fma_f32 v[48:49], v[94:95], v[116:117], v[48:49] op_sel_hi:[1,0,1]
	v_xor_b32_e32 v130, 0x80000000, v19
	v_pk_fma_f32 v[62:63], v[96:97], v[116:117], v[62:63] op_sel_hi:[1,0,1]
	v_pk_fma_f32 v[64:65], v[90:91], v[116:117], v[64:65] op_sel_hi:[1,0,1]
	;; [unrolled: 1-line block ×3, first 2 shown]
	v_pk_fma_f32 v[48:49], v[94:95], v[86:87], v[48:49] op_sel:[1,0,0] op_sel_hi:[0,0,1] neg_lo:[1,0,0]
	v_xor_b32_e32 v76, 0x80000000, v29
	v_pk_fma_f32 v[62:63], v[124:125], v[86:87], v[62:63] op_sel_hi:[1,0,1]
	v_pk_fma_f32 v[64:65], v[90:91], v[86:87], v[64:65] op_sel:[1,0,0] op_sel_hi:[0,0,1] neg_lo:[1,0,0]
	v_pk_fma_f32 v[46:47], v[84:85], v[86:87], v[46:47] op_sel_hi:[1,0,1]
	v_dual_mov_b32 v131, v18 :: v_dual_mov_b32 v79, v112
	v_xor_b32_e32 v78, 0x80000000, v113
	v_xor_b32_e32 v74, 0x80000000, v109
	v_dual_mov_b32 v75, v108 :: v_dual_mov_b32 v85, v44
	v_xor_b32_e32 v82, 0x80000000, v37
	s_wait_loadcnt 0x7
	v_dual_mov_b32 v83, v36 :: v_dual_mov_b32 v81, v32
	v_xor_b32_e32 v84, 0x80000000, v45
	v_xor_b32_e32 v80, 0x80000000, v33
	s_wait_loadcnt 0x6
	v_xor_b32_e32 v126, 0x80000000, v53
	s_wait_loadcnt 0x5
	v_dual_mov_b32 v127, v52 :: v_dual_mov_b32 v129, v40
	v_xor_b32_e32 v128, 0x80000000, v41
	s_wait_xcnt 0x0
	v_add_nc_u64_e32 v[14:15], 0x800, v[14:15]
	s_wait_loadcnt 0x4
	v_pk_fma_f32 v[48:49], v[16:17], v[66:67], v[48:49] op_sel_hi:[1,0,1]
	v_pk_fma_f32 v[18:19], v[18:19], v[66:67], v[62:63] op_sel_hi:[1,0,1]
	;; [unrolled: 1-line block ×4, first 2 shown]
	v_mov_b32_e32 v46, v69
	v_pk_fma_f32 v[16:17], v[16:17], v[66:67], v[48:49] op_sel:[1,1,0] op_sel_hi:[0,1,1] neg_lo:[1,0,0]
	v_pk_fma_f32 v[18:19], v[130:131], v[66:67], v[18:19] op_sel:[0,1,0]
	v_pk_fma_f32 v[26:27], v[26:27], v[66:67], v[62:63] op_sel:[1,1,0] op_sel_hi:[0,1,1] neg_lo:[1,0,0]
	v_pk_fma_f32 v[28:29], v[76:77], v[66:67], v[28:29] op_sel:[0,1,0]
	v_mov_b32_e32 v49, v22
	v_pk_fma_f32 v[16:17], v[110:111], v[68:69], v[16:17] op_sel_hi:[1,0,1]
	v_pk_fma_f32 v[18:19], v[112:113], v[68:69], v[18:19] op_sel_hi:[1,0,1]
	;; [unrolled: 1-line block ×4, first 2 shown]
	v_xor_b32_e32 v48, 0x80000000, v23
	v_pk_fma_f32 v[16:17], v[110:111], v[46:47], v[16:17] op_sel:[1,0,0] op_sel_hi:[0,0,1] neg_lo:[1,0,0]
	v_pk_fma_f32 v[18:19], v[78:79], v[46:47], v[18:19] op_sel_hi:[1,0,1]
	v_pk_fma_f32 v[26:27], v[106:107], v[46:47], v[26:27] op_sel:[1,0,0] op_sel_hi:[0,0,1] neg_lo:[1,0,0]
	v_pk_fma_f32 v[28:29], v[74:75], v[46:47], v[28:29] op_sel_hi:[1,0,1]
	s_wait_loadcnt 0x2
	v_pk_fma_f32 v[16:17], v[34:35], v[118:119], v[16:17] op_sel_hi:[1,0,1]
	v_pk_fma_f32 v[18:19], v[36:37], v[118:119], v[18:19] op_sel_hi:[1,0,1]
	;; [unrolled: 1-line block ×4, first 2 shown]
	s_wait_loadcnt 0x1
	v_mov_b32_e32 v37, v56
	v_pk_fma_f32 v[16:17], v[34:35], v[118:119], v[16:17] op_sel:[1,1,0] op_sel_hi:[0,1,1] neg_lo:[1,0,0]
	v_pk_fma_f32 v[18:19], v[82:83], v[118:119], v[18:19] op_sel:[0,1,0]
	v_pk_fma_f32 v[26:27], v[42:43], v[118:119], v[26:27] op_sel:[1,1,0] op_sel_hi:[0,1,1] neg_lo:[1,0,0]
	v_pk_fma_f32 v[28:29], v[84:85], v[118:119], v[28:29] op_sel:[0,1,0]
	v_mov_b32_e32 v34, v121
	v_pk_fma_f32 v[16:17], v[30:31], v[120:121], v[16:17] op_sel_hi:[1,0,1]
	v_pk_fma_f32 v[18:19], v[32:33], v[120:121], v[18:19] op_sel_hi:[1,0,1]
	v_pk_fma_f32 v[26:27], v[20:21], v[120:121], v[26:27] op_sel_hi:[1,0,1]
	v_pk_fma_f32 v[22:23], v[22:23], v[120:121], v[28:29] op_sel_hi:[1,0,1]
	v_xor_b32_e32 v36, 0x80000000, v57
	v_pk_fma_f32 v[16:17], v[30:31], v[34:35], v[16:17] op_sel:[1,0,0] op_sel_hi:[0,0,1] neg_lo:[1,0,0]
	v_pk_fma_f32 v[18:19], v[80:81], v[34:35], v[18:19] op_sel_hi:[1,0,1]
	v_pk_fma_f32 v[20:21], v[20:21], v[34:35], v[26:27] op_sel:[1,0,0] op_sel_hi:[0,0,1] neg_lo:[1,0,0]
	v_pk_fma_f32 v[22:23], v[48:49], v[34:35], v[22:23] op_sel_hi:[1,0,1]
	s_wait_loadcnt 0x0
	v_xor_b32_e32 v26, 0x80000000, v61
	v_pk_fma_f32 v[16:17], v[50:51], v[70:71], v[16:17] op_sel_hi:[1,0,1]
	v_pk_fma_f32 v[18:19], v[52:53], v[70:71], v[18:19] op_sel_hi:[1,0,1]
	;; [unrolled: 1-line block ×4, first 2 shown]
	v_dual_mov_b32 v27, v60 :: v_dual_mov_b32 v28, v73
	v_pk_fma_f32 v[16:17], v[50:51], v[70:71], v[16:17] op_sel:[1,1,0] op_sel_hi:[0,1,1] neg_lo:[1,0,0]
	v_pk_fma_f32 v[18:19], v[126:127], v[70:71], v[18:19] op_sel:[0,1,0]
	v_pk_fma_f32 v[20:21], v[54:55], v[70:71], v[20:21] op_sel:[1,1,0] op_sel_hi:[0,1,1] neg_lo:[1,0,0]
	v_pk_fma_f32 v[22:23], v[36:37], v[70:71], v[22:23] op_sel:[0,1,0]
	s_delay_alu instid0(VALU_DEP_4) | instskip(NEXT) | instid1(VALU_DEP_4)
	v_pk_fma_f32 v[16:17], v[38:39], v[72:73], v[16:17] op_sel_hi:[1,0,1]
	v_pk_fma_f32 v[18:19], v[40:41], v[72:73], v[18:19] op_sel_hi:[1,0,1]
	s_delay_alu instid0(VALU_DEP_4) | instskip(NEXT) | instid1(VALU_DEP_4)
	v_pk_fma_f32 v[20:21], v[58:59], v[72:73], v[20:21] op_sel_hi:[1,0,1]
	v_pk_fma_f32 v[30:31], v[60:61], v[72:73], v[22:23] op_sel_hi:[1,0,1]
	s_delay_alu instid0(VALU_DEP_4) | instskip(NEXT) | instid1(VALU_DEP_4)
	v_pk_fma_f32 v[22:23], v[38:39], v[28:29], v[16:17] op_sel:[1,0,0] op_sel_hi:[0,0,1] neg_lo:[1,0,0]
	v_pk_fma_f32 v[18:19], v[128:129], v[28:29], v[18:19] op_sel_hi:[1,0,1]
	s_delay_alu instid0(VALU_DEP_4) | instskip(NEXT) | instid1(VALU_DEP_4)
	v_pk_fma_f32 v[20:21], v[58:59], v[28:29], v[20:21] op_sel:[1,0,0] op_sel_hi:[0,0,1] neg_lo:[1,0,0]
	v_pk_fma_f32 v[16:17], v[26:27], v[28:29], v[30:31] op_sel_hi:[1,0,1]
	s_and_not1_b32 exec_lo, exec_lo, s7
	s_cbranch_execnz .LBB50_31
; %bb.32:
	s_or_b32 exec_lo, exec_lo, s7
.LBB50_33:
	s_delay_alu instid0(SALU_CYCLE_1)
	s_or_b32 exec_lo, exec_lo, s3
.LBB50_34:
	s_delay_alu instid0(SALU_CYCLE_1)
	s_or_b32 exec_lo, exec_lo, s6
.LBB50_35:
	v_mbcnt_lo_u32_b32 v1, -1, 0
	s_delay_alu instid0(VALU_DEP_1) | instskip(NEXT) | instid1(VALU_DEP_1)
	v_xor_b32_e32 v8, 2, v1
	v_cmp_gt_i32_e32 vcc_lo, 32, v8
	v_cndmask_b32_e32 v8, v1, v8, vcc_lo
	s_delay_alu instid0(VALU_DEP_1)
	v_lshlrev_b32_e32 v8, 2, v8
	ds_bpermute_b32 v9, v8, v22
	ds_bpermute_b32 v10, v8, v23
	;; [unrolled: 1-line block ×8, first 2 shown]
	v_xor_b32_e32 v8, 1, v1
	s_delay_alu instid0(VALU_DEP_1)
	v_cmp_gt_i32_e32 vcc_lo, 32, v8
	v_cndmask_b32_e32 v1, v1, v8, vcc_lo
	v_cmp_eq_u32_e32 vcc_lo, 3, v0
	s_wait_dscnt 0x6
	v_dual_add_f32 v8, v22, v9 :: v_dual_add_f32 v9, v23, v10
	s_wait_dscnt 0x5
	v_dual_add_f32 v10, v18, v11 :: v_dual_lshlrev_b32 v25, 2, v1
	s_wait_dscnt 0x3
	v_dual_add_f32 v11, v19, v12 :: v_dual_add_f32 v12, v20, v13
	s_wait_dscnt 0x1
	v_dual_add_f32 v13, v21, v14 :: v_dual_add_f32 v15, v16, v15
	s_wait_dscnt 0x0
	v_add_f32_e32 v1, v17, v24
	ds_bpermute_b32 v14, v25, v8
	ds_bpermute_b32 v17, v25, v9
	;; [unrolled: 1-line block ×8, first 2 shown]
	s_and_b32 exec_lo, exec_lo, vcc_lo
	s_cbranch_execz .LBB50_6
; %bb.36:
	s_load_b64 s[0:1], s[0:1], 0x58
	s_wait_dscnt 0x6
	v_dual_add_f32 v0, v8, v14 :: v_dual_add_f32 v20, v9, v17
	s_wait_dscnt 0x4
	v_dual_add_f32 v8, v10, v18 :: v_dual_add_f32 v18, v11, v19
	;; [unrolled: 2-line block ×3, first 2 shown]
	s_wait_dscnt 0x1
	v_add_f32_e32 v12, v15, v23
	v_cmp_eq_f32_e32 vcc_lo, 0, v4
	v_lshlrev_b64_e32 v[22:23], 5, v[6:7]
	s_wait_dscnt 0x0
	v_add_f32_e32 v6, v1, v16
	v_xor_b32_e32 v16, 0x80000000, v3
	s_xor_b32 s2, s2, -1
	s_delay_alu instid0(SALU_CYCLE_1) | instskip(NEXT) | instid1(SALU_CYCLE_1)
	s_and_b32 s2, vcc_lo, s2
	s_and_saveexec_b32 s3, s2
	s_delay_alu instid0(SALU_CYCLE_1)
	s_xor_b32 s2, exec_lo, s3
	s_cbranch_execz .LBB50_38
; %bb.37:
	v_mov_b32_e32 v17, v2
	s_delay_alu instid0(VALU_DEP_1)
	v_pk_mul_f32 v[4:5], v[20:21], v[16:17] op_sel_hi:[0,1]
	v_pk_mul_f32 v[18:19], v[18:19], v[16:17] op_sel_hi:[0,1]
	;; [unrolled: 1-line block ×4, first 2 shown]
	s_wait_kmcnt 0x0
	v_add_nc_u64_e32 v[20:21], s[0:1], v[22:23]
	v_pk_fma_f32 v[4:5], v[2:3], v[0:1], v[4:5] op_sel_hi:[1,0,1]
	v_pk_fma_f32 v[6:7], v[2:3], v[8:9], v[18:19] op_sel_hi:[1,0,1]
	;; [unrolled: 1-line block ×4, first 2 shown]
                                        ; implicit-def: $vgpr8
                                        ; implicit-def: $vgpr18
                                        ; implicit-def: $vgpr10
                                        ; implicit-def: $vgpr14
                                        ; implicit-def: $vgpr12
                                        ; implicit-def: $vgpr16
                                        ; implicit-def: $vgpr22_vgpr23
	s_clause 0x1
	global_store_b128 v[20:21], v[4:7], off
	global_store_b128 v[20:21], v[0:3], off offset:16
                                        ; implicit-def: $vgpr0
                                        ; implicit-def: $vgpr20
                                        ; implicit-def: $vgpr6
                                        ; implicit-def: $vgpr2_vgpr3
                                        ; implicit-def: $vgpr4_vgpr5
.LBB50_38:
	s_wait_xcnt 0x0
	s_and_not1_saveexec_b32 s2, s2
	s_cbranch_execz .LBB50_6
; %bb.39:
	s_wait_kmcnt 0x0
	v_add_nc_u64_e32 v[30:31], s[0:1], v[22:23]
	v_dual_mov_b32 v17, v2 :: v_dual_mov_b32 v33, v4
	v_xor_b32_e32 v32, 0x80000000, v5
	s_clause 0x1
	global_load_b128 v[22:25], v[30:31], off
	global_load_b128 v[26:29], v[30:31], off offset:16
	v_pk_mul_f32 v[20:21], v[20:21], v[16:17] op_sel_hi:[0,1]
	v_pk_mul_f32 v[18:19], v[18:19], v[16:17] op_sel_hi:[0,1]
	;; [unrolled: 1-line block ×4, first 2 shown]
	s_delay_alu instid0(VALU_DEP_4) | instskip(NEXT) | instid1(VALU_DEP_4)
	v_pk_fma_f32 v[0:1], v[2:3], v[0:1], v[20:21] op_sel_hi:[1,0,1]
	v_pk_fma_f32 v[8:9], v[2:3], v[8:9], v[18:19] op_sel_hi:[1,0,1]
	s_delay_alu instid0(VALU_DEP_4) | instskip(NEXT) | instid1(VALU_DEP_4)
	v_pk_fma_f32 v[10:11], v[2:3], v[10:11], v[14:15] op_sel_hi:[1,0,1]
	v_pk_fma_f32 v[2:3], v[2:3], v[12:13], v[6:7] op_sel_hi:[1,0,1]
	s_wait_loadcnt 0x1
	v_pk_fma_f32 v[0:1], v[4:5], v[22:23], v[0:1] op_sel_hi:[1,0,1]
	v_pk_fma_f32 v[6:7], v[4:5], v[24:25], v[8:9] op_sel_hi:[1,0,1]
	s_wait_loadcnt 0x0
	v_dual_mov_b32 v8, v25 :: v_dual_mov_b32 v14, v29
	v_pk_fma_f32 v[10:11], v[4:5], v[26:27], v[10:11] op_sel_hi:[1,0,1]
	v_pk_fma_f32 v[12:13], v[4:5], v[28:29], v[2:3] op_sel_hi:[1,0,1]
	v_pk_fma_f32 v[0:1], v[32:33], v[22:23], v[0:1] op_sel:[0,1,0]
	s_delay_alu instid0(VALU_DEP_4) | instskip(NEXT) | instid1(VALU_DEP_4)
	v_pk_fma_f32 v[2:3], v[32:33], v[8:9], v[6:7] op_sel_hi:[1,0,1]
	v_pk_fma_f32 v[4:5], v[32:33], v[26:27], v[10:11] op_sel:[0,1,0]
	s_delay_alu instid0(VALU_DEP_4)
	v_pk_fma_f32 v[6:7], v[32:33], v[14:15], v[12:13] op_sel_hi:[1,0,1]
	s_clause 0x1
	global_store_b128 v[30:31], v[0:3], off
	global_store_b128 v[30:31], v[4:7], off offset:16
	s_sendmsg sendmsg(MSG_DEALLOC_VGPRS)
	s_endpgm
	.section	.rodata,"a",@progbits
	.p2align	6, 0x0
	.amdhsa_kernel _ZN9rocsparseL18bsrxmvn_4x4_kernelILj128ELj4E21rocsparse_complex_numIfEllS2_S2_S2_EEvT3_20rocsparse_direction_NS_24const_host_device_scalarIT1_EES3_PKS3_PKT2_SC_S9_PKT4_PKT5_S7_PT6_21rocsparse_index_base_b
		.amdhsa_group_segment_fixed_size 0
		.amdhsa_private_segment_fixed_size 0
		.amdhsa_kernarg_size 104
		.amdhsa_user_sgpr_count 2
		.amdhsa_user_sgpr_dispatch_ptr 0
		.amdhsa_user_sgpr_queue_ptr 0
		.amdhsa_user_sgpr_kernarg_segment_ptr 1
		.amdhsa_user_sgpr_dispatch_id 0
		.amdhsa_user_sgpr_kernarg_preload_length 0
		.amdhsa_user_sgpr_kernarg_preload_offset 0
		.amdhsa_user_sgpr_private_segment_size 0
		.amdhsa_wavefront_size32 1
		.amdhsa_uses_dynamic_stack 0
		.amdhsa_enable_private_segment 0
		.amdhsa_system_sgpr_workgroup_id_x 1
		.amdhsa_system_sgpr_workgroup_id_y 0
		.amdhsa_system_sgpr_workgroup_id_z 0
		.amdhsa_system_sgpr_workgroup_info 0
		.amdhsa_system_vgpr_workitem_id 0
		.amdhsa_next_free_vgpr 160
		.amdhsa_next_free_sgpr 14
		.amdhsa_named_barrier_count 0
		.amdhsa_reserve_vcc 1
		.amdhsa_float_round_mode_32 0
		.amdhsa_float_round_mode_16_64 0
		.amdhsa_float_denorm_mode_32 3
		.amdhsa_float_denorm_mode_16_64 3
		.amdhsa_fp16_overflow 0
		.amdhsa_memory_ordered 1
		.amdhsa_forward_progress 1
		.amdhsa_inst_pref_size 60
		.amdhsa_round_robin_scheduling 0
		.amdhsa_exception_fp_ieee_invalid_op 0
		.amdhsa_exception_fp_denorm_src 0
		.amdhsa_exception_fp_ieee_div_zero 0
		.amdhsa_exception_fp_ieee_overflow 0
		.amdhsa_exception_fp_ieee_underflow 0
		.amdhsa_exception_fp_ieee_inexact 0
		.amdhsa_exception_int_div_zero 0
	.end_amdhsa_kernel
	.section	.text._ZN9rocsparseL18bsrxmvn_4x4_kernelILj128ELj4E21rocsparse_complex_numIfEllS2_S2_S2_EEvT3_20rocsparse_direction_NS_24const_host_device_scalarIT1_EES3_PKS3_PKT2_SC_S9_PKT4_PKT5_S7_PT6_21rocsparse_index_base_b,"axG",@progbits,_ZN9rocsparseL18bsrxmvn_4x4_kernelILj128ELj4E21rocsparse_complex_numIfEllS2_S2_S2_EEvT3_20rocsparse_direction_NS_24const_host_device_scalarIT1_EES3_PKS3_PKT2_SC_S9_PKT4_PKT5_S7_PT6_21rocsparse_index_base_b,comdat
.Lfunc_end50:
	.size	_ZN9rocsparseL18bsrxmvn_4x4_kernelILj128ELj4E21rocsparse_complex_numIfEllS2_S2_S2_EEvT3_20rocsparse_direction_NS_24const_host_device_scalarIT1_EES3_PKS3_PKT2_SC_S9_PKT4_PKT5_S7_PT6_21rocsparse_index_base_b, .Lfunc_end50-_ZN9rocsparseL18bsrxmvn_4x4_kernelILj128ELj4E21rocsparse_complex_numIfEllS2_S2_S2_EEvT3_20rocsparse_direction_NS_24const_host_device_scalarIT1_EES3_PKS3_PKT2_SC_S9_PKT4_PKT5_S7_PT6_21rocsparse_index_base_b
                                        ; -- End function
	.set _ZN9rocsparseL18bsrxmvn_4x4_kernelILj128ELj4E21rocsparse_complex_numIfEllS2_S2_S2_EEvT3_20rocsparse_direction_NS_24const_host_device_scalarIT1_EES3_PKS3_PKT2_SC_S9_PKT4_PKT5_S7_PT6_21rocsparse_index_base_b.num_vgpr, 160
	.set _ZN9rocsparseL18bsrxmvn_4x4_kernelILj128ELj4E21rocsparse_complex_numIfEllS2_S2_S2_EEvT3_20rocsparse_direction_NS_24const_host_device_scalarIT1_EES3_PKS3_PKT2_SC_S9_PKT4_PKT5_S7_PT6_21rocsparse_index_base_b.num_agpr, 0
	.set _ZN9rocsparseL18bsrxmvn_4x4_kernelILj128ELj4E21rocsparse_complex_numIfEllS2_S2_S2_EEvT3_20rocsparse_direction_NS_24const_host_device_scalarIT1_EES3_PKS3_PKT2_SC_S9_PKT4_PKT5_S7_PT6_21rocsparse_index_base_b.numbered_sgpr, 14
	.set _ZN9rocsparseL18bsrxmvn_4x4_kernelILj128ELj4E21rocsparse_complex_numIfEllS2_S2_S2_EEvT3_20rocsparse_direction_NS_24const_host_device_scalarIT1_EES3_PKS3_PKT2_SC_S9_PKT4_PKT5_S7_PT6_21rocsparse_index_base_b.num_named_barrier, 0
	.set _ZN9rocsparseL18bsrxmvn_4x4_kernelILj128ELj4E21rocsparse_complex_numIfEllS2_S2_S2_EEvT3_20rocsparse_direction_NS_24const_host_device_scalarIT1_EES3_PKS3_PKT2_SC_S9_PKT4_PKT5_S7_PT6_21rocsparse_index_base_b.private_seg_size, 0
	.set _ZN9rocsparseL18bsrxmvn_4x4_kernelILj128ELj4E21rocsparse_complex_numIfEllS2_S2_S2_EEvT3_20rocsparse_direction_NS_24const_host_device_scalarIT1_EES3_PKS3_PKT2_SC_S9_PKT4_PKT5_S7_PT6_21rocsparse_index_base_b.uses_vcc, 1
	.set _ZN9rocsparseL18bsrxmvn_4x4_kernelILj128ELj4E21rocsparse_complex_numIfEllS2_S2_S2_EEvT3_20rocsparse_direction_NS_24const_host_device_scalarIT1_EES3_PKS3_PKT2_SC_S9_PKT4_PKT5_S7_PT6_21rocsparse_index_base_b.uses_flat_scratch, 1
	.set _ZN9rocsparseL18bsrxmvn_4x4_kernelILj128ELj4E21rocsparse_complex_numIfEllS2_S2_S2_EEvT3_20rocsparse_direction_NS_24const_host_device_scalarIT1_EES3_PKS3_PKT2_SC_S9_PKT4_PKT5_S7_PT6_21rocsparse_index_base_b.has_dyn_sized_stack, 0
	.set _ZN9rocsparseL18bsrxmvn_4x4_kernelILj128ELj4E21rocsparse_complex_numIfEllS2_S2_S2_EEvT3_20rocsparse_direction_NS_24const_host_device_scalarIT1_EES3_PKS3_PKT2_SC_S9_PKT4_PKT5_S7_PT6_21rocsparse_index_base_b.has_recursion, 0
	.set _ZN9rocsparseL18bsrxmvn_4x4_kernelILj128ELj4E21rocsparse_complex_numIfEllS2_S2_S2_EEvT3_20rocsparse_direction_NS_24const_host_device_scalarIT1_EES3_PKS3_PKT2_SC_S9_PKT4_PKT5_S7_PT6_21rocsparse_index_base_b.has_indirect_call, 0
	.section	.AMDGPU.csdata,"",@progbits
; Kernel info:
; codeLenInByte = 7656
; TotalNumSgprs: 16
; NumVgprs: 160
; ScratchSize: 0
; MemoryBound: 0
; FloatMode: 240
; IeeeMode: 1
; LDSByteSize: 0 bytes/workgroup (compile time only)
; SGPRBlocks: 0
; VGPRBlocks: 9
; NumSGPRsForWavesPerEU: 16
; NumVGPRsForWavesPerEU: 160
; NamedBarCnt: 0
; Occupancy: 6
; WaveLimiterHint : 1
; COMPUTE_PGM_RSRC2:SCRATCH_EN: 0
; COMPUTE_PGM_RSRC2:USER_SGPR: 2
; COMPUTE_PGM_RSRC2:TRAP_HANDLER: 0
; COMPUTE_PGM_RSRC2:TGID_X_EN: 1
; COMPUTE_PGM_RSRC2:TGID_Y_EN: 0
; COMPUTE_PGM_RSRC2:TGID_Z_EN: 0
; COMPUTE_PGM_RSRC2:TIDIG_COMP_CNT: 0
	.section	.text._ZN9rocsparseL18bsrxmvn_4x4_kernelILj128ELj8E21rocsparse_complex_numIfEllS2_S2_S2_EEvT3_20rocsparse_direction_NS_24const_host_device_scalarIT1_EES3_PKS3_PKT2_SC_S9_PKT4_PKT5_S7_PT6_21rocsparse_index_base_b,"axG",@progbits,_ZN9rocsparseL18bsrxmvn_4x4_kernelILj128ELj8E21rocsparse_complex_numIfEllS2_S2_S2_EEvT3_20rocsparse_direction_NS_24const_host_device_scalarIT1_EES3_PKS3_PKT2_SC_S9_PKT4_PKT5_S7_PT6_21rocsparse_index_base_b,comdat
	.globl	_ZN9rocsparseL18bsrxmvn_4x4_kernelILj128ELj8E21rocsparse_complex_numIfEllS2_S2_S2_EEvT3_20rocsparse_direction_NS_24const_host_device_scalarIT1_EES3_PKS3_PKT2_SC_S9_PKT4_PKT5_S7_PT6_21rocsparse_index_base_b ; -- Begin function _ZN9rocsparseL18bsrxmvn_4x4_kernelILj128ELj8E21rocsparse_complex_numIfEllS2_S2_S2_EEvT3_20rocsparse_direction_NS_24const_host_device_scalarIT1_EES3_PKS3_PKT2_SC_S9_PKT4_PKT5_S7_PT6_21rocsparse_index_base_b
	.p2align	8
	.type	_ZN9rocsparseL18bsrxmvn_4x4_kernelILj128ELj8E21rocsparse_complex_numIfEllS2_S2_S2_EEvT3_20rocsparse_direction_NS_24const_host_device_scalarIT1_EES3_PKS3_PKT2_SC_S9_PKT4_PKT5_S7_PT6_21rocsparse_index_base_b,@function
_ZN9rocsparseL18bsrxmvn_4x4_kernelILj128ELj8E21rocsparse_complex_numIfEllS2_S2_S2_EEvT3_20rocsparse_direction_NS_24const_host_device_scalarIT1_EES3_PKS3_PKT2_SC_S9_PKT4_PKT5_S7_PT6_21rocsparse_index_base_b: ; @_ZN9rocsparseL18bsrxmvn_4x4_kernelILj128ELj8E21rocsparse_complex_numIfEllS2_S2_S2_EEvT3_20rocsparse_direction_NS_24const_host_device_scalarIT1_EES3_PKS3_PKT2_SC_S9_PKT4_PKT5_S7_PT6_21rocsparse_index_base_b
; %bb.0:
	s_clause 0x2
	s_load_b64 s[8:9], s[0:1], 0x60
	s_load_b128 s[4:7], s[0:1], 0x10
	s_load_b64 s[2:3], s[0:1], 0x50
	v_mov_b32_e32 v11, 0
	s_add_nc_u64 s[10:11], s[0:1], 16
	s_add_nc_u64 s[12:13], s[0:1], 0x50
	s_wait_kmcnt 0x0
	s_bitcmp1_b32 s9, 0
	s_cselect_b32 s5, s11, s5
	s_cselect_b32 s4, s10, s4
	;; [unrolled: 1-line block ×4, first 2 shown]
	s_clause 0x1
	flat_load_b64 v[2:3], v11, s[4:5]
	flat_load_b64 v[4:5], v11, s[2:3]
	s_wait_loadcnt_dscnt 0x101
	v_cmp_neq_f32_e32 vcc_lo, 0, v2
	s_wait_xcnt 0x0
	v_cmp_neq_f32_e64 s3, 0, v3
	s_wait_loadcnt_dscnt 0x0
	v_cmp_neq_f32_e64 s4, 1.0, v4
	v_cmp_neq_f32_e64 s2, 0, v5
	s_or_b32 s5, vcc_lo, s3
	s_mov_b32 s3, 0
	s_or_b32 s4, s4, s2
	s_delay_alu instid0(SALU_CYCLE_1) | instskip(NEXT) | instid1(SALU_CYCLE_1)
	s_or_b32 s4, s5, s4
	s_and_saveexec_b32 s5, s4
	s_cbranch_execz .LBB51_6
; %bb.1:
	s_load_b64 s[4:5], s[0:1], 0x20
	s_bfe_u32 s9, ttmp6, 0x4000c
	s_and_b32 s10, ttmp6, 15
	s_add_co_i32 s9, s9, 1
	s_getreg_b32 s11, hwreg(HW_REG_IB_STS2, 6, 4)
	s_mul_i32 s9, ttmp9, s9
	v_lshrrev_b32_e32 v1, 3, v0
	s_add_co_i32 s10, s10, s9
	s_cmp_eq_u32 s11, 0
	s_cselect_b32 s9, ttmp9, s10
	s_delay_alu instid0(VALU_DEP_1) | instid1(SALU_CYCLE_1)
	v_lshl_or_b32 v10, s9, 4, v1
	s_wait_kmcnt 0x0
	s_cmp_lg_u64 s[4:5], 0
	s_cbranch_scc0 .LBB51_7
; %bb.2:
	s_delay_alu instid0(VALU_DEP_1) | instskip(SKIP_2) | instid1(SALU_CYCLE_1)
	v_cmp_gt_i64_e32 vcc_lo, s[6:7], v[10:11]
	s_mov_b32 s6, 0
                                        ; implicit-def: $vgpr6_vgpr7
                                        ; implicit-def: $vgpr8_vgpr9
	s_and_saveexec_b32 s7, vcc_lo
	s_xor_b32 s7, exec_lo, s7
	s_cbranch_execz .LBB51_4
; %bb.3:
	v_lshl_add_u64 v[6:7], v[10:11], 3, s[4:5]
	s_mov_b32 s9, 0
	s_mov_b32 s3, exec_lo
	v_mov_b64_e32 v[8:9], s[8:9]
	global_load_b64 v[6:7], v[6:7], off
	s_wait_loadcnt 0x0
	v_sub_nc_u64_e64 v[6:7], v[6:7], s[8:9]
.LBB51_4:
	s_or_b32 exec_lo, exec_lo, s7
	s_delay_alu instid0(SALU_CYCLE_1)
	s_and_b32 vcc_lo, exec_lo, s6
	s_cbranch_vccnz .LBB51_8
.LBB51_5:
	s_and_b32 exec_lo, exec_lo, s3
	s_cbranch_execnz .LBB51_11
.LBB51_6:
	s_sendmsg sendmsg(MSG_DEALLOC_VGPRS)
	s_endpgm
.LBB51_7:
                                        ; implicit-def: $vgpr6_vgpr7
                                        ; implicit-def: $vgpr8_vgpr9
	s_cbranch_execz .LBB51_5
.LBB51_8:
	s_load_b64 s[4:5], s[0:1], 0x0
	s_wait_kmcnt 0x0
	v_cmp_gt_i64_e32 vcc_lo, s[4:5], v[10:11]
	s_and_saveexec_b32 s4, vcc_lo
; %bb.9:
	s_mov_b32 s9, 0
	s_or_b32 s3, s3, exec_lo
; %bb.10:
	s_or_b32 exec_lo, exec_lo, s4
	v_mov_b64_e32 v[8:9], s[8:9]
	v_mov_b64_e32 v[6:7], v[10:11]
	s_and_b32 exec_lo, exec_lo, s3
	s_cbranch_execz .LBB51_6
.LBB51_11:
	s_load_b256 s[4:11], s[0:1], 0x28
	s_delay_alu instid0(VALU_DEP_1) | instskip(SKIP_2) | instid1(VALU_DEP_2)
	v_lshlrev_b64_e32 v[10:11], 3, v[6:7]
	v_dual_mov_b32 v1, 0 :: v_dual_bitop2_b32 v0, 7, v0 bitop3:0x40
	s_wait_kmcnt 0x0
	v_add_nc_u64_e32 v[12:13], s[4:5], v[10:11]
	v_add_nc_u64_e32 v[10:11], s[6:7], v[10:11]
	s_cmp_eq_u64 s[6:7], 0
	s_clause 0x1
	s_load_b32 s6, s[0:1], 0x8
	s_load_b64 s[4:5], s[0:1], 0x48
	s_cselect_b32 vcc_lo, -1, 0
	global_load_b64 v[24:25], v[12:13], off
	s_wait_xcnt 0x0
	v_add_nc_u64_e32 v[12:13], 8, v[12:13]
	s_delay_alu instid0(VALU_DEP_1)
	v_dual_cndmask_b32 v11, v11, v13 :: v_dual_cndmask_b32 v10, v10, v12
	global_load_b64 v[12:13], v[10:11], off
	s_wait_kmcnt 0x0
	s_cmp_eq_u32 s6, 1
	s_wait_loadcnt 0x1
	s_wait_xcnt 0x0
	v_sub_nc_u64_e32 v[10:11], v[24:25], v[8:9]
	s_delay_alu instid0(VALU_DEP_1) | instskip(SKIP_2) | instid1(VALU_DEP_2)
	v_add_nc_u64_e32 v[10:11], v[10:11], v[0:1]
	s_wait_loadcnt 0x0
	v_sub_nc_u64_e32 v[12:13], v[12:13], v[8:9]
	v_lshlrev_b64_e32 v[14:15], 7, v[10:11]
	s_delay_alu instid0(VALU_DEP_2) | instskip(NEXT) | instid1(VALU_DEP_2)
	v_cmp_lt_i64_e64 s3, v[10:11], v[12:13]
	v_add_nc_u64_e32 v[14:15], s[10:11], v[14:15]
	s_cbranch_scc1 .LBB51_23
; %bb.12:
	v_dual_mov_b32 v23, v1 :: v_dual_mov_b32 v22, v1
	v_dual_mov_b32 v17, v1 :: v_dual_mov_b32 v16, v1
	v_dual_mov_b32 v21, v1 :: v_dual_mov_b32 v20, v1
	v_dual_mov_b32 v19, v1 :: v_dual_mov_b32 v18, v1
	s_and_saveexec_b32 s6, s3
	s_cbranch_execz .LBB51_22
; %bb.13:
	v_dual_mov_b32 v17, v1 :: v_dual_bitop2_b32 v16, 8, v0 bitop3:0x54
	v_sub_nc_u64_e32 v[18:19], v[8:9], v[0:1]
	v_not_b32_e32 v21, v25
	v_not_b32_e32 v20, v24
	v_mov_b64_e32 v[28:29], v[14:15]
	v_sub_nc_u64_e32 v[16:17], v[16:17], v[8:9]
	v_mov_b64_e32 v[26:27], v[10:11]
	s_delay_alu instid0(VALU_DEP_4) | instskip(NEXT) | instid1(VALU_DEP_3)
	v_add_nc_u64_e32 v[18:19], v[18:19], v[20:21]
	v_add_nc_u64_e32 v[16:17], v[16:17], v[24:25]
	s_delay_alu instid0(VALU_DEP_1) | instskip(NEXT) | instid1(VALU_DEP_1)
	v_max_i64 v[16:17], v[16:17], v[12:13]
	v_add_nc_u64_e32 v[30:31], v[18:19], v[16:17]
	s_delay_alu instid0(VALU_DEP_1) | instskip(NEXT) | instid1(VALU_DEP_1)
	v_dual_mov_b32 v19, 0 :: v_dual_bitop2_b32 v18, 24, v30 bitop3:0x40
	v_dual_mov_b32 v21, v19 :: v_dual_mov_b32 v20, v19
	v_dual_mov_b32 v17, v19 :: v_dual_mov_b32 v16, v19
	s_delay_alu instid0(VALU_DEP_3)
	v_cmp_ne_u64_e32 vcc_lo, 24, v[18:19]
	v_dual_mov_b32 v22, v19 :: v_dual_mov_b32 v18, v19
	v_mov_b32_e32 v23, v19
	s_and_saveexec_b32 s7, vcc_lo
	s_cbranch_execz .LBB51_17
; %bb.14:
	v_dual_mov_b32 v19, 0 :: v_dual_lshrrev_b32 v16, 3, v30
	v_mov_b64_e32 v[26:27], v[10:11]
	v_mov_b64_e32 v[28:29], v[14:15]
	v_lshl_add_u64 v[32:33], v[10:11], 3, s[8:9]
	s_delay_alu instid0(VALU_DEP_4) | instskip(SKIP_1) | instid1(VALU_DEP_2)
	v_dual_add_nc_u32 v16, 1, v16 :: v_dual_mov_b32 v20, v19
	v_dual_mov_b32 v17, v19 :: v_dual_mov_b32 v22, v19
	v_dual_mov_b32 v23, v19 :: v_dual_bitop2_b32 v18, 3, v16 bitop3:0x40
	v_dual_mov_b32 v21, v19 :: v_dual_mov_b32 v16, v19
	s_mov_b32 s10, 0
	s_delay_alu instid0(VALU_DEP_2)
	v_sub_nc_u64_e32 v[34:35], 0, v[18:19]
	v_mov_b32_e32 v18, v19
.LBB51_15:                              ; =>This Inner Loop Header: Depth=1
	global_load_b64 v[36:37], v[32:33], off
	v_add_nc_u64_e32 v[34:35], 1, v[34:35]
	v_add_nc_u64_e32 v[26:27], 8, v[26:27]
	s_wait_xcnt 0x0
	v_add_nc_u64_e32 v[32:33], 64, v[32:33]
	s_delay_alu instid0(VALU_DEP_3)
	v_cmp_eq_u64_e32 vcc_lo, 0, v[34:35]
	s_or_b32 s10, vcc_lo, s10
	s_wait_loadcnt 0x0
	v_sub_nc_u64_e32 v[44:45], v[36:37], v[8:9]
	s_clause 0x1
	global_load_b128 v[36:39], v[28:29], off offset:16
	global_load_b128 v[40:43], v[28:29], off
	v_lshlrev_b64_e32 v[56:57], 5, v[44:45]
	s_clause 0x2
	global_load_b128 v[44:47], v[28:29], off offset:48
	global_load_b128 v[48:51], v[28:29], off offset:32
	;; [unrolled: 1-line block ×3, first 2 shown]
	v_add_nc_u64_e32 v[76:77], s[4:5], v[56:57]
	s_clause 0x2
	global_load_b128 v[56:59], v[28:29], off offset:80
	global_load_b128 v[60:63], v[28:29], off offset:112
	global_load_b128 v[64:67], v[28:29], off offset:96
	s_clause 0x1
	global_load_b128 v[68:71], v[76:77], off
	global_load_b128 v[72:75], v[76:77], off offset:16
	s_wait_xcnt 0x2
	v_add_nc_u64_e32 v[28:29], 0x400, v[28:29]
	s_wait_loadcnt 0x9
	v_xor_b32_e32 v78, 0x80000000, v39
	s_wait_loadcnt 0x8
	s_wait_xcnt 0x0
	v_xor_b32_e32 v76, 0x80000000, v43
	v_dual_mov_b32 v77, v42 :: v_dual_mov_b32 v79, v38
	s_wait_loadcnt 0x7
	v_xor_b32_e32 v82, 0x80000000, v47
	s_wait_loadcnt 0x6
	v_xor_b32_e32 v80, 0x80000000, v51
	v_dual_mov_b32 v81, v50 :: v_dual_mov_b32 v83, v46
	s_wait_loadcnt 0x5
	v_xor_b32_e32 v84, 0x80000000, v55
	v_mov_b32_e32 v85, v54
	s_wait_loadcnt 0x4
	v_xor_b32_e32 v86, 0x80000000, v59
	v_mov_b32_e32 v87, v58
	s_wait_loadcnt 0x2
	v_xor_b32_e32 v88, 0x80000000, v67
	s_wait_loadcnt 0x1
	v_pk_fma_f32 v[22:23], v[40:41], v[68:69], v[22:23] op_sel_hi:[1,0,1]
	v_pk_fma_f32 v[18:19], v[48:49], v[68:69], v[18:19] op_sel_hi:[1,0,1]
	;; [unrolled: 1-line block ×4, first 2 shown]
	v_mov_b32_e32 v89, v66
	v_pk_fma_f32 v[22:23], v[40:41], v[68:69], v[22:23] op_sel:[1,1,0] op_sel_hi:[0,1,1] neg_lo:[1,0,0]
	v_pk_fma_f32 v[18:19], v[48:49], v[68:69], v[18:19] op_sel:[1,1,0] op_sel_hi:[0,1,1] neg_lo:[1,0,0]
	;; [unrolled: 1-line block ×4, first 2 shown]
	v_mov_b32_e32 v40, v71
	v_pk_fma_f32 v[22:23], v[42:43], v[70:71], v[22:23] op_sel_hi:[1,0,1]
	v_pk_fma_f32 v[18:19], v[50:51], v[70:71], v[18:19] op_sel_hi:[1,0,1]
	;; [unrolled: 1-line block ×4, first 2 shown]
	s_delay_alu instid0(VALU_DEP_4) | instskip(NEXT) | instid1(VALU_DEP_4)
	v_pk_fma_f32 v[22:23], v[76:77], v[40:41], v[22:23] op_sel_hi:[1,0,1]
	v_pk_fma_f32 v[18:19], v[80:81], v[40:41], v[18:19] op_sel_hi:[1,0,1]
	s_delay_alu instid0(VALU_DEP_4) | instskip(NEXT) | instid1(VALU_DEP_4)
	v_pk_fma_f32 v[20:21], v[84:85], v[40:41], v[20:21] op_sel_hi:[1,0,1]
	v_pk_fma_f32 v[16:17], v[88:89], v[40:41], v[16:17] op_sel_hi:[1,0,1]
	v_xor_b32_e32 v40, 0x80000000, v63
	s_wait_loadcnt 0x0
	v_pk_fma_f32 v[22:23], v[36:37], v[72:73], v[22:23] op_sel_hi:[1,0,1]
	v_pk_fma_f32 v[18:19], v[44:45], v[72:73], v[18:19] op_sel_hi:[1,0,1]
	;; [unrolled: 1-line block ×4, first 2 shown]
	v_mov_b32_e32 v41, v62
	v_pk_fma_f32 v[22:23], v[36:37], v[72:73], v[22:23] op_sel:[1,1,0] op_sel_hi:[0,1,1] neg_lo:[1,0,0]
	v_pk_fma_f32 v[18:19], v[44:45], v[72:73], v[18:19] op_sel:[1,1,0] op_sel_hi:[0,1,1] neg_lo:[1,0,0]
	;; [unrolled: 1-line block ×4, first 2 shown]
	v_mov_b32_e32 v36, v75
	v_pk_fma_f32 v[22:23], v[38:39], v[74:75], v[22:23] op_sel_hi:[1,0,1]
	v_pk_fma_f32 v[18:19], v[46:47], v[74:75], v[18:19] op_sel_hi:[1,0,1]
	;; [unrolled: 1-line block ×4, first 2 shown]
	s_delay_alu instid0(VALU_DEP_4) | instskip(NEXT) | instid1(VALU_DEP_4)
	v_pk_fma_f32 v[22:23], v[78:79], v[36:37], v[22:23] op_sel_hi:[1,0,1]
	v_pk_fma_f32 v[18:19], v[82:83], v[36:37], v[18:19] op_sel_hi:[1,0,1]
	s_delay_alu instid0(VALU_DEP_4) | instskip(NEXT) | instid1(VALU_DEP_4)
	v_pk_fma_f32 v[20:21], v[86:87], v[36:37], v[20:21] op_sel_hi:[1,0,1]
	v_pk_fma_f32 v[16:17], v[40:41], v[36:37], v[16:17] op_sel_hi:[1,0,1]
	s_and_not1_b32 exec_lo, exec_lo, s10
	s_cbranch_execnz .LBB51_15
; %bb.16:
	s_or_b32 exec_lo, exec_lo, s10
.LBB51_17:
	s_delay_alu instid0(SALU_CYCLE_1) | instskip(NEXT) | instid1(SALU_CYCLE_1)
	s_or_b32 exec_lo, exec_lo, s7
	s_mov_b32 s7, exec_lo
	v_cmpx_lt_u64_e32 23, v[30:31]
	s_cbranch_execz .LBB51_21
; %bb.18:
	v_lshl_add_u64 v[30:31], v[26:27], 3, s[8:9]
	s_mov_b32 s10, 0
	s_delay_alu instid0(VALU_DEP_1)
	v_add_nc_u64_e32 v[30:31], 0x80, v[30:31]
.LBB51_19:                              ; =>This Inner Loop Header: Depth=1
	global_load_b64 v[136:137], v[30:31], off offset:-128
	s_clause 0x11
	global_load_b128 v[32:35], v[28:29], off
	global_load_b128 v[36:39], v[28:29], off offset:16
	global_load_b128 v[40:43], v[28:29], off offset:48
	;; [unrolled: 1-line block ×17, first 2 shown]
	s_clause 0x2
	global_load_b64 v[144:145], v[30:31], off offset:-64
	global_load_b64 v[146:147], v[30:31], off
	global_load_b64 v[148:149], v[30:31], off offset:64
	s_clause 0x7
	global_load_b128 v[104:107], v[28:29], off offset:2064
	global_load_b128 v[108:111], v[28:29], off offset:2048
	;; [unrolled: 1-line block ×8, first 2 shown]
	v_add_nc_u64_e32 v[26:27], 32, v[26:27]
	s_wait_xcnt 0x8
	v_add_nc_u64_e32 v[30:31], 0x100, v[30:31]
	s_delay_alu instid0(VALU_DEP_2)
	v_cmp_ge_i64_e32 vcc_lo, v[26:27], v[12:13]
	s_or_b32 s10, vcc_lo, s10
	s_wait_loadcnt 0x1d
	v_sub_nc_u64_e32 v[136:137], v[136:137], v[8:9]
	s_wait_loadcnt 0x1c
	v_xor_b32_e32 v150, 0x80000000, v35
	v_mov_b32_e32 v151, v34
	s_delay_alu instid0(VALU_DEP_3) | instskip(SKIP_3) | instid1(VALU_DEP_3)
	v_lshlrev_b64_e32 v[136:137], 5, v[136:137]
	s_wait_loadcnt 0x11
	v_xor_b32_e32 v156, 0x80000000, v79
	v_mov_b32_e32 v157, v78
	v_add_nc_u64_e32 v[152:153], s[4:5], v[136:137]
	s_clause 0x1
	global_load_b128 v[136:139], v[152:153], off
	global_load_b128 v[140:143], v[152:153], off offset:16
	s_wait_xcnt 0x0
	v_xor_b32_e32 v152, 0x80000000, v47
	v_mov_b32_e32 v153, v46
	s_wait_loadcnt 0x1
	v_pk_fma_f32 v[18:19], v[44:45], v[136:137], v[18:19] op_sel_hi:[1,0,1]
	v_pk_fma_f32 v[22:23], v[32:33], v[136:137], v[22:23] op_sel_hi:[1,0,1]
	;; [unrolled: 1-line block ×3, first 2 shown]
	s_delay_alu instid0(VALU_DEP_3) | instskip(NEXT) | instid1(VALU_DEP_3)
	v_pk_fma_f32 v[18:19], v[44:45], v[136:137], v[18:19] op_sel:[1,1,0] op_sel_hi:[0,1,1] neg_lo:[1,0,0]
	v_pk_fma_f32 v[22:23], v[32:33], v[136:137], v[22:23] op_sel:[1,1,0] op_sel_hi:[0,1,1] neg_lo:[1,0,0]
	s_delay_alu instid0(VALU_DEP_3) | instskip(NEXT) | instid1(VALU_DEP_3)
	v_pk_fma_f32 v[16:17], v[68:69], v[136:137], v[16:17] op_sel:[1,1,0] op_sel_hi:[0,1,1] neg_lo:[1,0,0]
	v_pk_fma_f32 v[154:155], v[46:47], v[138:139], v[18:19] op_sel_hi:[1,0,1]
	v_pk_fma_f32 v[18:19], v[76:77], v[136:137], v[20:21] op_sel_hi:[1,0,1]
	s_delay_alu instid0(VALU_DEP_4) | instskip(NEXT) | instid1(VALU_DEP_4)
	v_pk_fma_f32 v[22:23], v[34:35], v[138:139], v[22:23] op_sel_hi:[1,0,1]
	v_pk_fma_f32 v[16:17], v[70:71], v[138:139], v[16:17] op_sel_hi:[1,0,1]
	s_clause 0x1
	global_load_b128 v[32:35], v[28:29], off offset:3088
	global_load_b128 v[44:47], v[28:29], off offset:3136
	v_pk_fma_f32 v[18:19], v[76:77], v[136:137], v[18:19] op_sel:[1,1,0] op_sel_hi:[0,1,1] neg_lo:[1,0,0]
	v_mov_b32_e32 v136, v139
	s_delay_alu instid0(VALU_DEP_2) | instskip(SKIP_1) | instid1(VALU_DEP_3)
	v_pk_fma_f32 v[76:77], v[78:79], v[138:139], v[18:19] op_sel_hi:[1,0,1]
	v_mov_b32_e32 v79, v70
	v_pk_fma_f32 v[22:23], v[150:151], v[136:137], v[22:23] op_sel_hi:[1,0,1]
	v_mov_b32_e32 v151, v38
	v_pk_fma_f32 v[138:139], v[152:153], v[136:137], v[154:155] op_sel_hi:[1,0,1]
	v_pk_fma_f32 v[152:153], v[156:157], v[136:137], v[76:77] op_sel_hi:[1,0,1]
	v_sub_nc_u64_e32 v[76:77], v[144:145], v[8:9]
	v_sub_nc_u64_e32 v[144:145], v[146:147], v[8:9]
	v_xor_b32_e32 v78, 0x80000000, v71
	s_wait_loadcnt 0x2
	v_pk_fma_f32 v[22:23], v[36:37], v[140:141], v[22:23] op_sel_hi:[1,0,1]
	s_clause 0x1
	global_load_b128 v[18:21], v[28:29], off offset:3072
	global_load_b128 v[68:71], v[28:29], off offset:3168
	v_xor_b32_e32 v150, 0x80000000, v39
	v_lshlrev_b64_e32 v[76:77], 5, v[76:77]
	v_pk_fma_f32 v[16:17], v[78:79], v[136:137], v[16:17] op_sel_hi:[1,0,1]
	v_lshlrev_b64_e32 v[78:79], 5, v[144:145]
	v_pk_fma_f32 v[22:23], v[36:37], v[140:141], v[22:23] op_sel:[1,1,0] op_sel_hi:[0,1,1] neg_lo:[1,0,0]
	v_sub_nc_u64_e32 v[136:137], v[148:149], v[8:9]
	v_pk_fma_f32 v[138:139], v[40:41], v[140:141], v[138:139] op_sel_hi:[1,0,1]
	v_xor_b32_e32 v154, 0x80000000, v43
	v_add_nc_u64_e32 v[144:145], s[4:5], v[76:77]
	v_pk_fma_f32 v[22:23], v[38:39], v[142:143], v[22:23] op_sel_hi:[1,0,1]
	v_add_nc_u64_e32 v[148:149], s[4:5], v[78:79]
	v_pk_fma_f32 v[40:41], v[40:41], v[140:141], v[138:139] op_sel:[1,1,0] op_sel_hi:[0,1,1] neg_lo:[1,0,0]
	v_dual_mov_b32 v155, v42 :: v_dual_mov_b32 v147, v74
	s_clause 0x1
	global_load_b128 v[36:39], v[144:145], off
	global_load_b128 v[76:79], v[144:145], off offset:16
	s_wait_xcnt 0x0
	v_pk_fma_f32 v[144:145], v[42:43], v[142:143], v[40:41] op_sel_hi:[1,0,1]
	global_load_b128 v[40:43], v[148:149], off
	v_pk_fma_f32 v[138:139], v[72:73], v[140:141], v[152:153] op_sel_hi:[1,0,1]
	v_xor_b32_e32 v146, 0x80000000, v75
	v_pk_fma_f32 v[16:17], v[64:65], v[140:141], v[16:17] op_sel_hi:[1,0,1]
	v_xor_b32_e32 v156, 0x80000000, v67
	v_mov_b32_e32 v157, v66
	v_pk_fma_f32 v[72:73], v[72:73], v[140:141], v[138:139] op_sel:[1,1,0] op_sel_hi:[0,1,1] neg_lo:[1,0,0]
	s_delay_alu instid0(VALU_DEP_4) | instskip(NEXT) | instid1(VALU_DEP_2)
	v_pk_fma_f32 v[16:17], v[64:65], v[140:141], v[16:17] op_sel:[1,1,0] op_sel_hi:[0,1,1] neg_lo:[1,0,0]
	v_pk_fma_f32 v[152:153], v[74:75], v[142:143], v[72:73] op_sel_hi:[1,0,1]
	v_lshlrev_b64_e32 v[72:73], 5, v[136:137]
	s_delay_alu instid0(VALU_DEP_3)
	v_pk_fma_f32 v[16:17], v[66:67], v[142:143], v[16:17] op_sel_hi:[1,0,1]
	global_load_b128 v[136:139], v[28:29], off offset:3152
	v_add_nc_u64_e32 v[158:159], s[4:5], v[72:73]
	global_load_b128 v[72:75], v[148:149], off offset:16
	s_wait_xcnt 0x0
	v_mov_b32_e32 v148, v143
	global_load_b128 v[140:143], v[28:29], off offset:3184
	s_wait_xcnt 0x0
	v_add_nc_u64_e32 v[28:29], 0x1000, v[28:29]
	global_load_b128 v[64:67], v[158:159], off
	v_pk_fma_f32 v[22:23], v[150:151], v[148:149], v[22:23] op_sel_hi:[1,0,1]
	v_pk_fma_f32 v[150:151], v[154:155], v[148:149], v[144:145] op_sel_hi:[1,0,1]
	;; [unrolled: 1-line block ×3, first 2 shown]
	global_load_b128 v[144:147], v[158:159], off offset:16
	v_pk_fma_f32 v[16:17], v[156:157], v[148:149], v[16:17] op_sel_hi:[1,0,1]
	v_xor_b32_e32 v148, 0x80000000, v63
	v_mov_b32_e32 v149, v62
	s_wait_loadcnt 0x7
	v_pk_fma_f32 v[22:23], v[60:61], v[36:37], v[22:23] op_sel_hi:[1,0,1]
	v_pk_fma_f32 v[150:151], v[52:53], v[36:37], v[150:151] op_sel_hi:[1,0,1]
	;; [unrolled: 1-line block ×4, first 2 shown]
	s_delay_alu instid0(VALU_DEP_4) | instskip(NEXT) | instid1(VALU_DEP_4)
	v_pk_fma_f32 v[22:23], v[60:61], v[36:37], v[22:23] op_sel:[1,1,0] op_sel_hi:[0,1,1] neg_lo:[1,0,0]
	v_pk_fma_f32 v[52:53], v[52:53], v[36:37], v[150:151] op_sel:[1,1,0] op_sel_hi:[0,1,1] neg_lo:[1,0,0]
	s_delay_alu instid0(VALU_DEP_4) | instskip(NEXT) | instid1(VALU_DEP_4)
	v_pk_fma_f32 v[92:93], v[92:93], v[36:37], v[152:153] op_sel:[1,1,0] op_sel_hi:[0,1,1] neg_lo:[1,0,0]
	v_pk_fma_f32 v[16:17], v[84:85], v[36:37], v[16:17] op_sel:[1,1,0] op_sel_hi:[0,1,1] neg_lo:[1,0,0]
	v_xor_b32_e32 v60, 0x80000000, v55
	v_pk_fma_f32 v[22:23], v[62:63], v[38:39], v[22:23] op_sel_hi:[1,0,1]
	v_mov_b32_e32 v61, v54
	v_xor_b32_e32 v62, 0x80000000, v95
	v_mov_b32_e32 v63, v94
	v_pk_fma_f32 v[52:53], v[54:55], v[38:39], v[52:53] op_sel_hi:[1,0,1]
	v_xor_b32_e32 v54, 0x80000000, v87
	v_mov_b32_e32 v55, v86
	v_pk_fma_f32 v[92:93], v[94:95], v[38:39], v[92:93] op_sel_hi:[1,0,1]
	v_pk_fma_f32 v[16:17], v[86:87], v[38:39], v[16:17] op_sel_hi:[1,0,1]
	v_dual_mov_b32 v85, v110 :: v_dual_mov_b32 v38, v39
	v_xor_b32_e32 v150, 0x80000000, v59
	v_dual_mov_b32 v151, v58 :: v_dual_mov_b32 v95, v50
	v_xor_b32_e32 v94, 0x80000000, v51
	s_delay_alu instid0(VALU_DEP_4)
	v_pk_fma_f32 v[22:23], v[148:149], v[38:39], v[22:23] op_sel_hi:[1,0,1]
	v_pk_fma_f32 v[52:53], v[60:61], v[38:39], v[52:53] op_sel_hi:[1,0,1]
	;; [unrolled: 1-line block ×4, first 2 shown]
	v_xor_b32_e32 v152, 0x80000000, v91
	s_wait_loadcnt 0x6
	v_pk_fma_f32 v[22:23], v[56:57], v[76:77], v[22:23] op_sel_hi:[1,0,1]
	v_pk_fma_f32 v[52:53], v[48:49], v[76:77], v[52:53] op_sel_hi:[1,0,1]
	;; [unrolled: 1-line block ×4, first 2 shown]
	v_dual_mov_b32 v153, v90 :: v_dual_mov_b32 v37, v82
	v_pk_fma_f32 v[22:23], v[56:57], v[76:77], v[22:23] op_sel:[1,1,0] op_sel_hi:[0,1,1] neg_lo:[1,0,0]
	v_pk_fma_f32 v[48:49], v[48:49], v[76:77], v[52:53] op_sel:[1,1,0] op_sel_hi:[0,1,1] neg_lo:[1,0,0]
	;; [unrolled: 1-line block ×4, first 2 shown]
	v_xor_b32_e32 v36, 0x80000000, v83
	v_pk_fma_f32 v[22:23], v[58:59], v[78:79], v[22:23] op_sel_hi:[1,0,1]
	v_pk_fma_f32 v[48:49], v[50:51], v[78:79], v[48:49] op_sel_hi:[1,0,1]
	v_dual_mov_b32 v51, v130 :: v_dual_mov_b32 v62, v79
	v_pk_fma_f32 v[52:53], v[90:91], v[78:79], v[52:53] op_sel_hi:[1,0,1]
	v_pk_fma_f32 v[16:17], v[82:83], v[78:79], v[16:17] op_sel_hi:[1,0,1]
	v_xor_b32_e32 v84, 0x80000000, v111
	v_xor_b32_e32 v86, 0x80000000, v103
	v_pk_fma_f32 v[22:23], v[150:151], v[62:63], v[22:23] op_sel_hi:[1,0,1]
	v_pk_fma_f32 v[48:49], v[94:95], v[62:63], v[48:49] op_sel_hi:[1,0,1]
	;; [unrolled: 1-line block ×4, first 2 shown]
	v_dual_mov_b32 v87, v102 :: v_dual_mov_b32 v149, v126
	s_wait_loadcnt 0x5
	v_pk_fma_f32 v[22:23], v[108:109], v[40:41], v[22:23] op_sel_hi:[1,0,1]
	v_pk_fma_f32 v[36:37], v[100:101], v[40:41], v[48:49] op_sel_hi:[1,0,1]
	;; [unrolled: 1-line block ×4, first 2 shown]
	v_xor_b32_e32 v148, 0x80000000, v127
	v_pk_fma_f32 v[22:23], v[108:109], v[40:41], v[22:23] op_sel:[1,1,0] op_sel_hi:[0,1,1] neg_lo:[1,0,0]
	v_pk_fma_f32 v[36:37], v[100:101], v[40:41], v[36:37] op_sel:[1,1,0] op_sel_hi:[0,1,1] neg_lo:[1,0,0]
	;; [unrolled: 1-line block ×4, first 2 shown]
	v_xor_b32_e32 v60, 0x80000000, v119
	v_dual_mov_b32 v61, v118 :: v_dual_mov_b32 v93, v106
	v_dual_mov_b32 v77, v122 :: v_dual_mov_b32 v40, v43
	v_pk_fma_f32 v[22:23], v[110:111], v[42:43], v[22:23] op_sel_hi:[1,0,1]
	v_pk_fma_f32 v[36:37], v[102:103], v[42:43], v[36:37] op_sel_hi:[1,0,1]
	;; [unrolled: 1-line block ×4, first 2 shown]
	v_xor_b32_e32 v92, 0x80000000, v107
	v_pk_fma_f32 v[22:23], v[84:85], v[40:41], v[22:23] op_sel_hi:[1,0,1]
	v_pk_fma_f32 v[36:37], v[86:87], v[40:41], v[36:37] op_sel_hi:[1,0,1]
	;; [unrolled: 1-line block ×4, first 2 shown]
	v_xor_b32_e32 v56, 0x80000000, v99
	s_wait_loadcnt 0x3
	v_pk_fma_f32 v[22:23], v[104:105], v[72:73], v[22:23] op_sel_hi:[1,0,1]
	v_pk_fma_f32 v[36:37], v[96:97], v[72:73], v[36:37] op_sel_hi:[1,0,1]
	;; [unrolled: 1-line block ×4, first 2 shown]
	v_dual_mov_b32 v57, v98 :: v_dual_mov_b32 v59, v134
	v_pk_fma_f32 v[22:23], v[104:105], v[72:73], v[22:23] op_sel:[1,1,0] op_sel_hi:[0,1,1] neg_lo:[1,0,0]
	v_pk_fma_f32 v[36:37], v[96:97], v[72:73], v[36:37] op_sel:[1,1,0] op_sel_hi:[0,1,1] neg_lo:[1,0,0]
	;; [unrolled: 1-line block ×4, first 2 shown]
	v_xor_b32_e32 v76, 0x80000000, v123
	v_dual_mov_b32 v53, v46 :: v_dual_mov_b32 v41, v114
	v_xor_b32_e32 v40, 0x80000000, v115
	v_mov_b32_e32 v48, v75
	v_pk_fma_f32 v[22:23], v[106:107], v[74:75], v[22:23] op_sel_hi:[1,0,1]
	v_pk_fma_f32 v[36:37], v[98:99], v[74:75], v[36:37] op_sel_hi:[1,0,1]
	;; [unrolled: 1-line block ×4, first 2 shown]
	v_xor_b32_e32 v38, 0x80000000, v21
	v_dual_mov_b32 v39, v20 :: v_dual_mov_b32 v55, v34
	v_xor_b32_e32 v58, 0x80000000, v135
	s_delay_alu instid0(VALU_DEP_4)
	v_pk_fma_f32 v[16:17], v[40:41], v[48:49], v[16:17] op_sel_hi:[1,0,1]
	v_mov_b32_e32 v41, v70
	v_pk_fma_f32 v[22:23], v[92:93], v[48:49], v[22:23] op_sel_hi:[1,0,1]
	v_pk_fma_f32 v[36:37], v[56:57], v[48:49], v[36:37] op_sel_hi:[1,0,1]
	;; [unrolled: 1-line block ×3, first 2 shown]
	s_wait_loadcnt 0x1
	v_pk_fma_f32 v[16:17], v[68:69], v[64:65], v[16:17] op_sel_hi:[1,0,1]
	v_xor_b32_e32 v52, 0x80000000, v47
	v_pk_fma_f32 v[22:23], v[18:19], v[64:65], v[22:23] op_sel_hi:[1,0,1]
	v_pk_fma_f32 v[36:37], v[132:133], v[64:65], v[36:37] op_sel_hi:[1,0,1]
	;; [unrolled: 1-line block ×3, first 2 shown]
	v_pk_fma_f32 v[16:17], v[68:69], v[64:65], v[16:17] op_sel:[1,1,0] op_sel_hi:[0,1,1] neg_lo:[1,0,0]
	v_xor_b32_e32 v40, 0x80000000, v71
	v_pk_fma_f32 v[18:19], v[18:19], v[64:65], v[22:23] op_sel:[1,1,0] op_sel_hi:[0,1,1] neg_lo:[1,0,0]
	v_pk_fma_f32 v[22:23], v[132:133], v[64:65], v[36:37] op_sel:[1,1,0] op_sel_hi:[0,1,1] neg_lo:[1,0,0]
	;; [unrolled: 1-line block ×3, first 2 shown]
	v_dual_mov_b32 v42, v67 :: v_dual_mov_b32 v61, v138
	s_delay_alu instid0(VALU_DEP_4) | instskip(NEXT) | instid1(VALU_DEP_4)
	v_pk_fma_f32 v[18:19], v[20:21], v[66:67], v[18:19] op_sel_hi:[1,0,1]
	v_pk_fma_f32 v[20:21], v[134:135], v[66:67], v[22:23] op_sel_hi:[1,0,1]
	s_delay_alu instid0(VALU_DEP_4)
	v_pk_fma_f32 v[22:23], v[46:47], v[66:67], v[36:37] op_sel_hi:[1,0,1]
	v_pk_fma_f32 v[16:17], v[70:71], v[66:67], v[16:17] op_sel_hi:[1,0,1]
	v_xor_b32_e32 v54, 0x80000000, v35
	v_pk_fma_f32 v[18:19], v[38:39], v[42:43], v[18:19] op_sel_hi:[1,0,1]
	v_pk_fma_f32 v[20:21], v[58:59], v[42:43], v[20:21] op_sel_hi:[1,0,1]
	;; [unrolled: 1-line block ×4, first 2 shown]
	v_xor_b32_e32 v50, 0x80000000, v131
	s_wait_loadcnt 0x0
	v_pk_fma_f32 v[18:19], v[32:33], v[144:145], v[18:19] op_sel_hi:[1,0,1]
	v_pk_fma_f32 v[20:21], v[128:129], v[144:145], v[20:21] op_sel_hi:[1,0,1]
	;; [unrolled: 1-line block ×4, first 2 shown]
	v_xor_b32_e32 v60, 0x80000000, v139
	v_pk_fma_f32 v[18:19], v[32:33], v[144:145], v[18:19] op_sel:[1,1,0] op_sel_hi:[0,1,1] neg_lo:[1,0,0]
	v_pk_fma_f32 v[20:21], v[128:129], v[144:145], v[20:21] op_sel:[1,1,0] op_sel_hi:[0,1,1] neg_lo:[1,0,0]
	v_pk_fma_f32 v[22:23], v[136:137], v[144:145], v[22:23] op_sel:[1,1,0] op_sel_hi:[0,1,1] neg_lo:[1,0,0]
	v_pk_fma_f32 v[16:17], v[140:141], v[144:145], v[16:17] op_sel:[1,1,0] op_sel_hi:[0,1,1] neg_lo:[1,0,0]
	v_xor_b32_e32 v36, 0x80000000, v143
	v_dual_mov_b32 v37, v142 :: v_dual_mov_b32 v32, v147
	v_pk_fma_f32 v[18:19], v[34:35], v[146:147], v[18:19] op_sel_hi:[1,0,1]
	v_pk_fma_f32 v[20:21], v[130:131], v[146:147], v[20:21] op_sel_hi:[1,0,1]
	;; [unrolled: 1-line block ×4, first 2 shown]
	s_delay_alu instid0(VALU_DEP_4) | instskip(NEXT) | instid1(VALU_DEP_4)
	v_pk_fma_f32 v[22:23], v[54:55], v[32:33], v[18:19] op_sel_hi:[1,0,1]
	v_pk_fma_f32 v[18:19], v[50:51], v[32:33], v[20:21] op_sel_hi:[1,0,1]
	s_delay_alu instid0(VALU_DEP_4) | instskip(NEXT) | instid1(VALU_DEP_4)
	v_pk_fma_f32 v[20:21], v[60:61], v[32:33], v[34:35] op_sel_hi:[1,0,1]
	v_pk_fma_f32 v[16:17], v[36:37], v[32:33], v[16:17] op_sel_hi:[1,0,1]
	s_and_not1_b32 exec_lo, exec_lo, s10
	s_cbranch_execnz .LBB51_19
; %bb.20:
	s_or_b32 exec_lo, exec_lo, s10
.LBB51_21:
	s_delay_alu instid0(SALU_CYCLE_1)
	s_or_b32 exec_lo, exec_lo, s7
.LBB51_22:
	s_delay_alu instid0(SALU_CYCLE_1)
	s_or_b32 exec_lo, exec_lo, s6
	s_cbranch_execz .LBB51_24
	s_branch .LBB51_35
.LBB51_23:
                                        ; implicit-def: $vgpr23
                                        ; implicit-def: $vgpr17
                                        ; implicit-def: $vgpr21
                                        ; implicit-def: $vgpr19
.LBB51_24:
	v_dual_mov_b32 v23, 0 :: v_dual_mov_b32 v22, 0
	v_dual_mov_b32 v17, 0 :: v_dual_mov_b32 v16, 0
	;; [unrolled: 1-line block ×4, first 2 shown]
	s_and_saveexec_b32 s6, s3
	s_cbranch_execz .LBB51_34
; %bb.25:
	v_dual_mov_b32 v17, v1 :: v_dual_bitop2_b32 v16, 8, v0 bitop3:0x54
	v_sub_nc_u64_e32 v[18:19], v[8:9], v[0:1]
	v_not_b32_e32 v21, v25
	v_not_b32_e32 v20, v24
	s_delay_alu instid0(VALU_DEP_4) | instskip(NEXT) | instid1(VALU_DEP_2)
	v_sub_nc_u64_e32 v[16:17], v[16:17], v[8:9]
	v_add_nc_u64_e32 v[18:19], v[18:19], v[20:21]
	s_delay_alu instid0(VALU_DEP_2) | instskip(NEXT) | instid1(VALU_DEP_1)
	v_add_nc_u64_e32 v[16:17], v[16:17], v[24:25]
	v_max_i64 v[16:17], v[16:17], v[12:13]
	s_delay_alu instid0(VALU_DEP_1) | instskip(NEXT) | instid1(VALU_DEP_1)
	v_add_nc_u64_e32 v[24:25], v[18:19], v[16:17]
	v_dual_mov_b32 v19, 0 :: v_dual_bitop2_b32 v18, 24, v24 bitop3:0x40
	s_delay_alu instid0(VALU_DEP_1) | instskip(SKIP_2) | instid1(VALU_DEP_4)
	v_dual_mov_b32 v21, v19 :: v_dual_mov_b32 v20, v19
	v_dual_mov_b32 v17, v19 :: v_dual_mov_b32 v16, v19
	v_mov_b32_e32 v22, v19
	v_cmp_ne_u64_e32 vcc_lo, 24, v[18:19]
	v_dual_mov_b32 v18, v19 :: v_dual_mov_b32 v23, v19
	s_and_saveexec_b32 s3, vcc_lo
	s_cbranch_execz .LBB51_29
; %bb.26:
	v_dual_lshrrev_b32 v1, 3, v24 :: v_dual_mov_b32 v19, 0
	v_lshl_add_u64 v[26:27], v[10:11], 3, s[8:9]
	s_mov_b32 s7, 0
	s_delay_alu instid0(VALU_DEP_2) | instskip(SKIP_1) | instid1(VALU_DEP_2)
	v_dual_mov_b32 v20, v19 :: v_dual_add_nc_u32 v1, 1, v1
	v_dual_mov_b32 v16, v19 :: v_dual_mov_b32 v17, v19
	v_dual_mov_b32 v22, v19 :: v_dual_bitop2_b32 v18, 3, v1 bitop3:0x40
	v_dual_mov_b32 v21, v19 :: v_dual_mov_b32 v23, v19
	s_delay_alu instid0(VALU_DEP_2)
	v_sub_nc_u64_e32 v[28:29], 0, v[18:19]
	v_mov_b32_e32 v18, v19
.LBB51_27:                              ; =>This Inner Loop Header: Depth=1
	global_load_b64 v[30:31], v[26:27], off
	v_add_nc_u64_e32 v[28:29], 1, v[28:29]
	v_add_nc_u64_e32 v[10:11], 8, v[10:11]
	s_wait_xcnt 0x0
	v_add_nc_u64_e32 v[26:27], 64, v[26:27]
	s_delay_alu instid0(VALU_DEP_3)
	v_cmp_eq_u64_e32 vcc_lo, 0, v[28:29]
	s_or_b32 s7, vcc_lo, s7
	s_wait_loadcnt 0x0
	v_sub_nc_u64_e32 v[34:35], v[30:31], v[8:9]
	global_load_b128 v[30:33], v[14:15], off
	v_lshlrev_b64_e32 v[46:47], 5, v[34:35]
	s_clause 0x2
	global_load_b128 v[34:37], v[14:15], off offset:32
	global_load_b128 v[38:41], v[14:15], off offset:96
	;; [unrolled: 1-line block ×3, first 2 shown]
	v_add_nc_u64_e32 v[70:71], s[4:5], v[46:47]
	s_clause 0x1
	global_load_b128 v[46:49], v[14:15], off offset:16
	global_load_b128 v[50:53], v[14:15], off offset:48
	s_clause 0x1
	global_load_b128 v[54:57], v[70:71], off
	global_load_b128 v[58:61], v[70:71], off offset:16
	s_clause 0x1
	global_load_b128 v[62:65], v[14:15], off offset:80
	global_load_b128 v[66:69], v[14:15], off offset:112
	s_wait_xcnt 0x0
	v_add_nc_u64_e32 v[14:15], 0x400, v[14:15]
	s_wait_loadcnt 0x9
	v_xor_b32_e32 v70, 0x80000000, v33
	s_wait_loadcnt 0x8
	v_dual_mov_b32 v71, v32 :: v_dual_mov_b32 v73, v36
	v_xor_b32_e32 v72, 0x80000000, v37
	s_wait_loadcnt 0x6
	v_xor_b32_e32 v74, 0x80000000, v45
	v_dual_mov_b32 v75, v44 :: v_dual_mov_b32 v77, v40
	v_xor_b32_e32 v76, 0x80000000, v41
	s_wait_loadcnt 0x5
	v_xor_b32_e32 v78, 0x80000000, v49
	s_wait_loadcnt 0x4
	v_dual_mov_b32 v79, v48 :: v_dual_mov_b32 v81, v52
	s_wait_loadcnt 0x3
	v_pk_fma_f32 v[22:23], v[30:31], v[54:55], v[22:23] op_sel_hi:[1,0,1]
	v_pk_fma_f32 v[18:19], v[32:33], v[54:55], v[18:19] op_sel_hi:[1,0,1]
	;; [unrolled: 1-line block ×4, first 2 shown]
	v_xor_b32_e32 v80, 0x80000000, v53
	v_pk_fma_f32 v[22:23], v[30:31], v[54:55], v[22:23] op_sel:[1,1,0] op_sel_hi:[0,1,1] neg_lo:[1,0,0]
	v_pk_fma_f32 v[18:19], v[70:71], v[54:55], v[18:19] op_sel:[0,1,0]
	v_pk_fma_f32 v[20:21], v[46:47], v[54:55], v[20:21] op_sel:[1,1,0] op_sel_hi:[0,1,1] neg_lo:[1,0,0]
	v_pk_fma_f32 v[16:17], v[78:79], v[54:55], v[16:17] op_sel:[0,1,0]
	s_wait_loadcnt 0x1
	v_dual_mov_b32 v30, v57 :: v_dual_mov_b32 v33, v64
	v_pk_fma_f32 v[22:23], v[34:35], v[56:57], v[22:23] op_sel_hi:[1,0,1]
	v_pk_fma_f32 v[18:19], v[36:37], v[56:57], v[18:19] op_sel_hi:[1,0,1]
	;; [unrolled: 1-line block ×4, first 2 shown]
	v_xor_b32_e32 v32, 0x80000000, v65
	v_pk_fma_f32 v[22:23], v[34:35], v[30:31], v[22:23] op_sel:[1,0,0] op_sel_hi:[0,0,1] neg_lo:[1,0,0]
	v_pk_fma_f32 v[18:19], v[72:73], v[30:31], v[18:19] op_sel_hi:[1,0,1]
	v_pk_fma_f32 v[20:21], v[50:51], v[30:31], v[20:21] op_sel:[1,0,0] op_sel_hi:[0,0,1] neg_lo:[1,0,0]
	v_pk_fma_f32 v[16:17], v[80:81], v[30:31], v[16:17] op_sel_hi:[1,0,1]
	s_wait_loadcnt 0x0
	v_xor_b32_e32 v30, 0x80000000, v69
	v_pk_fma_f32 v[22:23], v[42:43], v[58:59], v[22:23] op_sel_hi:[1,0,1]
	v_pk_fma_f32 v[18:19], v[44:45], v[58:59], v[18:19] op_sel_hi:[1,0,1]
	;; [unrolled: 1-line block ×4, first 2 shown]
	v_mov_b32_e32 v31, v68
	v_pk_fma_f32 v[22:23], v[42:43], v[58:59], v[22:23] op_sel:[1,1,0] op_sel_hi:[0,1,1] neg_lo:[1,0,0]
	v_pk_fma_f32 v[18:19], v[74:75], v[58:59], v[18:19] op_sel:[0,1,0]
	v_pk_fma_f32 v[20:21], v[62:63], v[58:59], v[20:21] op_sel:[1,1,0] op_sel_hi:[0,1,1] neg_lo:[1,0,0]
	v_pk_fma_f32 v[16:17], v[32:33], v[58:59], v[16:17] op_sel:[0,1,0]
	v_mov_b32_e32 v32, v61
	v_pk_fma_f32 v[22:23], v[38:39], v[60:61], v[22:23] op_sel_hi:[1,0,1]
	v_pk_fma_f32 v[18:19], v[40:41], v[60:61], v[18:19] op_sel_hi:[1,0,1]
	v_pk_fma_f32 v[20:21], v[66:67], v[60:61], v[20:21] op_sel_hi:[1,0,1]
	v_pk_fma_f32 v[16:17], v[68:69], v[60:61], v[16:17] op_sel_hi:[1,0,1]
	s_delay_alu instid0(VALU_DEP_4) | instskip(NEXT) | instid1(VALU_DEP_4)
	v_pk_fma_f32 v[22:23], v[38:39], v[32:33], v[22:23] op_sel:[1,0,0] op_sel_hi:[0,0,1] neg_lo:[1,0,0]
	v_pk_fma_f32 v[18:19], v[76:77], v[32:33], v[18:19] op_sel_hi:[1,0,1]
	s_delay_alu instid0(VALU_DEP_4) | instskip(NEXT) | instid1(VALU_DEP_4)
	v_pk_fma_f32 v[20:21], v[66:67], v[32:33], v[20:21] op_sel:[1,0,0] op_sel_hi:[0,0,1] neg_lo:[1,0,0]
	v_pk_fma_f32 v[16:17], v[30:31], v[32:33], v[16:17] op_sel_hi:[1,0,1]
	s_and_not1_b32 exec_lo, exec_lo, s7
	s_cbranch_execnz .LBB51_27
; %bb.28:
	s_or_b32 exec_lo, exec_lo, s7
.LBB51_29:
	s_delay_alu instid0(SALU_CYCLE_1) | instskip(NEXT) | instid1(SALU_CYCLE_1)
	s_or_b32 exec_lo, exec_lo, s3
	s_mov_b32 s3, exec_lo
	v_cmpx_lt_u64_e32 23, v[24:25]
	s_cbranch_execz .LBB51_33
; %bb.30:
	v_lshl_add_u64 v[24:25], v[10:11], 3, s[8:9]
	s_mov_b32 s7, 0
	s_delay_alu instid0(VALU_DEP_1)
	v_add_nc_u64_e32 v[24:25], 0x80, v[24:25]
.LBB51_31:                              ; =>This Inner Loop Header: Depth=1
	global_load_b64 v[114:115], v[24:25], off offset:-128
	s_clause 0xd
	global_load_b128 v[26:29], v[14:15], off
	global_load_b128 v[30:33], v[14:15], off offset:16
	global_load_b128 v[34:37], v[14:15], off offset:48
	;; [unrolled: 1-line block ×13, first 2 shown]
	s_clause 0x2
	global_load_b64 v[122:123], v[24:25], off offset:-64
	global_load_b64 v[124:125], v[24:25], off
	global_load_b64 v[126:127], v[24:25], off offset:64
	s_clause 0x7
	global_load_b128 v[82:85], v[14:15], off offset:1104
	global_load_b128 v[86:89], v[14:15], off offset:1088
	;; [unrolled: 1-line block ×8, first 2 shown]
	v_add_nc_u64_e32 v[10:11], 32, v[10:11]
	s_wait_xcnt 0x8
	v_add_nc_u64_e32 v[24:25], 0x100, v[24:25]
	s_delay_alu instid0(VALU_DEP_2)
	v_cmp_ge_i64_e32 vcc_lo, v[10:11], v[12:13]
	s_or_b32 s7, vcc_lo, s7
	s_wait_loadcnt 0x19
	v_sub_nc_u64_e32 v[114:115], v[114:115], v[8:9]
	s_wait_loadcnt 0x18
	v_xor_b32_e32 v128, 0x80000000, v29
	v_mov_b32_e32 v129, v28
	s_delay_alu instid0(VALU_DEP_3) | instskip(NEXT) | instid1(VALU_DEP_1)
	v_lshlrev_b64_e32 v[114:115], 5, v[114:115]
	v_add_nc_u64_e32 v[130:131], s[4:5], v[114:115]
	s_wait_loadcnt 0xa
	v_sub_nc_u64_e32 v[122:123], v[122:123], v[8:9]
	s_wait_loadcnt 0x9
	v_sub_nc_u64_e32 v[124:125], v[124:125], v[8:9]
	;; [unrolled: 2-line block ×3, first 2 shown]
	s_clause 0x1
	global_load_b128 v[114:117], v[130:131], off
	global_load_b128 v[118:121], v[130:131], off offset:16
	v_lshlrev_b64_e32 v[122:123], 5, v[122:123]
	v_lshlrev_b64_e32 v[124:125], 5, v[124:125]
	s_delay_alu instid0(VALU_DEP_2) | instskip(NEXT) | instid1(VALU_DEP_2)
	v_add_nc_u64_e32 v[122:123], s[4:5], v[122:123]
	v_add_nc_u64_e32 v[124:125], s[4:5], v[124:125]
	s_wait_loadcnt 0x1
	v_pk_fma_f32 v[22:23], v[26:27], v[114:115], v[22:23] op_sel_hi:[1,0,1]
	s_wait_xcnt 0x0
	v_pk_fma_f32 v[130:131], v[28:29], v[114:115], v[18:19] op_sel_hi:[1,0,1]
	v_pk_fma_f32 v[18:19], v[30:31], v[114:115], v[20:21] op_sel_hi:[1,0,1]
	;; [unrolled: 1-line block ×3, first 2 shown]
	v_pk_fma_f32 v[132:133], v[26:27], v[114:115], v[22:23] op_sel:[1,1,0] op_sel_hi:[0,1,1] neg_lo:[1,0,0]
	v_xor_b32_e32 v22, 0x80000000, v33
	v_mov_b32_e32 v23, v32
	v_pk_fma_f32 v[30:31], v[30:31], v[114:115], v[18:19] op_sel:[1,1,0] op_sel_hi:[0,1,1] neg_lo:[1,0,0]
	v_pk_fma_f32 v[32:33], v[128:129], v[114:115], v[130:131] op_sel:[0,1,0]
	v_pk_fma_f32 v[128:129], v[38:39], v[116:117], v[132:133] op_sel_hi:[1,0,1]
	v_xor_b32_e32 v132, 0x80000000, v41
	v_pk_fma_f32 v[114:115], v[22:23], v[114:115], v[20:21] op_sel:[0,1,0]
	v_pk_fma_f32 v[30:31], v[34:35], v[116:117], v[30:31] op_sel_hi:[1,0,1]
	v_pk_fma_f32 v[130:131], v[40:41], v[116:117], v[32:33] op_sel_hi:[1,0,1]
	v_mov_b32_e32 v133, v40
	v_xor_b32_e32 v40, 0x80000000, v37
	v_pk_fma_f32 v[114:115], v[36:37], v[116:117], v[114:115] op_sel_hi:[1,0,1]
	v_dual_mov_b32 v116, v117 :: v_dual_mov_b32 v41, v36
	s_clause 0x2
	global_load_b128 v[26:29], v[14:15], off offset:2128
	global_load_b128 v[16:19], v[14:15], off offset:2112
	;; [unrolled: 1-line block ×3, first 2 shown]
	v_pk_fma_f32 v[38:39], v[38:39], v[116:117], v[128:129] op_sel:[1,0,0] op_sel_hi:[0,0,1] neg_lo:[1,0,0]
	v_pk_fma_f32 v[130:131], v[132:133], v[116:117], v[130:131] op_sel_hi:[1,0,1]
	v_pk_fma_f32 v[128:129], v[34:35], v[116:117], v[30:31] op_sel:[1,0,0] op_sel_hi:[0,0,1] neg_lo:[1,0,0]
	v_pk_fma_f32 v[114:115], v[40:41], v[116:117], v[114:115] op_sel_hi:[1,0,1]
	v_xor_b32_e32 v116, 0x80000000, v57
	v_mov_b32_e32 v117, v56
	s_wait_loadcnt 0x3
	v_pk_fma_f32 v[38:39], v[54:55], v[118:119], v[38:39] op_sel_hi:[1,0,1]
	v_pk_fma_f32 v[56:57], v[56:57], v[118:119], v[130:131] op_sel_hi:[1,0,1]
	v_xor_b32_e32 v130, 0x80000000, v53
	v_mov_b32_e32 v131, v52
	v_pk_fma_f32 v[114:115], v[52:53], v[118:119], v[114:115] op_sel_hi:[1,0,1]
	v_pk_fma_f32 v[54:55], v[54:55], v[118:119], v[38:39] op_sel:[1,1,0] op_sel_hi:[0,1,1] neg_lo:[1,0,0]
	v_pk_fma_f32 v[56:57], v[116:117], v[118:119], v[56:57] op_sel:[0,1,0]
	v_mov_b32_e32 v117, v48
	v_pk_fma_f32 v[128:129], v[50:51], v[118:119], v[128:129] op_sel_hi:[1,0,1]
	v_pk_fma_f32 v[114:115], v[130:131], v[118:119], v[114:115] op_sel:[0,1,0]
	v_pk_fma_f32 v[130:131], v[46:47], v[120:121], v[54:55] op_sel_hi:[1,0,1]
	v_pk_fma_f32 v[132:133], v[48:49], v[120:121], v[56:57] op_sel_hi:[1,0,1]
	global_load_b128 v[54:57], v[122:123], off
	v_pk_fma_f32 v[128:129], v[50:51], v[118:119], v[128:129] op_sel:[1,1,0] op_sel_hi:[0,1,1] neg_lo:[1,0,0]
	v_mov_b32_e32 v118, v121
	v_xor_b32_e32 v116, 0x80000000, v49
	v_pk_fma_f32 v[114:115], v[44:45], v[120:121], v[114:115] op_sel_hi:[1,0,1]
	global_load_b128 v[34:37], v[14:15], off offset:3072
	v_pk_fma_f32 v[128:129], v[42:43], v[120:121], v[128:129] op_sel_hi:[1,0,1]
	v_pk_fma_f32 v[120:121], v[46:47], v[118:119], v[130:131] op_sel:[1,0,0] op_sel_hi:[0,0,1] neg_lo:[1,0,0]
	global_load_b128 v[46:49], v[122:123], off offset:16
	s_wait_xcnt 0x0
	v_xor_b32_e32 v122, 0x80000000, v45
	v_mov_b32_e32 v123, v44
	v_pk_fma_f32 v[128:129], v[42:43], v[118:119], v[128:129] op_sel:[1,0,0] op_sel_hi:[0,0,1] neg_lo:[1,0,0]
	v_pk_fma_f32 v[130:131], v[116:117], v[118:119], v[132:133] op_sel_hi:[1,0,1]
	v_mov_b32_e32 v133, v72
	global_load_b128 v[42:45], v[14:15], off offset:3088
	v_pk_fma_f32 v[118:119], v[122:123], v[118:119], v[114:115] op_sel_hi:[1,0,1]
	global_load_b128 v[114:117], v[124:125], off
	v_xor_b32_e32 v132, 0x80000000, v73
	s_clause 0x2
	global_load_b128 v[30:33], v[14:15], off offset:3104
	global_load_b128 v[50:53], v[14:15], off offset:3136
	;; [unrolled: 1-line block ×3, first 2 shown]
	s_wait_loadcnt 0x7
	v_pk_fma_f32 v[120:121], v[70:71], v[54:55], v[120:121] op_sel_hi:[1,0,1]
	v_pk_fma_f32 v[118:119], v[68:69], v[54:55], v[118:119] op_sel_hi:[1,0,1]
	;; [unrolled: 1-line block ×3, first 2 shown]
	v_xor_b32_e32 v130, 0x80000000, v65
	v_mov_b32_e32 v131, v64
	v_pk_fma_f32 v[122:123], v[70:71], v[54:55], v[120:121] op_sel:[1,1,0] op_sel_hi:[0,1,1] neg_lo:[1,0,0]
	v_lshlrev_b64_e32 v[70:71], 5, v[126:127]
	v_pk_fma_f32 v[126:127], v[66:67], v[54:55], v[128:129] op_sel_hi:[1,0,1]
	v_xor_b32_e32 v120, 0x80000000, v69
	v_mov_b32_e32 v121, v68
	v_pk_fma_f32 v[128:129], v[132:133], v[54:55], v[72:73] op_sel:[0,1,0]
	v_pk_fma_f32 v[122:123], v[62:63], v[56:57], v[122:123] op_sel_hi:[1,0,1]
	v_pk_fma_f32 v[126:127], v[66:67], v[54:55], v[126:127] op_sel:[1,1,0] op_sel_hi:[0,1,1] neg_lo:[1,0,0]
	global_load_b128 v[66:69], v[124:125], off offset:16
	s_wait_xcnt 0x0
	v_add_nc_u64_e32 v[124:125], s[4:5], v[70:71]
	v_pk_fma_f32 v[54:55], v[120:121], v[54:55], v[118:119] op_sel:[0,1,0]
	v_pk_fma_f32 v[64:65], v[64:65], v[56:57], v[128:129] op_sel_hi:[1,0,1]
	v_mov_b32_e32 v128, v57
	s_clause 0x1
	global_load_b128 v[70:73], v[124:125], off offset:16
	global_load_b128 v[118:121], v[124:125], off
	s_wait_xcnt 0x0
	v_pk_fma_f32 v[124:125], v[58:59], v[56:57], v[126:127] op_sel_hi:[1,0,1]
	v_pk_fma_f32 v[126:127], v[60:61], v[56:57], v[54:55] op_sel_hi:[1,0,1]
	global_load_b128 v[54:57], v[14:15], off offset:3152
	v_pk_fma_f32 v[62:63], v[62:63], v[128:129], v[122:123] op_sel:[1,0,0] op_sel_hi:[0,0,1] neg_lo:[1,0,0]
	v_xor_b32_e32 v122, 0x80000000, v61
	v_mov_b32_e32 v123, v60
	v_pk_fma_f32 v[124:125], v[58:59], v[128:129], v[124:125] op_sel:[1,0,0] op_sel_hi:[0,0,1] neg_lo:[1,0,0]
	global_load_b128 v[58:61], v[14:15], off offset:3184
	v_pk_fma_f32 v[64:65], v[130:131], v[128:129], v[64:65] op_sel_hi:[1,0,1]
	v_mov_b32_e32 v131, v88
	v_pk_fma_f32 v[122:123], v[122:123], v[128:129], v[126:127] op_sel_hi:[1,0,1]
	v_xor_b32_e32 v130, 0x80000000, v89
	v_xor_b32_e32 v126, 0x80000000, v85
	v_dual_mov_b32 v127, v84 :: v_dual_mov_b32 v129, v80
	s_wait_loadcnt 0xa
	v_pk_fma_f32 v[62:63], v[86:87], v[46:47], v[62:63] op_sel_hi:[1,0,1]
	v_pk_fma_f32 v[64:65], v[88:89], v[46:47], v[64:65] op_sel_hi:[1,0,1]
	;; [unrolled: 1-line block ×4, first 2 shown]
	v_xor_b32_e32 v128, 0x80000000, v81
	v_pk_fma_f32 v[62:63], v[86:87], v[46:47], v[62:63] op_sel:[1,1,0] op_sel_hi:[0,1,1] neg_lo:[1,0,0]
	v_pk_fma_f32 v[64:65], v[130:131], v[46:47], v[64:65] op_sel:[0,1,0]
	v_pk_fma_f32 v[82:83], v[82:83], v[46:47], v[124:125] op_sel:[1,1,0] op_sel_hi:[0,1,1] neg_lo:[1,0,0]
	v_pk_fma_f32 v[46:47], v[126:127], v[46:47], v[84:85] op_sel:[0,1,0]
	v_xor_b32_e32 v86, 0x80000000, v77
	v_dual_mov_b32 v87, v76 :: v_dual_mov_b32 v89, v104
	v_mov_b32_e32 v85, v92
	v_pk_fma_f32 v[62:63], v[78:79], v[48:49], v[62:63] op_sel_hi:[1,0,1]
	v_pk_fma_f32 v[64:65], v[80:81], v[48:49], v[64:65] op_sel_hi:[1,0,1]
	;; [unrolled: 1-line block ×4, first 2 shown]
	v_mov_b32_e32 v48, v49
	v_xor_b32_e32 v88, 0x80000000, v105
	v_xor_b32_e32 v122, 0x80000000, v101
	v_dual_mov_b32 v123, v100 :: v_dual_mov_b32 v125, v96
	s_delay_alu instid0(VALU_DEP_4)
	v_pk_fma_f32 v[62:63], v[78:79], v[48:49], v[62:63] op_sel:[1,0,0] op_sel_hi:[0,0,1] neg_lo:[1,0,0]
	v_pk_fma_f32 v[74:75], v[74:75], v[48:49], v[80:81] op_sel:[1,0,0] op_sel_hi:[0,0,1] neg_lo:[1,0,0]
	v_pk_fma_f32 v[64:65], v[128:129], v[48:49], v[64:65] op_sel_hi:[1,0,1]
	v_pk_fma_f32 v[46:47], v[86:87], v[48:49], v[46:47] op_sel_hi:[1,0,1]
	v_xor_b32_e32 v124, 0x80000000, v97
	s_wait_loadcnt 0x8
	v_pk_fma_f32 v[48:49], v[102:103], v[114:115], v[62:63] op_sel_hi:[1,0,1]
	v_xor_b32_e32 v84, 0x80000000, v93
	v_pk_fma_f32 v[62:63], v[104:105], v[114:115], v[64:65] op_sel_hi:[1,0,1]
	v_pk_fma_f32 v[64:65], v[98:99], v[114:115], v[74:75] op_sel_hi:[1,0,1]
	;; [unrolled: 1-line block ×3, first 2 shown]
	v_pk_fma_f32 v[48:49], v[102:103], v[114:115], v[48:49] op_sel:[1,1,0] op_sel_hi:[0,1,1] neg_lo:[1,0,0]
	v_dual_mov_b32 v77, v28 :: v_dual_mov_b32 v86, v117
	v_pk_fma_f32 v[62:63], v[88:89], v[114:115], v[62:63] op_sel:[0,1,0]
	v_pk_fma_f32 v[64:65], v[98:99], v[114:115], v[64:65] op_sel:[1,1,0] op_sel_hi:[0,1,1] neg_lo:[1,0,0]
	v_pk_fma_f32 v[46:47], v[122:123], v[114:115], v[46:47] op_sel:[0,1,0]
	v_pk_fma_f32 v[48:49], v[94:95], v[116:117], v[48:49] op_sel_hi:[1,0,1]
	v_xor_b32_e32 v130, 0x80000000, v19
	v_pk_fma_f32 v[62:63], v[96:97], v[116:117], v[62:63] op_sel_hi:[1,0,1]
	v_pk_fma_f32 v[64:65], v[90:91], v[116:117], v[64:65] op_sel_hi:[1,0,1]
	;; [unrolled: 1-line block ×3, first 2 shown]
	v_pk_fma_f32 v[48:49], v[94:95], v[86:87], v[48:49] op_sel:[1,0,0] op_sel_hi:[0,0,1] neg_lo:[1,0,0]
	v_xor_b32_e32 v76, 0x80000000, v29
	v_pk_fma_f32 v[62:63], v[124:125], v[86:87], v[62:63] op_sel_hi:[1,0,1]
	v_pk_fma_f32 v[64:65], v[90:91], v[86:87], v[64:65] op_sel:[1,0,0] op_sel_hi:[0,0,1] neg_lo:[1,0,0]
	v_pk_fma_f32 v[46:47], v[84:85], v[86:87], v[46:47] op_sel_hi:[1,0,1]
	v_dual_mov_b32 v131, v18 :: v_dual_mov_b32 v79, v112
	v_xor_b32_e32 v78, 0x80000000, v113
	v_xor_b32_e32 v74, 0x80000000, v109
	v_dual_mov_b32 v75, v108 :: v_dual_mov_b32 v85, v44
	v_xor_b32_e32 v82, 0x80000000, v37
	s_wait_loadcnt 0x7
	v_dual_mov_b32 v83, v36 :: v_dual_mov_b32 v81, v32
	v_xor_b32_e32 v84, 0x80000000, v45
	v_xor_b32_e32 v80, 0x80000000, v33
	s_wait_loadcnt 0x6
	v_xor_b32_e32 v126, 0x80000000, v53
	s_wait_loadcnt 0x5
	v_dual_mov_b32 v127, v52 :: v_dual_mov_b32 v129, v40
	v_xor_b32_e32 v128, 0x80000000, v41
	s_wait_xcnt 0x0
	v_add_nc_u64_e32 v[14:15], 0x1000, v[14:15]
	s_wait_loadcnt 0x4
	v_pk_fma_f32 v[48:49], v[16:17], v[66:67], v[48:49] op_sel_hi:[1,0,1]
	v_pk_fma_f32 v[18:19], v[18:19], v[66:67], v[62:63] op_sel_hi:[1,0,1]
	;; [unrolled: 1-line block ×4, first 2 shown]
	v_mov_b32_e32 v46, v69
	v_pk_fma_f32 v[16:17], v[16:17], v[66:67], v[48:49] op_sel:[1,1,0] op_sel_hi:[0,1,1] neg_lo:[1,0,0]
	v_pk_fma_f32 v[18:19], v[130:131], v[66:67], v[18:19] op_sel:[0,1,0]
	v_pk_fma_f32 v[26:27], v[26:27], v[66:67], v[62:63] op_sel:[1,1,0] op_sel_hi:[0,1,1] neg_lo:[1,0,0]
	v_pk_fma_f32 v[28:29], v[76:77], v[66:67], v[28:29] op_sel:[0,1,0]
	v_mov_b32_e32 v49, v22
	v_pk_fma_f32 v[16:17], v[110:111], v[68:69], v[16:17] op_sel_hi:[1,0,1]
	v_pk_fma_f32 v[18:19], v[112:113], v[68:69], v[18:19] op_sel_hi:[1,0,1]
	;; [unrolled: 1-line block ×4, first 2 shown]
	v_xor_b32_e32 v48, 0x80000000, v23
	v_pk_fma_f32 v[16:17], v[110:111], v[46:47], v[16:17] op_sel:[1,0,0] op_sel_hi:[0,0,1] neg_lo:[1,0,0]
	v_pk_fma_f32 v[18:19], v[78:79], v[46:47], v[18:19] op_sel_hi:[1,0,1]
	v_pk_fma_f32 v[26:27], v[106:107], v[46:47], v[26:27] op_sel:[1,0,0] op_sel_hi:[0,0,1] neg_lo:[1,0,0]
	v_pk_fma_f32 v[28:29], v[74:75], v[46:47], v[28:29] op_sel_hi:[1,0,1]
	s_wait_loadcnt 0x2
	v_pk_fma_f32 v[16:17], v[34:35], v[118:119], v[16:17] op_sel_hi:[1,0,1]
	v_pk_fma_f32 v[18:19], v[36:37], v[118:119], v[18:19] op_sel_hi:[1,0,1]
	v_pk_fma_f32 v[26:27], v[42:43], v[118:119], v[26:27] op_sel_hi:[1,0,1]
	v_pk_fma_f32 v[28:29], v[44:45], v[118:119], v[28:29] op_sel_hi:[1,0,1]
	s_wait_loadcnt 0x1
	v_mov_b32_e32 v37, v56
	v_pk_fma_f32 v[16:17], v[34:35], v[118:119], v[16:17] op_sel:[1,1,0] op_sel_hi:[0,1,1] neg_lo:[1,0,0]
	v_pk_fma_f32 v[18:19], v[82:83], v[118:119], v[18:19] op_sel:[0,1,0]
	v_pk_fma_f32 v[26:27], v[42:43], v[118:119], v[26:27] op_sel:[1,1,0] op_sel_hi:[0,1,1] neg_lo:[1,0,0]
	v_pk_fma_f32 v[28:29], v[84:85], v[118:119], v[28:29] op_sel:[0,1,0]
	v_mov_b32_e32 v34, v121
	v_pk_fma_f32 v[16:17], v[30:31], v[120:121], v[16:17] op_sel_hi:[1,0,1]
	v_pk_fma_f32 v[18:19], v[32:33], v[120:121], v[18:19] op_sel_hi:[1,0,1]
	;; [unrolled: 1-line block ×4, first 2 shown]
	v_xor_b32_e32 v36, 0x80000000, v57
	v_pk_fma_f32 v[16:17], v[30:31], v[34:35], v[16:17] op_sel:[1,0,0] op_sel_hi:[0,0,1] neg_lo:[1,0,0]
	v_pk_fma_f32 v[18:19], v[80:81], v[34:35], v[18:19] op_sel_hi:[1,0,1]
	v_pk_fma_f32 v[20:21], v[20:21], v[34:35], v[26:27] op_sel:[1,0,0] op_sel_hi:[0,0,1] neg_lo:[1,0,0]
	v_pk_fma_f32 v[22:23], v[48:49], v[34:35], v[22:23] op_sel_hi:[1,0,1]
	s_wait_loadcnt 0x0
	v_xor_b32_e32 v26, 0x80000000, v61
	v_pk_fma_f32 v[16:17], v[50:51], v[70:71], v[16:17] op_sel_hi:[1,0,1]
	v_pk_fma_f32 v[18:19], v[52:53], v[70:71], v[18:19] op_sel_hi:[1,0,1]
	;; [unrolled: 1-line block ×4, first 2 shown]
	v_dual_mov_b32 v27, v60 :: v_dual_mov_b32 v28, v73
	v_pk_fma_f32 v[16:17], v[50:51], v[70:71], v[16:17] op_sel:[1,1,0] op_sel_hi:[0,1,1] neg_lo:[1,0,0]
	v_pk_fma_f32 v[18:19], v[126:127], v[70:71], v[18:19] op_sel:[0,1,0]
	v_pk_fma_f32 v[20:21], v[54:55], v[70:71], v[20:21] op_sel:[1,1,0] op_sel_hi:[0,1,1] neg_lo:[1,0,0]
	v_pk_fma_f32 v[22:23], v[36:37], v[70:71], v[22:23] op_sel:[0,1,0]
	s_delay_alu instid0(VALU_DEP_4) | instskip(NEXT) | instid1(VALU_DEP_4)
	v_pk_fma_f32 v[16:17], v[38:39], v[72:73], v[16:17] op_sel_hi:[1,0,1]
	v_pk_fma_f32 v[18:19], v[40:41], v[72:73], v[18:19] op_sel_hi:[1,0,1]
	s_delay_alu instid0(VALU_DEP_4) | instskip(NEXT) | instid1(VALU_DEP_4)
	v_pk_fma_f32 v[20:21], v[58:59], v[72:73], v[20:21] op_sel_hi:[1,0,1]
	v_pk_fma_f32 v[30:31], v[60:61], v[72:73], v[22:23] op_sel_hi:[1,0,1]
	s_delay_alu instid0(VALU_DEP_4) | instskip(NEXT) | instid1(VALU_DEP_4)
	v_pk_fma_f32 v[22:23], v[38:39], v[28:29], v[16:17] op_sel:[1,0,0] op_sel_hi:[0,0,1] neg_lo:[1,0,0]
	v_pk_fma_f32 v[18:19], v[128:129], v[28:29], v[18:19] op_sel_hi:[1,0,1]
	s_delay_alu instid0(VALU_DEP_4) | instskip(NEXT) | instid1(VALU_DEP_4)
	v_pk_fma_f32 v[20:21], v[58:59], v[28:29], v[20:21] op_sel:[1,0,0] op_sel_hi:[0,0,1] neg_lo:[1,0,0]
	v_pk_fma_f32 v[16:17], v[26:27], v[28:29], v[30:31] op_sel_hi:[1,0,1]
	s_and_not1_b32 exec_lo, exec_lo, s7
	s_cbranch_execnz .LBB51_31
; %bb.32:
	s_or_b32 exec_lo, exec_lo, s7
.LBB51_33:
	s_delay_alu instid0(SALU_CYCLE_1)
	s_or_b32 exec_lo, exec_lo, s3
.LBB51_34:
	s_delay_alu instid0(SALU_CYCLE_1)
	s_or_b32 exec_lo, exec_lo, s6
.LBB51_35:
	v_mbcnt_lo_u32_b32 v1, -1, 0
	s_delay_alu instid0(VALU_DEP_1) | instskip(SKIP_1) | instid1(VALU_DEP_1)
	v_xor_b32_e32 v24, 2, v1
	v_xor_b32_e32 v8, 4, v1
	v_cmp_gt_i32_e32 vcc_lo, 32, v8
	v_cndmask_b32_e32 v8, v1, v8, vcc_lo
	s_delay_alu instid0(VALU_DEP_1)
	v_lshlrev_b32_e32 v8, 2, v8
	ds_bpermute_b32 v10, v8, v23
	s_wait_dscnt 0x0
	v_add_f32_e32 v10, v23, v10
	ds_bpermute_b32 v11, v8, v18
	ds_bpermute_b32 v9, v8, v22
	;; [unrolled: 1-line block ×7, first 2 shown]
	s_wait_dscnt 0x6
	v_add_f32_e32 v11, v18, v11
	v_cmp_gt_i32_e32 vcc_lo, 32, v24
	s_wait_dscnt 0x4
	v_dual_add_f32 v9, v22, v9 :: v_dual_add_f32 v12, v19, v12
	s_wait_dscnt 0x1
	v_dual_add_f32 v14, v21, v14 :: v_dual_add_f32 v15, v16, v15
	s_wait_dscnt 0x0
	v_add_f32_e32 v16, v17, v8
	v_dual_cndmask_b32 v24, v1, v24 :: v_dual_add_f32 v13, v20, v13
	s_delay_alu instid0(VALU_DEP_1)
	v_lshlrev_b32_e32 v24, 2, v24
	ds_bpermute_b32 v8, v24, v9
	ds_bpermute_b32 v17, v24, v10
	;; [unrolled: 1-line block ×8, first 2 shown]
	s_wait_dscnt 0x7
	v_dual_add_f32 v8, v9, v8 :: v_dual_bitop2_b32 v24, 1, v1 bitop3:0x14
	s_delay_alu instid0(VALU_DEP_1)
	v_cmp_gt_i32_e32 vcc_lo, 32, v24
	s_wait_dscnt 0x5
	v_dual_add_f32 v9, v10, v17 :: v_dual_add_f32 v10, v11, v18
	s_wait_dscnt 0x3
	v_dual_add_f32 v11, v12, v19 :: v_dual_add_f32 v12, v13, v20
	s_wait_dscnt 0x2
	v_dual_cndmask_b32 v1, v1, v24, vcc_lo :: v_dual_add_f32 v13, v14, v21
	s_wait_dscnt 0x1
	v_add_f32_e32 v15, v15, v22
	v_cmp_eq_u32_e32 vcc_lo, 7, v0
	s_wait_dscnt 0x0
	v_dual_add_f32 v1, v16, v23 :: v_dual_lshlrev_b32 v24, 2, v1
	ds_bpermute_b32 v14, v24, v8
	ds_bpermute_b32 v17, v24, v9
	;; [unrolled: 1-line block ×8, first 2 shown]
	s_and_b32 exec_lo, exec_lo, vcc_lo
	s_cbranch_execz .LBB51_6
; %bb.36:
	s_load_b64 s[0:1], s[0:1], 0x58
	s_wait_dscnt 0x6
	v_dual_add_f32 v0, v8, v14 :: v_dual_add_f32 v20, v9, v17
	s_wait_dscnt 0x4
	v_dual_add_f32 v8, v10, v18 :: v_dual_add_f32 v18, v11, v19
	;; [unrolled: 2-line block ×3, first 2 shown]
	s_wait_dscnt 0x1
	v_add_f32_e32 v12, v15, v23
	v_cmp_eq_f32_e32 vcc_lo, 0, v4
	v_lshlrev_b64_e32 v[22:23], 5, v[6:7]
	s_wait_dscnt 0x0
	v_add_f32_e32 v6, v1, v16
	v_xor_b32_e32 v16, 0x80000000, v3
	s_xor_b32 s2, s2, -1
	s_delay_alu instid0(SALU_CYCLE_1) | instskip(NEXT) | instid1(SALU_CYCLE_1)
	s_and_b32 s2, vcc_lo, s2
	s_and_saveexec_b32 s3, s2
	s_delay_alu instid0(SALU_CYCLE_1)
	s_xor_b32 s2, exec_lo, s3
	s_cbranch_execz .LBB51_38
; %bb.37:
	v_mov_b32_e32 v17, v2
	s_delay_alu instid0(VALU_DEP_1)
	v_pk_mul_f32 v[4:5], v[20:21], v[16:17] op_sel_hi:[0,1]
	v_pk_mul_f32 v[18:19], v[18:19], v[16:17] op_sel_hi:[0,1]
	;; [unrolled: 1-line block ×4, first 2 shown]
	s_wait_kmcnt 0x0
	v_add_nc_u64_e32 v[20:21], s[0:1], v[22:23]
	v_pk_fma_f32 v[4:5], v[2:3], v[0:1], v[4:5] op_sel_hi:[1,0,1]
	v_pk_fma_f32 v[6:7], v[2:3], v[8:9], v[18:19] op_sel_hi:[1,0,1]
	;; [unrolled: 1-line block ×4, first 2 shown]
                                        ; implicit-def: $vgpr8
                                        ; implicit-def: $vgpr18
                                        ; implicit-def: $vgpr10
                                        ; implicit-def: $vgpr14
                                        ; implicit-def: $vgpr12
                                        ; implicit-def: $vgpr16
                                        ; implicit-def: $vgpr22_vgpr23
	s_clause 0x1
	global_store_b128 v[20:21], v[4:7], off
	global_store_b128 v[20:21], v[0:3], off offset:16
                                        ; implicit-def: $vgpr0
                                        ; implicit-def: $vgpr20
                                        ; implicit-def: $vgpr6
                                        ; implicit-def: $vgpr2_vgpr3
                                        ; implicit-def: $vgpr4_vgpr5
.LBB51_38:
	s_wait_xcnt 0x0
	s_and_not1_saveexec_b32 s2, s2
	s_cbranch_execz .LBB51_6
; %bb.39:
	s_wait_kmcnt 0x0
	v_add_nc_u64_e32 v[30:31], s[0:1], v[22:23]
	v_dual_mov_b32 v17, v2 :: v_dual_mov_b32 v33, v4
	v_xor_b32_e32 v32, 0x80000000, v5
	s_clause 0x1
	global_load_b128 v[22:25], v[30:31], off
	global_load_b128 v[26:29], v[30:31], off offset:16
	v_pk_mul_f32 v[20:21], v[20:21], v[16:17] op_sel_hi:[0,1]
	v_pk_mul_f32 v[18:19], v[18:19], v[16:17] op_sel_hi:[0,1]
	;; [unrolled: 1-line block ×4, first 2 shown]
	s_delay_alu instid0(VALU_DEP_4) | instskip(NEXT) | instid1(VALU_DEP_4)
	v_pk_fma_f32 v[0:1], v[2:3], v[0:1], v[20:21] op_sel_hi:[1,0,1]
	v_pk_fma_f32 v[8:9], v[2:3], v[8:9], v[18:19] op_sel_hi:[1,0,1]
	s_delay_alu instid0(VALU_DEP_4) | instskip(NEXT) | instid1(VALU_DEP_4)
	v_pk_fma_f32 v[10:11], v[2:3], v[10:11], v[14:15] op_sel_hi:[1,0,1]
	v_pk_fma_f32 v[2:3], v[2:3], v[12:13], v[6:7] op_sel_hi:[1,0,1]
	s_wait_loadcnt 0x1
	v_pk_fma_f32 v[0:1], v[4:5], v[22:23], v[0:1] op_sel_hi:[1,0,1]
	v_pk_fma_f32 v[6:7], v[4:5], v[24:25], v[8:9] op_sel_hi:[1,0,1]
	s_wait_loadcnt 0x0
	v_dual_mov_b32 v8, v25 :: v_dual_mov_b32 v14, v29
	v_pk_fma_f32 v[10:11], v[4:5], v[26:27], v[10:11] op_sel_hi:[1,0,1]
	v_pk_fma_f32 v[12:13], v[4:5], v[28:29], v[2:3] op_sel_hi:[1,0,1]
	v_pk_fma_f32 v[0:1], v[32:33], v[22:23], v[0:1] op_sel:[0,1,0]
	s_delay_alu instid0(VALU_DEP_4) | instskip(NEXT) | instid1(VALU_DEP_4)
	v_pk_fma_f32 v[2:3], v[32:33], v[8:9], v[6:7] op_sel_hi:[1,0,1]
	v_pk_fma_f32 v[4:5], v[32:33], v[26:27], v[10:11] op_sel:[0,1,0]
	s_delay_alu instid0(VALU_DEP_4)
	v_pk_fma_f32 v[6:7], v[32:33], v[14:15], v[12:13] op_sel_hi:[1,0,1]
	s_clause 0x1
	global_store_b128 v[30:31], v[0:3], off
	global_store_b128 v[30:31], v[4:7], off offset:16
	s_sendmsg sendmsg(MSG_DEALLOC_VGPRS)
	s_endpgm
	.section	.rodata,"a",@progbits
	.p2align	6, 0x0
	.amdhsa_kernel _ZN9rocsparseL18bsrxmvn_4x4_kernelILj128ELj8E21rocsparse_complex_numIfEllS2_S2_S2_EEvT3_20rocsparse_direction_NS_24const_host_device_scalarIT1_EES3_PKS3_PKT2_SC_S9_PKT4_PKT5_S7_PT6_21rocsparse_index_base_b
		.amdhsa_group_segment_fixed_size 0
		.amdhsa_private_segment_fixed_size 0
		.amdhsa_kernarg_size 104
		.amdhsa_user_sgpr_count 2
		.amdhsa_user_sgpr_dispatch_ptr 0
		.amdhsa_user_sgpr_queue_ptr 0
		.amdhsa_user_sgpr_kernarg_segment_ptr 1
		.amdhsa_user_sgpr_dispatch_id 0
		.amdhsa_user_sgpr_kernarg_preload_length 0
		.amdhsa_user_sgpr_kernarg_preload_offset 0
		.amdhsa_user_sgpr_private_segment_size 0
		.amdhsa_wavefront_size32 1
		.amdhsa_uses_dynamic_stack 0
		.amdhsa_enable_private_segment 0
		.amdhsa_system_sgpr_workgroup_id_x 1
		.amdhsa_system_sgpr_workgroup_id_y 0
		.amdhsa_system_sgpr_workgroup_id_z 0
		.amdhsa_system_sgpr_workgroup_info 0
		.amdhsa_system_vgpr_workitem_id 0
		.amdhsa_next_free_vgpr 160
		.amdhsa_next_free_sgpr 14
		.amdhsa_named_barrier_count 0
		.amdhsa_reserve_vcc 1
		.amdhsa_float_round_mode_32 0
		.amdhsa_float_round_mode_16_64 0
		.amdhsa_float_denorm_mode_32 3
		.amdhsa_float_denorm_mode_16_64 3
		.amdhsa_fp16_overflow 0
		.amdhsa_memory_ordered 1
		.amdhsa_forward_progress 1
		.amdhsa_inst_pref_size 61
		.amdhsa_round_robin_scheduling 0
		.amdhsa_exception_fp_ieee_invalid_op 0
		.amdhsa_exception_fp_denorm_src 0
		.amdhsa_exception_fp_ieee_div_zero 0
		.amdhsa_exception_fp_ieee_overflow 0
		.amdhsa_exception_fp_ieee_underflow 0
		.amdhsa_exception_fp_ieee_inexact 0
		.amdhsa_exception_int_div_zero 0
	.end_amdhsa_kernel
	.section	.text._ZN9rocsparseL18bsrxmvn_4x4_kernelILj128ELj8E21rocsparse_complex_numIfEllS2_S2_S2_EEvT3_20rocsparse_direction_NS_24const_host_device_scalarIT1_EES3_PKS3_PKT2_SC_S9_PKT4_PKT5_S7_PT6_21rocsparse_index_base_b,"axG",@progbits,_ZN9rocsparseL18bsrxmvn_4x4_kernelILj128ELj8E21rocsparse_complex_numIfEllS2_S2_S2_EEvT3_20rocsparse_direction_NS_24const_host_device_scalarIT1_EES3_PKS3_PKT2_SC_S9_PKT4_PKT5_S7_PT6_21rocsparse_index_base_b,comdat
.Lfunc_end51:
	.size	_ZN9rocsparseL18bsrxmvn_4x4_kernelILj128ELj8E21rocsparse_complex_numIfEllS2_S2_S2_EEvT3_20rocsparse_direction_NS_24const_host_device_scalarIT1_EES3_PKS3_PKT2_SC_S9_PKT4_PKT5_S7_PT6_21rocsparse_index_base_b, .Lfunc_end51-_ZN9rocsparseL18bsrxmvn_4x4_kernelILj128ELj8E21rocsparse_complex_numIfEllS2_S2_S2_EEvT3_20rocsparse_direction_NS_24const_host_device_scalarIT1_EES3_PKS3_PKT2_SC_S9_PKT4_PKT5_S7_PT6_21rocsparse_index_base_b
                                        ; -- End function
	.set _ZN9rocsparseL18bsrxmvn_4x4_kernelILj128ELj8E21rocsparse_complex_numIfEllS2_S2_S2_EEvT3_20rocsparse_direction_NS_24const_host_device_scalarIT1_EES3_PKS3_PKT2_SC_S9_PKT4_PKT5_S7_PT6_21rocsparse_index_base_b.num_vgpr, 160
	.set _ZN9rocsparseL18bsrxmvn_4x4_kernelILj128ELj8E21rocsparse_complex_numIfEllS2_S2_S2_EEvT3_20rocsparse_direction_NS_24const_host_device_scalarIT1_EES3_PKS3_PKT2_SC_S9_PKT4_PKT5_S7_PT6_21rocsparse_index_base_b.num_agpr, 0
	.set _ZN9rocsparseL18bsrxmvn_4x4_kernelILj128ELj8E21rocsparse_complex_numIfEllS2_S2_S2_EEvT3_20rocsparse_direction_NS_24const_host_device_scalarIT1_EES3_PKS3_PKT2_SC_S9_PKT4_PKT5_S7_PT6_21rocsparse_index_base_b.numbered_sgpr, 14
	.set _ZN9rocsparseL18bsrxmvn_4x4_kernelILj128ELj8E21rocsparse_complex_numIfEllS2_S2_S2_EEvT3_20rocsparse_direction_NS_24const_host_device_scalarIT1_EES3_PKS3_PKT2_SC_S9_PKT4_PKT5_S7_PT6_21rocsparse_index_base_b.num_named_barrier, 0
	.set _ZN9rocsparseL18bsrxmvn_4x4_kernelILj128ELj8E21rocsparse_complex_numIfEllS2_S2_S2_EEvT3_20rocsparse_direction_NS_24const_host_device_scalarIT1_EES3_PKS3_PKT2_SC_S9_PKT4_PKT5_S7_PT6_21rocsparse_index_base_b.private_seg_size, 0
	.set _ZN9rocsparseL18bsrxmvn_4x4_kernelILj128ELj8E21rocsparse_complex_numIfEllS2_S2_S2_EEvT3_20rocsparse_direction_NS_24const_host_device_scalarIT1_EES3_PKS3_PKT2_SC_S9_PKT4_PKT5_S7_PT6_21rocsparse_index_base_b.uses_vcc, 1
	.set _ZN9rocsparseL18bsrxmvn_4x4_kernelILj128ELj8E21rocsparse_complex_numIfEllS2_S2_S2_EEvT3_20rocsparse_direction_NS_24const_host_device_scalarIT1_EES3_PKS3_PKT2_SC_S9_PKT4_PKT5_S7_PT6_21rocsparse_index_base_b.uses_flat_scratch, 1
	.set _ZN9rocsparseL18bsrxmvn_4x4_kernelILj128ELj8E21rocsparse_complex_numIfEllS2_S2_S2_EEvT3_20rocsparse_direction_NS_24const_host_device_scalarIT1_EES3_PKS3_PKT2_SC_S9_PKT4_PKT5_S7_PT6_21rocsparse_index_base_b.has_dyn_sized_stack, 0
	.set _ZN9rocsparseL18bsrxmvn_4x4_kernelILj128ELj8E21rocsparse_complex_numIfEllS2_S2_S2_EEvT3_20rocsparse_direction_NS_24const_host_device_scalarIT1_EES3_PKS3_PKT2_SC_S9_PKT4_PKT5_S7_PT6_21rocsparse_index_base_b.has_recursion, 0
	.set _ZN9rocsparseL18bsrxmvn_4x4_kernelILj128ELj8E21rocsparse_complex_numIfEllS2_S2_S2_EEvT3_20rocsparse_direction_NS_24const_host_device_scalarIT1_EES3_PKS3_PKT2_SC_S9_PKT4_PKT5_S7_PT6_21rocsparse_index_base_b.has_indirect_call, 0
	.section	.AMDGPU.csdata,"",@progbits
; Kernel info:
; codeLenInByte = 7808
; TotalNumSgprs: 16
; NumVgprs: 160
; ScratchSize: 0
; MemoryBound: 0
; FloatMode: 240
; IeeeMode: 1
; LDSByteSize: 0 bytes/workgroup (compile time only)
; SGPRBlocks: 0
; VGPRBlocks: 9
; NumSGPRsForWavesPerEU: 16
; NumVGPRsForWavesPerEU: 160
; NamedBarCnt: 0
; Occupancy: 6
; WaveLimiterHint : 1
; COMPUTE_PGM_RSRC2:SCRATCH_EN: 0
; COMPUTE_PGM_RSRC2:USER_SGPR: 2
; COMPUTE_PGM_RSRC2:TRAP_HANDLER: 0
; COMPUTE_PGM_RSRC2:TGID_X_EN: 1
; COMPUTE_PGM_RSRC2:TGID_Y_EN: 0
; COMPUTE_PGM_RSRC2:TGID_Z_EN: 0
; COMPUTE_PGM_RSRC2:TIDIG_COMP_CNT: 0
	.section	.text._ZN9rocsparseL18bsrxmvn_4x4_kernelILj128ELj16E21rocsparse_complex_numIfEllS2_S2_S2_EEvT3_20rocsparse_direction_NS_24const_host_device_scalarIT1_EES3_PKS3_PKT2_SC_S9_PKT4_PKT5_S7_PT6_21rocsparse_index_base_b,"axG",@progbits,_ZN9rocsparseL18bsrxmvn_4x4_kernelILj128ELj16E21rocsparse_complex_numIfEllS2_S2_S2_EEvT3_20rocsparse_direction_NS_24const_host_device_scalarIT1_EES3_PKS3_PKT2_SC_S9_PKT4_PKT5_S7_PT6_21rocsparse_index_base_b,comdat
	.globl	_ZN9rocsparseL18bsrxmvn_4x4_kernelILj128ELj16E21rocsparse_complex_numIfEllS2_S2_S2_EEvT3_20rocsparse_direction_NS_24const_host_device_scalarIT1_EES3_PKS3_PKT2_SC_S9_PKT4_PKT5_S7_PT6_21rocsparse_index_base_b ; -- Begin function _ZN9rocsparseL18bsrxmvn_4x4_kernelILj128ELj16E21rocsparse_complex_numIfEllS2_S2_S2_EEvT3_20rocsparse_direction_NS_24const_host_device_scalarIT1_EES3_PKS3_PKT2_SC_S9_PKT4_PKT5_S7_PT6_21rocsparse_index_base_b
	.p2align	8
	.type	_ZN9rocsparseL18bsrxmvn_4x4_kernelILj128ELj16E21rocsparse_complex_numIfEllS2_S2_S2_EEvT3_20rocsparse_direction_NS_24const_host_device_scalarIT1_EES3_PKS3_PKT2_SC_S9_PKT4_PKT5_S7_PT6_21rocsparse_index_base_b,@function
_ZN9rocsparseL18bsrxmvn_4x4_kernelILj128ELj16E21rocsparse_complex_numIfEllS2_S2_S2_EEvT3_20rocsparse_direction_NS_24const_host_device_scalarIT1_EES3_PKS3_PKT2_SC_S9_PKT4_PKT5_S7_PT6_21rocsparse_index_base_b: ; @_ZN9rocsparseL18bsrxmvn_4x4_kernelILj128ELj16E21rocsparse_complex_numIfEllS2_S2_S2_EEvT3_20rocsparse_direction_NS_24const_host_device_scalarIT1_EES3_PKS3_PKT2_SC_S9_PKT4_PKT5_S7_PT6_21rocsparse_index_base_b
; %bb.0:
	s_clause 0x2
	s_load_b64 s[8:9], s[0:1], 0x60
	s_load_b128 s[4:7], s[0:1], 0x10
	s_load_b64 s[2:3], s[0:1], 0x50
	v_mov_b32_e32 v11, 0
	s_add_nc_u64 s[10:11], s[0:1], 16
	s_add_nc_u64 s[12:13], s[0:1], 0x50
	s_wait_kmcnt 0x0
	s_bitcmp1_b32 s9, 0
	s_cselect_b32 s5, s11, s5
	s_cselect_b32 s4, s10, s4
	;; [unrolled: 1-line block ×4, first 2 shown]
	s_clause 0x1
	flat_load_b64 v[2:3], v11, s[4:5]
	flat_load_b64 v[4:5], v11, s[2:3]
	s_wait_loadcnt_dscnt 0x101
	v_cmp_neq_f32_e32 vcc_lo, 0, v2
	s_wait_xcnt 0x0
	v_cmp_neq_f32_e64 s3, 0, v3
	s_wait_loadcnt_dscnt 0x0
	v_cmp_neq_f32_e64 s4, 1.0, v4
	v_cmp_neq_f32_e64 s2, 0, v5
	s_or_b32 s5, vcc_lo, s3
	s_mov_b32 s3, 0
	s_or_b32 s4, s4, s2
	s_delay_alu instid0(SALU_CYCLE_1) | instskip(NEXT) | instid1(SALU_CYCLE_1)
	s_or_b32 s4, s5, s4
	s_and_saveexec_b32 s5, s4
	s_cbranch_execz .LBB52_6
; %bb.1:
	s_load_b64 s[4:5], s[0:1], 0x20
	s_bfe_u32 s9, ttmp6, 0x4000c
	s_and_b32 s10, ttmp6, 15
	s_add_co_i32 s9, s9, 1
	s_getreg_b32 s11, hwreg(HW_REG_IB_STS2, 6, 4)
	s_mul_i32 s9, ttmp9, s9
	v_lshrrev_b32_e32 v1, 4, v0
	s_add_co_i32 s10, s10, s9
	s_cmp_eq_u32 s11, 0
	s_cselect_b32 s9, ttmp9, s10
	s_delay_alu instid0(VALU_DEP_1) | instid1(SALU_CYCLE_1)
	v_lshl_or_b32 v10, s9, 3, v1
	s_wait_kmcnt 0x0
	s_cmp_lg_u64 s[4:5], 0
	s_cbranch_scc0 .LBB52_7
; %bb.2:
	s_delay_alu instid0(VALU_DEP_1) | instskip(SKIP_2) | instid1(SALU_CYCLE_1)
	v_cmp_gt_i64_e32 vcc_lo, s[6:7], v[10:11]
	s_mov_b32 s6, 0
                                        ; implicit-def: $vgpr6_vgpr7
                                        ; implicit-def: $vgpr8_vgpr9
	s_and_saveexec_b32 s7, vcc_lo
	s_xor_b32 s7, exec_lo, s7
	s_cbranch_execz .LBB52_4
; %bb.3:
	v_lshl_add_u64 v[6:7], v[10:11], 3, s[4:5]
	s_mov_b32 s9, 0
	s_mov_b32 s3, exec_lo
	v_mov_b64_e32 v[8:9], s[8:9]
	global_load_b64 v[6:7], v[6:7], off
	s_wait_loadcnt 0x0
	v_sub_nc_u64_e64 v[6:7], v[6:7], s[8:9]
.LBB52_4:
	s_or_b32 exec_lo, exec_lo, s7
	s_delay_alu instid0(SALU_CYCLE_1)
	s_and_b32 vcc_lo, exec_lo, s6
	s_cbranch_vccnz .LBB52_8
.LBB52_5:
	s_and_b32 exec_lo, exec_lo, s3
	s_cbranch_execnz .LBB52_11
.LBB52_6:
	s_sendmsg sendmsg(MSG_DEALLOC_VGPRS)
	s_endpgm
.LBB52_7:
                                        ; implicit-def: $vgpr6_vgpr7
                                        ; implicit-def: $vgpr8_vgpr9
	s_cbranch_execz .LBB52_5
.LBB52_8:
	s_load_b64 s[4:5], s[0:1], 0x0
	s_wait_kmcnt 0x0
	v_cmp_gt_i64_e32 vcc_lo, s[4:5], v[10:11]
	s_and_saveexec_b32 s4, vcc_lo
; %bb.9:
	s_mov_b32 s9, 0
	s_or_b32 s3, s3, exec_lo
; %bb.10:
	s_or_b32 exec_lo, exec_lo, s4
	v_mov_b64_e32 v[8:9], s[8:9]
	v_mov_b64_e32 v[6:7], v[10:11]
	s_and_b32 exec_lo, exec_lo, s3
	s_cbranch_execz .LBB52_6
.LBB52_11:
	s_load_b256 s[4:11], s[0:1], 0x28
	s_delay_alu instid0(VALU_DEP_1) | instskip(SKIP_2) | instid1(VALU_DEP_2)
	v_lshlrev_b64_e32 v[10:11], 3, v[6:7]
	v_dual_mov_b32 v1, 0 :: v_dual_bitop2_b32 v0, 15, v0 bitop3:0x40
	s_wait_kmcnt 0x0
	v_add_nc_u64_e32 v[12:13], s[4:5], v[10:11]
	v_add_nc_u64_e32 v[10:11], s[6:7], v[10:11]
	s_cmp_eq_u64 s[6:7], 0
	s_clause 0x1
	s_load_b32 s6, s[0:1], 0x8
	s_load_b64 s[4:5], s[0:1], 0x48
	s_cselect_b32 vcc_lo, -1, 0
	global_load_b64 v[24:25], v[12:13], off
	s_wait_xcnt 0x0
	v_add_nc_u64_e32 v[12:13], 8, v[12:13]
	s_delay_alu instid0(VALU_DEP_1)
	v_dual_cndmask_b32 v11, v11, v13 :: v_dual_cndmask_b32 v10, v10, v12
	global_load_b64 v[12:13], v[10:11], off
	s_wait_kmcnt 0x0
	s_cmp_eq_u32 s6, 1
	s_wait_loadcnt 0x1
	s_wait_xcnt 0x0
	v_sub_nc_u64_e32 v[10:11], v[24:25], v[8:9]
	s_delay_alu instid0(VALU_DEP_1) | instskip(SKIP_2) | instid1(VALU_DEP_2)
	v_add_nc_u64_e32 v[10:11], v[10:11], v[0:1]
	s_wait_loadcnt 0x0
	v_sub_nc_u64_e32 v[12:13], v[12:13], v[8:9]
	v_lshlrev_b64_e32 v[14:15], 7, v[10:11]
	s_delay_alu instid0(VALU_DEP_2) | instskip(NEXT) | instid1(VALU_DEP_2)
	v_cmp_lt_i64_e64 s3, v[10:11], v[12:13]
	v_add_nc_u64_e32 v[14:15], s[10:11], v[14:15]
	s_cbranch_scc1 .LBB52_23
; %bb.12:
	v_dual_mov_b32 v23, v1 :: v_dual_mov_b32 v22, v1
	v_dual_mov_b32 v17, v1 :: v_dual_mov_b32 v16, v1
	;; [unrolled: 1-line block ×4, first 2 shown]
	s_and_saveexec_b32 s6, s3
	s_cbranch_execz .LBB52_22
; %bb.13:
	v_dual_mov_b32 v17, v1 :: v_dual_bitop2_b32 v16, 16, v0 bitop3:0x54
	v_sub_nc_u64_e32 v[18:19], v[8:9], v[0:1]
	v_not_b32_e32 v21, v25
	v_not_b32_e32 v20, v24
	v_mov_b64_e32 v[28:29], v[14:15]
	v_sub_nc_u64_e32 v[16:17], v[16:17], v[8:9]
	v_mov_b64_e32 v[26:27], v[10:11]
	s_delay_alu instid0(VALU_DEP_4) | instskip(NEXT) | instid1(VALU_DEP_3)
	v_add_nc_u64_e32 v[18:19], v[18:19], v[20:21]
	v_add_nc_u64_e32 v[16:17], v[16:17], v[24:25]
	s_delay_alu instid0(VALU_DEP_1) | instskip(NEXT) | instid1(VALU_DEP_1)
	v_max_i64 v[16:17], v[16:17], v[12:13]
	v_add_nc_u64_e32 v[30:31], v[18:19], v[16:17]
	s_delay_alu instid0(VALU_DEP_1) | instskip(NEXT) | instid1(VALU_DEP_1)
	v_dual_mov_b32 v19, 0 :: v_dual_bitop2_b32 v18, 48, v30 bitop3:0x40
	v_dual_mov_b32 v21, v19 :: v_dual_mov_b32 v20, v19
	v_dual_mov_b32 v17, v19 :: v_dual_mov_b32 v16, v19
	s_delay_alu instid0(VALU_DEP_3)
	v_cmp_ne_u64_e32 vcc_lo, 48, v[18:19]
	v_dual_mov_b32 v22, v19 :: v_dual_mov_b32 v18, v19
	v_mov_b32_e32 v23, v19
	s_and_saveexec_b32 s7, vcc_lo
	s_cbranch_execz .LBB52_17
; %bb.14:
	v_dual_mov_b32 v19, 0 :: v_dual_lshrrev_b32 v16, 4, v30
	v_mov_b64_e32 v[26:27], v[10:11]
	v_mov_b64_e32 v[28:29], v[14:15]
	v_lshl_add_u64 v[32:33], v[10:11], 3, s[8:9]
	s_delay_alu instid0(VALU_DEP_4) | instskip(SKIP_1) | instid1(VALU_DEP_2)
	v_dual_add_nc_u32 v16, 1, v16 :: v_dual_mov_b32 v20, v19
	v_dual_mov_b32 v17, v19 :: v_dual_mov_b32 v22, v19
	v_dual_mov_b32 v23, v19 :: v_dual_bitop2_b32 v18, 3, v16 bitop3:0x40
	v_dual_mov_b32 v21, v19 :: v_dual_mov_b32 v16, v19
	s_mov_b32 s10, 0
	s_delay_alu instid0(VALU_DEP_2)
	v_sub_nc_u64_e32 v[34:35], 0, v[18:19]
	v_mov_b32_e32 v18, v19
.LBB52_15:                              ; =>This Inner Loop Header: Depth=1
	global_load_b64 v[36:37], v[32:33], off
	v_add_nc_u64_e32 v[34:35], 1, v[34:35]
	v_add_nc_u64_e32 v[26:27], 16, v[26:27]
	s_wait_xcnt 0x0
	v_add_nc_u64_e32 v[32:33], 0x80, v[32:33]
	s_delay_alu instid0(VALU_DEP_3)
	v_cmp_eq_u64_e32 vcc_lo, 0, v[34:35]
	s_or_b32 s10, vcc_lo, s10
	s_wait_loadcnt 0x0
	v_sub_nc_u64_e32 v[44:45], v[36:37], v[8:9]
	s_clause 0x1
	global_load_b128 v[36:39], v[28:29], off offset:16
	global_load_b128 v[40:43], v[28:29], off
	v_lshlrev_b64_e32 v[56:57], 5, v[44:45]
	s_clause 0x2
	global_load_b128 v[44:47], v[28:29], off offset:48
	global_load_b128 v[48:51], v[28:29], off offset:32
	global_load_b128 v[52:55], v[28:29], off offset:64
	v_add_nc_u64_e32 v[76:77], s[4:5], v[56:57]
	s_clause 0x2
	global_load_b128 v[56:59], v[28:29], off offset:80
	global_load_b128 v[60:63], v[28:29], off offset:112
	;; [unrolled: 1-line block ×3, first 2 shown]
	s_clause 0x1
	global_load_b128 v[68:71], v[76:77], off
	global_load_b128 v[72:75], v[76:77], off offset:16
	s_wait_xcnt 0x2
	v_add_nc_u64_e32 v[28:29], 0x800, v[28:29]
	s_wait_loadcnt 0x9
	v_xor_b32_e32 v78, 0x80000000, v39
	s_wait_loadcnt 0x8
	s_wait_xcnt 0x0
	v_xor_b32_e32 v76, 0x80000000, v43
	v_dual_mov_b32 v77, v42 :: v_dual_mov_b32 v79, v38
	s_wait_loadcnt 0x7
	v_xor_b32_e32 v82, 0x80000000, v47
	s_wait_loadcnt 0x6
	v_xor_b32_e32 v80, 0x80000000, v51
	v_dual_mov_b32 v81, v50 :: v_dual_mov_b32 v83, v46
	s_wait_loadcnt 0x5
	v_xor_b32_e32 v84, 0x80000000, v55
	v_mov_b32_e32 v85, v54
	s_wait_loadcnt 0x4
	v_xor_b32_e32 v86, 0x80000000, v59
	v_mov_b32_e32 v87, v58
	s_wait_loadcnt 0x2
	v_xor_b32_e32 v88, 0x80000000, v67
	s_wait_loadcnt 0x1
	v_pk_fma_f32 v[22:23], v[40:41], v[68:69], v[22:23] op_sel_hi:[1,0,1]
	v_pk_fma_f32 v[18:19], v[48:49], v[68:69], v[18:19] op_sel_hi:[1,0,1]
	;; [unrolled: 1-line block ×4, first 2 shown]
	v_mov_b32_e32 v89, v66
	v_pk_fma_f32 v[22:23], v[40:41], v[68:69], v[22:23] op_sel:[1,1,0] op_sel_hi:[0,1,1] neg_lo:[1,0,0]
	v_pk_fma_f32 v[18:19], v[48:49], v[68:69], v[18:19] op_sel:[1,1,0] op_sel_hi:[0,1,1] neg_lo:[1,0,0]
	;; [unrolled: 1-line block ×4, first 2 shown]
	v_mov_b32_e32 v40, v71
	v_pk_fma_f32 v[22:23], v[42:43], v[70:71], v[22:23] op_sel_hi:[1,0,1]
	v_pk_fma_f32 v[18:19], v[50:51], v[70:71], v[18:19] op_sel_hi:[1,0,1]
	;; [unrolled: 1-line block ×4, first 2 shown]
	s_delay_alu instid0(VALU_DEP_4) | instskip(NEXT) | instid1(VALU_DEP_4)
	v_pk_fma_f32 v[22:23], v[76:77], v[40:41], v[22:23] op_sel_hi:[1,0,1]
	v_pk_fma_f32 v[18:19], v[80:81], v[40:41], v[18:19] op_sel_hi:[1,0,1]
	s_delay_alu instid0(VALU_DEP_4) | instskip(NEXT) | instid1(VALU_DEP_4)
	v_pk_fma_f32 v[20:21], v[84:85], v[40:41], v[20:21] op_sel_hi:[1,0,1]
	v_pk_fma_f32 v[16:17], v[88:89], v[40:41], v[16:17] op_sel_hi:[1,0,1]
	v_xor_b32_e32 v40, 0x80000000, v63
	s_wait_loadcnt 0x0
	v_pk_fma_f32 v[22:23], v[36:37], v[72:73], v[22:23] op_sel_hi:[1,0,1]
	v_pk_fma_f32 v[18:19], v[44:45], v[72:73], v[18:19] op_sel_hi:[1,0,1]
	;; [unrolled: 1-line block ×4, first 2 shown]
	v_mov_b32_e32 v41, v62
	v_pk_fma_f32 v[22:23], v[36:37], v[72:73], v[22:23] op_sel:[1,1,0] op_sel_hi:[0,1,1] neg_lo:[1,0,0]
	v_pk_fma_f32 v[18:19], v[44:45], v[72:73], v[18:19] op_sel:[1,1,0] op_sel_hi:[0,1,1] neg_lo:[1,0,0]
	v_pk_fma_f32 v[20:21], v[56:57], v[72:73], v[20:21] op_sel:[1,1,0] op_sel_hi:[0,1,1] neg_lo:[1,0,0]
	v_pk_fma_f32 v[16:17], v[60:61], v[72:73], v[16:17] op_sel:[1,1,0] op_sel_hi:[0,1,1] neg_lo:[1,0,0]
	v_mov_b32_e32 v36, v75
	v_pk_fma_f32 v[22:23], v[38:39], v[74:75], v[22:23] op_sel_hi:[1,0,1]
	v_pk_fma_f32 v[18:19], v[46:47], v[74:75], v[18:19] op_sel_hi:[1,0,1]
	;; [unrolled: 1-line block ×4, first 2 shown]
	s_delay_alu instid0(VALU_DEP_4) | instskip(NEXT) | instid1(VALU_DEP_4)
	v_pk_fma_f32 v[22:23], v[78:79], v[36:37], v[22:23] op_sel_hi:[1,0,1]
	v_pk_fma_f32 v[18:19], v[82:83], v[36:37], v[18:19] op_sel_hi:[1,0,1]
	s_delay_alu instid0(VALU_DEP_4) | instskip(NEXT) | instid1(VALU_DEP_4)
	v_pk_fma_f32 v[20:21], v[86:87], v[36:37], v[20:21] op_sel_hi:[1,0,1]
	v_pk_fma_f32 v[16:17], v[40:41], v[36:37], v[16:17] op_sel_hi:[1,0,1]
	s_and_not1_b32 exec_lo, exec_lo, s10
	s_cbranch_execnz .LBB52_15
; %bb.16:
	s_or_b32 exec_lo, exec_lo, s10
.LBB52_17:
	s_delay_alu instid0(SALU_CYCLE_1) | instskip(NEXT) | instid1(SALU_CYCLE_1)
	s_or_b32 exec_lo, exec_lo, s7
	s_mov_b32 s7, exec_lo
	v_cmpx_lt_u64_e32 47, v[30:31]
	s_cbranch_execz .LBB52_21
; %bb.18:
	v_lshl_add_u64 v[30:31], v[26:27], 3, s[8:9]
	s_mov_b32 s10, 0
	s_delay_alu instid0(VALU_DEP_1)
	v_add_nc_u64_e32 v[30:31], 0x100, v[30:31]
.LBB52_19:                              ; =>This Inner Loop Header: Depth=1
	global_load_b64 v[136:137], v[30:31], off offset:-256
	s_clause 0x11
	global_load_b128 v[32:35], v[28:29], off
	global_load_b128 v[36:39], v[28:29], off offset:16
	global_load_b128 v[40:43], v[28:29], off offset:48
	;; [unrolled: 1-line block ×17, first 2 shown]
	s_clause 0x2
	global_load_b64 v[144:145], v[30:31], off offset:-128
	global_load_b64 v[146:147], v[30:31], off
	global_load_b64 v[148:149], v[30:31], off offset:128
	s_clause 0x7
	global_load_b128 v[104:107], v[28:29], off offset:4112
	global_load_b128 v[108:111], v[28:29], off offset:4096
	;; [unrolled: 1-line block ×8, first 2 shown]
	v_add_nc_u64_e32 v[26:27], 64, v[26:27]
	s_wait_xcnt 0x8
	v_add_nc_u64_e32 v[30:31], 0x200, v[30:31]
	s_delay_alu instid0(VALU_DEP_2)
	v_cmp_ge_i64_e32 vcc_lo, v[26:27], v[12:13]
	s_or_b32 s10, vcc_lo, s10
	s_wait_loadcnt 0x1d
	v_sub_nc_u64_e32 v[136:137], v[136:137], v[8:9]
	s_wait_loadcnt 0x1c
	v_xor_b32_e32 v150, 0x80000000, v35
	v_mov_b32_e32 v151, v34
	s_delay_alu instid0(VALU_DEP_3) | instskip(SKIP_3) | instid1(VALU_DEP_3)
	v_lshlrev_b64_e32 v[136:137], 5, v[136:137]
	s_wait_loadcnt 0x11
	v_xor_b32_e32 v156, 0x80000000, v79
	v_mov_b32_e32 v157, v78
	v_add_nc_u64_e32 v[152:153], s[4:5], v[136:137]
	s_clause 0x1
	global_load_b128 v[136:139], v[152:153], off
	global_load_b128 v[140:143], v[152:153], off offset:16
	s_wait_xcnt 0x0
	v_xor_b32_e32 v152, 0x80000000, v47
	v_mov_b32_e32 v153, v46
	s_wait_loadcnt 0x1
	v_pk_fma_f32 v[18:19], v[44:45], v[136:137], v[18:19] op_sel_hi:[1,0,1]
	v_pk_fma_f32 v[22:23], v[32:33], v[136:137], v[22:23] op_sel_hi:[1,0,1]
	;; [unrolled: 1-line block ×3, first 2 shown]
	s_delay_alu instid0(VALU_DEP_3) | instskip(NEXT) | instid1(VALU_DEP_3)
	v_pk_fma_f32 v[18:19], v[44:45], v[136:137], v[18:19] op_sel:[1,1,0] op_sel_hi:[0,1,1] neg_lo:[1,0,0]
	v_pk_fma_f32 v[22:23], v[32:33], v[136:137], v[22:23] op_sel:[1,1,0] op_sel_hi:[0,1,1] neg_lo:[1,0,0]
	s_delay_alu instid0(VALU_DEP_3) | instskip(NEXT) | instid1(VALU_DEP_3)
	v_pk_fma_f32 v[16:17], v[68:69], v[136:137], v[16:17] op_sel:[1,1,0] op_sel_hi:[0,1,1] neg_lo:[1,0,0]
	v_pk_fma_f32 v[154:155], v[46:47], v[138:139], v[18:19] op_sel_hi:[1,0,1]
	v_pk_fma_f32 v[18:19], v[76:77], v[136:137], v[20:21] op_sel_hi:[1,0,1]
	s_delay_alu instid0(VALU_DEP_4) | instskip(NEXT) | instid1(VALU_DEP_4)
	v_pk_fma_f32 v[22:23], v[34:35], v[138:139], v[22:23] op_sel_hi:[1,0,1]
	v_pk_fma_f32 v[16:17], v[70:71], v[138:139], v[16:17] op_sel_hi:[1,0,1]
	s_clause 0x1
	global_load_b128 v[32:35], v[28:29], off offset:6160
	global_load_b128 v[44:47], v[28:29], off offset:6208
	v_pk_fma_f32 v[18:19], v[76:77], v[136:137], v[18:19] op_sel:[1,1,0] op_sel_hi:[0,1,1] neg_lo:[1,0,0]
	v_mov_b32_e32 v136, v139
	s_delay_alu instid0(VALU_DEP_2) | instskip(SKIP_1) | instid1(VALU_DEP_3)
	v_pk_fma_f32 v[76:77], v[78:79], v[138:139], v[18:19] op_sel_hi:[1,0,1]
	v_mov_b32_e32 v79, v70
	v_pk_fma_f32 v[22:23], v[150:151], v[136:137], v[22:23] op_sel_hi:[1,0,1]
	v_mov_b32_e32 v151, v38
	v_pk_fma_f32 v[138:139], v[152:153], v[136:137], v[154:155] op_sel_hi:[1,0,1]
	v_pk_fma_f32 v[152:153], v[156:157], v[136:137], v[76:77] op_sel_hi:[1,0,1]
	v_sub_nc_u64_e32 v[76:77], v[144:145], v[8:9]
	v_sub_nc_u64_e32 v[144:145], v[146:147], v[8:9]
	v_xor_b32_e32 v78, 0x80000000, v71
	s_wait_loadcnt 0x2
	v_pk_fma_f32 v[22:23], v[36:37], v[140:141], v[22:23] op_sel_hi:[1,0,1]
	s_clause 0x1
	global_load_b128 v[18:21], v[28:29], off offset:6144
	global_load_b128 v[68:71], v[28:29], off offset:6240
	v_xor_b32_e32 v150, 0x80000000, v39
	v_lshlrev_b64_e32 v[76:77], 5, v[76:77]
	v_pk_fma_f32 v[16:17], v[78:79], v[136:137], v[16:17] op_sel_hi:[1,0,1]
	v_lshlrev_b64_e32 v[78:79], 5, v[144:145]
	v_pk_fma_f32 v[22:23], v[36:37], v[140:141], v[22:23] op_sel:[1,1,0] op_sel_hi:[0,1,1] neg_lo:[1,0,0]
	v_sub_nc_u64_e32 v[136:137], v[148:149], v[8:9]
	v_pk_fma_f32 v[138:139], v[40:41], v[140:141], v[138:139] op_sel_hi:[1,0,1]
	v_xor_b32_e32 v154, 0x80000000, v43
	v_add_nc_u64_e32 v[144:145], s[4:5], v[76:77]
	v_pk_fma_f32 v[22:23], v[38:39], v[142:143], v[22:23] op_sel_hi:[1,0,1]
	v_add_nc_u64_e32 v[148:149], s[4:5], v[78:79]
	v_pk_fma_f32 v[40:41], v[40:41], v[140:141], v[138:139] op_sel:[1,1,0] op_sel_hi:[0,1,1] neg_lo:[1,0,0]
	v_dual_mov_b32 v155, v42 :: v_dual_mov_b32 v147, v74
	s_clause 0x1
	global_load_b128 v[36:39], v[144:145], off
	global_load_b128 v[76:79], v[144:145], off offset:16
	s_wait_xcnt 0x0
	v_pk_fma_f32 v[144:145], v[42:43], v[142:143], v[40:41] op_sel_hi:[1,0,1]
	global_load_b128 v[40:43], v[148:149], off
	v_pk_fma_f32 v[138:139], v[72:73], v[140:141], v[152:153] op_sel_hi:[1,0,1]
	v_xor_b32_e32 v146, 0x80000000, v75
	v_pk_fma_f32 v[16:17], v[64:65], v[140:141], v[16:17] op_sel_hi:[1,0,1]
	v_xor_b32_e32 v156, 0x80000000, v67
	v_mov_b32_e32 v157, v66
	v_pk_fma_f32 v[72:73], v[72:73], v[140:141], v[138:139] op_sel:[1,1,0] op_sel_hi:[0,1,1] neg_lo:[1,0,0]
	s_delay_alu instid0(VALU_DEP_4) | instskip(NEXT) | instid1(VALU_DEP_2)
	v_pk_fma_f32 v[16:17], v[64:65], v[140:141], v[16:17] op_sel:[1,1,0] op_sel_hi:[0,1,1] neg_lo:[1,0,0]
	v_pk_fma_f32 v[152:153], v[74:75], v[142:143], v[72:73] op_sel_hi:[1,0,1]
	v_lshlrev_b64_e32 v[72:73], 5, v[136:137]
	s_delay_alu instid0(VALU_DEP_3)
	v_pk_fma_f32 v[16:17], v[66:67], v[142:143], v[16:17] op_sel_hi:[1,0,1]
	global_load_b128 v[136:139], v[28:29], off offset:6224
	v_add_nc_u64_e32 v[158:159], s[4:5], v[72:73]
	global_load_b128 v[72:75], v[148:149], off offset:16
	s_wait_xcnt 0x0
	v_mov_b32_e32 v148, v143
	global_load_b128 v[140:143], v[28:29], off offset:6256
	s_wait_xcnt 0x0
	v_add_nc_u64_e32 v[28:29], 0x2000, v[28:29]
	global_load_b128 v[64:67], v[158:159], off
	v_pk_fma_f32 v[22:23], v[150:151], v[148:149], v[22:23] op_sel_hi:[1,0,1]
	v_pk_fma_f32 v[150:151], v[154:155], v[148:149], v[144:145] op_sel_hi:[1,0,1]
	;; [unrolled: 1-line block ×3, first 2 shown]
	global_load_b128 v[144:147], v[158:159], off offset:16
	v_pk_fma_f32 v[16:17], v[156:157], v[148:149], v[16:17] op_sel_hi:[1,0,1]
	v_xor_b32_e32 v148, 0x80000000, v63
	v_mov_b32_e32 v149, v62
	s_wait_loadcnt 0x7
	v_pk_fma_f32 v[22:23], v[60:61], v[36:37], v[22:23] op_sel_hi:[1,0,1]
	v_pk_fma_f32 v[150:151], v[52:53], v[36:37], v[150:151] op_sel_hi:[1,0,1]
	;; [unrolled: 1-line block ×4, first 2 shown]
	s_delay_alu instid0(VALU_DEP_4) | instskip(NEXT) | instid1(VALU_DEP_4)
	v_pk_fma_f32 v[22:23], v[60:61], v[36:37], v[22:23] op_sel:[1,1,0] op_sel_hi:[0,1,1] neg_lo:[1,0,0]
	v_pk_fma_f32 v[52:53], v[52:53], v[36:37], v[150:151] op_sel:[1,1,0] op_sel_hi:[0,1,1] neg_lo:[1,0,0]
	s_delay_alu instid0(VALU_DEP_4) | instskip(NEXT) | instid1(VALU_DEP_4)
	v_pk_fma_f32 v[92:93], v[92:93], v[36:37], v[152:153] op_sel:[1,1,0] op_sel_hi:[0,1,1] neg_lo:[1,0,0]
	v_pk_fma_f32 v[16:17], v[84:85], v[36:37], v[16:17] op_sel:[1,1,0] op_sel_hi:[0,1,1] neg_lo:[1,0,0]
	v_xor_b32_e32 v60, 0x80000000, v55
	v_pk_fma_f32 v[22:23], v[62:63], v[38:39], v[22:23] op_sel_hi:[1,0,1]
	v_mov_b32_e32 v61, v54
	v_xor_b32_e32 v62, 0x80000000, v95
	v_mov_b32_e32 v63, v94
	v_pk_fma_f32 v[52:53], v[54:55], v[38:39], v[52:53] op_sel_hi:[1,0,1]
	v_xor_b32_e32 v54, 0x80000000, v87
	v_mov_b32_e32 v55, v86
	v_pk_fma_f32 v[92:93], v[94:95], v[38:39], v[92:93] op_sel_hi:[1,0,1]
	v_pk_fma_f32 v[16:17], v[86:87], v[38:39], v[16:17] op_sel_hi:[1,0,1]
	v_dual_mov_b32 v85, v110 :: v_dual_mov_b32 v38, v39
	v_xor_b32_e32 v150, 0x80000000, v59
	v_dual_mov_b32 v151, v58 :: v_dual_mov_b32 v95, v50
	v_xor_b32_e32 v94, 0x80000000, v51
	s_delay_alu instid0(VALU_DEP_4)
	v_pk_fma_f32 v[22:23], v[148:149], v[38:39], v[22:23] op_sel_hi:[1,0,1]
	v_pk_fma_f32 v[52:53], v[60:61], v[38:39], v[52:53] op_sel_hi:[1,0,1]
	;; [unrolled: 1-line block ×4, first 2 shown]
	v_xor_b32_e32 v152, 0x80000000, v91
	s_wait_loadcnt 0x6
	v_pk_fma_f32 v[22:23], v[56:57], v[76:77], v[22:23] op_sel_hi:[1,0,1]
	v_pk_fma_f32 v[52:53], v[48:49], v[76:77], v[52:53] op_sel_hi:[1,0,1]
	;; [unrolled: 1-line block ×4, first 2 shown]
	v_dual_mov_b32 v153, v90 :: v_dual_mov_b32 v37, v82
	v_pk_fma_f32 v[22:23], v[56:57], v[76:77], v[22:23] op_sel:[1,1,0] op_sel_hi:[0,1,1] neg_lo:[1,0,0]
	v_pk_fma_f32 v[48:49], v[48:49], v[76:77], v[52:53] op_sel:[1,1,0] op_sel_hi:[0,1,1] neg_lo:[1,0,0]
	;; [unrolled: 1-line block ×4, first 2 shown]
	v_xor_b32_e32 v36, 0x80000000, v83
	v_pk_fma_f32 v[22:23], v[58:59], v[78:79], v[22:23] op_sel_hi:[1,0,1]
	v_pk_fma_f32 v[48:49], v[50:51], v[78:79], v[48:49] op_sel_hi:[1,0,1]
	v_dual_mov_b32 v51, v130 :: v_dual_mov_b32 v62, v79
	v_pk_fma_f32 v[52:53], v[90:91], v[78:79], v[52:53] op_sel_hi:[1,0,1]
	v_pk_fma_f32 v[16:17], v[82:83], v[78:79], v[16:17] op_sel_hi:[1,0,1]
	v_xor_b32_e32 v84, 0x80000000, v111
	v_xor_b32_e32 v86, 0x80000000, v103
	v_pk_fma_f32 v[22:23], v[150:151], v[62:63], v[22:23] op_sel_hi:[1,0,1]
	v_pk_fma_f32 v[48:49], v[94:95], v[62:63], v[48:49] op_sel_hi:[1,0,1]
	;; [unrolled: 1-line block ×4, first 2 shown]
	v_dual_mov_b32 v87, v102 :: v_dual_mov_b32 v149, v126
	s_wait_loadcnt 0x5
	v_pk_fma_f32 v[22:23], v[108:109], v[40:41], v[22:23] op_sel_hi:[1,0,1]
	v_pk_fma_f32 v[36:37], v[100:101], v[40:41], v[48:49] op_sel_hi:[1,0,1]
	;; [unrolled: 1-line block ×4, first 2 shown]
	v_xor_b32_e32 v148, 0x80000000, v127
	v_pk_fma_f32 v[22:23], v[108:109], v[40:41], v[22:23] op_sel:[1,1,0] op_sel_hi:[0,1,1] neg_lo:[1,0,0]
	v_pk_fma_f32 v[36:37], v[100:101], v[40:41], v[36:37] op_sel:[1,1,0] op_sel_hi:[0,1,1] neg_lo:[1,0,0]
	v_pk_fma_f32 v[48:49], v[124:125], v[40:41], v[48:49] op_sel:[1,1,0] op_sel_hi:[0,1,1] neg_lo:[1,0,0]
	v_pk_fma_f32 v[16:17], v[116:117], v[40:41], v[16:17] op_sel:[1,1,0] op_sel_hi:[0,1,1] neg_lo:[1,0,0]
	v_xor_b32_e32 v60, 0x80000000, v119
	v_dual_mov_b32 v61, v118 :: v_dual_mov_b32 v93, v106
	v_dual_mov_b32 v77, v122 :: v_dual_mov_b32 v40, v43
	v_pk_fma_f32 v[22:23], v[110:111], v[42:43], v[22:23] op_sel_hi:[1,0,1]
	v_pk_fma_f32 v[36:37], v[102:103], v[42:43], v[36:37] op_sel_hi:[1,0,1]
	;; [unrolled: 1-line block ×4, first 2 shown]
	v_xor_b32_e32 v92, 0x80000000, v107
	v_pk_fma_f32 v[22:23], v[84:85], v[40:41], v[22:23] op_sel_hi:[1,0,1]
	v_pk_fma_f32 v[36:37], v[86:87], v[40:41], v[36:37] op_sel_hi:[1,0,1]
	;; [unrolled: 1-line block ×4, first 2 shown]
	v_xor_b32_e32 v56, 0x80000000, v99
	s_wait_loadcnt 0x3
	v_pk_fma_f32 v[22:23], v[104:105], v[72:73], v[22:23] op_sel_hi:[1,0,1]
	v_pk_fma_f32 v[36:37], v[96:97], v[72:73], v[36:37] op_sel_hi:[1,0,1]
	v_pk_fma_f32 v[42:43], v[120:121], v[72:73], v[42:43] op_sel_hi:[1,0,1]
	v_pk_fma_f32 v[16:17], v[112:113], v[72:73], v[16:17] op_sel_hi:[1,0,1]
	v_dual_mov_b32 v57, v98 :: v_dual_mov_b32 v59, v134
	v_pk_fma_f32 v[22:23], v[104:105], v[72:73], v[22:23] op_sel:[1,1,0] op_sel_hi:[0,1,1] neg_lo:[1,0,0]
	v_pk_fma_f32 v[36:37], v[96:97], v[72:73], v[36:37] op_sel:[1,1,0] op_sel_hi:[0,1,1] neg_lo:[1,0,0]
	;; [unrolled: 1-line block ×4, first 2 shown]
	v_xor_b32_e32 v76, 0x80000000, v123
	v_dual_mov_b32 v53, v46 :: v_dual_mov_b32 v41, v114
	v_xor_b32_e32 v40, 0x80000000, v115
	v_mov_b32_e32 v48, v75
	v_pk_fma_f32 v[22:23], v[106:107], v[74:75], v[22:23] op_sel_hi:[1,0,1]
	v_pk_fma_f32 v[36:37], v[98:99], v[74:75], v[36:37] op_sel_hi:[1,0,1]
	;; [unrolled: 1-line block ×4, first 2 shown]
	v_xor_b32_e32 v38, 0x80000000, v21
	v_dual_mov_b32 v39, v20 :: v_dual_mov_b32 v55, v34
	v_xor_b32_e32 v58, 0x80000000, v135
	s_delay_alu instid0(VALU_DEP_4)
	v_pk_fma_f32 v[16:17], v[40:41], v[48:49], v[16:17] op_sel_hi:[1,0,1]
	v_mov_b32_e32 v41, v70
	v_pk_fma_f32 v[22:23], v[92:93], v[48:49], v[22:23] op_sel_hi:[1,0,1]
	v_pk_fma_f32 v[36:37], v[56:57], v[48:49], v[36:37] op_sel_hi:[1,0,1]
	;; [unrolled: 1-line block ×3, first 2 shown]
	s_wait_loadcnt 0x1
	v_pk_fma_f32 v[16:17], v[68:69], v[64:65], v[16:17] op_sel_hi:[1,0,1]
	v_xor_b32_e32 v52, 0x80000000, v47
	v_pk_fma_f32 v[22:23], v[18:19], v[64:65], v[22:23] op_sel_hi:[1,0,1]
	v_pk_fma_f32 v[36:37], v[132:133], v[64:65], v[36:37] op_sel_hi:[1,0,1]
	;; [unrolled: 1-line block ×3, first 2 shown]
	v_pk_fma_f32 v[16:17], v[68:69], v[64:65], v[16:17] op_sel:[1,1,0] op_sel_hi:[0,1,1] neg_lo:[1,0,0]
	v_xor_b32_e32 v40, 0x80000000, v71
	v_pk_fma_f32 v[18:19], v[18:19], v[64:65], v[22:23] op_sel:[1,1,0] op_sel_hi:[0,1,1] neg_lo:[1,0,0]
	v_pk_fma_f32 v[22:23], v[132:133], v[64:65], v[36:37] op_sel:[1,1,0] op_sel_hi:[0,1,1] neg_lo:[1,0,0]
	;; [unrolled: 1-line block ×3, first 2 shown]
	v_dual_mov_b32 v42, v67 :: v_dual_mov_b32 v61, v138
	s_delay_alu instid0(VALU_DEP_4) | instskip(NEXT) | instid1(VALU_DEP_4)
	v_pk_fma_f32 v[18:19], v[20:21], v[66:67], v[18:19] op_sel_hi:[1,0,1]
	v_pk_fma_f32 v[20:21], v[134:135], v[66:67], v[22:23] op_sel_hi:[1,0,1]
	s_delay_alu instid0(VALU_DEP_4)
	v_pk_fma_f32 v[22:23], v[46:47], v[66:67], v[36:37] op_sel_hi:[1,0,1]
	v_pk_fma_f32 v[16:17], v[70:71], v[66:67], v[16:17] op_sel_hi:[1,0,1]
	v_xor_b32_e32 v54, 0x80000000, v35
	v_pk_fma_f32 v[18:19], v[38:39], v[42:43], v[18:19] op_sel_hi:[1,0,1]
	v_pk_fma_f32 v[20:21], v[58:59], v[42:43], v[20:21] op_sel_hi:[1,0,1]
	;; [unrolled: 1-line block ×4, first 2 shown]
	v_xor_b32_e32 v50, 0x80000000, v131
	s_wait_loadcnt 0x0
	v_pk_fma_f32 v[18:19], v[32:33], v[144:145], v[18:19] op_sel_hi:[1,0,1]
	v_pk_fma_f32 v[20:21], v[128:129], v[144:145], v[20:21] op_sel_hi:[1,0,1]
	;; [unrolled: 1-line block ×4, first 2 shown]
	v_xor_b32_e32 v60, 0x80000000, v139
	v_pk_fma_f32 v[18:19], v[32:33], v[144:145], v[18:19] op_sel:[1,1,0] op_sel_hi:[0,1,1] neg_lo:[1,0,0]
	v_pk_fma_f32 v[20:21], v[128:129], v[144:145], v[20:21] op_sel:[1,1,0] op_sel_hi:[0,1,1] neg_lo:[1,0,0]
	;; [unrolled: 1-line block ×4, first 2 shown]
	v_xor_b32_e32 v36, 0x80000000, v143
	v_dual_mov_b32 v37, v142 :: v_dual_mov_b32 v32, v147
	v_pk_fma_f32 v[18:19], v[34:35], v[146:147], v[18:19] op_sel_hi:[1,0,1]
	v_pk_fma_f32 v[20:21], v[130:131], v[146:147], v[20:21] op_sel_hi:[1,0,1]
	;; [unrolled: 1-line block ×4, first 2 shown]
	s_delay_alu instid0(VALU_DEP_4) | instskip(NEXT) | instid1(VALU_DEP_4)
	v_pk_fma_f32 v[22:23], v[54:55], v[32:33], v[18:19] op_sel_hi:[1,0,1]
	v_pk_fma_f32 v[18:19], v[50:51], v[32:33], v[20:21] op_sel_hi:[1,0,1]
	s_delay_alu instid0(VALU_DEP_4) | instskip(NEXT) | instid1(VALU_DEP_4)
	v_pk_fma_f32 v[20:21], v[60:61], v[32:33], v[34:35] op_sel_hi:[1,0,1]
	v_pk_fma_f32 v[16:17], v[36:37], v[32:33], v[16:17] op_sel_hi:[1,0,1]
	s_and_not1_b32 exec_lo, exec_lo, s10
	s_cbranch_execnz .LBB52_19
; %bb.20:
	s_or_b32 exec_lo, exec_lo, s10
.LBB52_21:
	s_delay_alu instid0(SALU_CYCLE_1)
	s_or_b32 exec_lo, exec_lo, s7
.LBB52_22:
	s_delay_alu instid0(SALU_CYCLE_1)
	s_or_b32 exec_lo, exec_lo, s6
	s_cbranch_execz .LBB52_24
	s_branch .LBB52_35
.LBB52_23:
                                        ; implicit-def: $vgpr23
                                        ; implicit-def: $vgpr17
                                        ; implicit-def: $vgpr21
                                        ; implicit-def: $vgpr19
.LBB52_24:
	v_dual_mov_b32 v23, 0 :: v_dual_mov_b32 v22, 0
	v_dual_mov_b32 v17, 0 :: v_dual_mov_b32 v16, 0
	;; [unrolled: 1-line block ×4, first 2 shown]
	s_and_saveexec_b32 s6, s3
	s_cbranch_execz .LBB52_34
; %bb.25:
	v_dual_mov_b32 v17, v1 :: v_dual_bitop2_b32 v16, 16, v0 bitop3:0x54
	v_sub_nc_u64_e32 v[18:19], v[8:9], v[0:1]
	v_not_b32_e32 v21, v25
	v_not_b32_e32 v20, v24
	s_delay_alu instid0(VALU_DEP_4) | instskip(NEXT) | instid1(VALU_DEP_2)
	v_sub_nc_u64_e32 v[16:17], v[16:17], v[8:9]
	v_add_nc_u64_e32 v[18:19], v[18:19], v[20:21]
	s_delay_alu instid0(VALU_DEP_2) | instskip(NEXT) | instid1(VALU_DEP_1)
	v_add_nc_u64_e32 v[16:17], v[16:17], v[24:25]
	v_max_i64 v[16:17], v[16:17], v[12:13]
	s_delay_alu instid0(VALU_DEP_1) | instskip(NEXT) | instid1(VALU_DEP_1)
	v_add_nc_u64_e32 v[24:25], v[18:19], v[16:17]
	v_dual_mov_b32 v19, 0 :: v_dual_bitop2_b32 v18, 48, v24 bitop3:0x40
	s_delay_alu instid0(VALU_DEP_1) | instskip(SKIP_2) | instid1(VALU_DEP_4)
	v_dual_mov_b32 v21, v19 :: v_dual_mov_b32 v20, v19
	v_dual_mov_b32 v17, v19 :: v_dual_mov_b32 v16, v19
	v_mov_b32_e32 v22, v19
	v_cmp_ne_u64_e32 vcc_lo, 48, v[18:19]
	v_dual_mov_b32 v18, v19 :: v_dual_mov_b32 v23, v19
	s_and_saveexec_b32 s3, vcc_lo
	s_cbranch_execz .LBB52_29
; %bb.26:
	v_dual_lshrrev_b32 v1, 4, v24 :: v_dual_mov_b32 v19, 0
	v_lshl_add_u64 v[26:27], v[10:11], 3, s[8:9]
	s_mov_b32 s7, 0
	s_delay_alu instid0(VALU_DEP_2) | instskip(SKIP_1) | instid1(VALU_DEP_2)
	v_dual_mov_b32 v20, v19 :: v_dual_add_nc_u32 v1, 1, v1
	v_dual_mov_b32 v16, v19 :: v_dual_mov_b32 v17, v19
	v_dual_mov_b32 v22, v19 :: v_dual_bitop2_b32 v18, 3, v1 bitop3:0x40
	v_dual_mov_b32 v21, v19 :: v_dual_mov_b32 v23, v19
	s_delay_alu instid0(VALU_DEP_2)
	v_sub_nc_u64_e32 v[28:29], 0, v[18:19]
	v_mov_b32_e32 v18, v19
.LBB52_27:                              ; =>This Inner Loop Header: Depth=1
	global_load_b64 v[30:31], v[26:27], off
	v_add_nc_u64_e32 v[28:29], 1, v[28:29]
	v_add_nc_u64_e32 v[10:11], 16, v[10:11]
	s_wait_xcnt 0x0
	v_add_nc_u64_e32 v[26:27], 0x80, v[26:27]
	s_delay_alu instid0(VALU_DEP_3)
	v_cmp_eq_u64_e32 vcc_lo, 0, v[28:29]
	s_or_b32 s7, vcc_lo, s7
	s_wait_loadcnt 0x0
	v_sub_nc_u64_e32 v[34:35], v[30:31], v[8:9]
	global_load_b128 v[30:33], v[14:15], off
	v_lshlrev_b64_e32 v[46:47], 5, v[34:35]
	s_clause 0x2
	global_load_b128 v[34:37], v[14:15], off offset:32
	global_load_b128 v[38:41], v[14:15], off offset:96
	;; [unrolled: 1-line block ×3, first 2 shown]
	v_add_nc_u64_e32 v[70:71], s[4:5], v[46:47]
	s_clause 0x1
	global_load_b128 v[46:49], v[14:15], off offset:16
	global_load_b128 v[50:53], v[14:15], off offset:48
	s_clause 0x1
	global_load_b128 v[54:57], v[70:71], off
	global_load_b128 v[58:61], v[70:71], off offset:16
	s_clause 0x1
	global_load_b128 v[62:65], v[14:15], off offset:80
	global_load_b128 v[66:69], v[14:15], off offset:112
	s_wait_xcnt 0x0
	v_add_nc_u64_e32 v[14:15], 0x800, v[14:15]
	s_wait_loadcnt 0x9
	v_xor_b32_e32 v70, 0x80000000, v33
	s_wait_loadcnt 0x8
	v_dual_mov_b32 v71, v32 :: v_dual_mov_b32 v73, v36
	v_xor_b32_e32 v72, 0x80000000, v37
	s_wait_loadcnt 0x6
	v_xor_b32_e32 v74, 0x80000000, v45
	v_dual_mov_b32 v75, v44 :: v_dual_mov_b32 v77, v40
	v_xor_b32_e32 v76, 0x80000000, v41
	s_wait_loadcnt 0x5
	v_xor_b32_e32 v78, 0x80000000, v49
	s_wait_loadcnt 0x4
	v_dual_mov_b32 v79, v48 :: v_dual_mov_b32 v81, v52
	s_wait_loadcnt 0x3
	v_pk_fma_f32 v[22:23], v[30:31], v[54:55], v[22:23] op_sel_hi:[1,0,1]
	v_pk_fma_f32 v[18:19], v[32:33], v[54:55], v[18:19] op_sel_hi:[1,0,1]
	v_pk_fma_f32 v[20:21], v[46:47], v[54:55], v[20:21] op_sel_hi:[1,0,1]
	v_pk_fma_f32 v[16:17], v[48:49], v[54:55], v[16:17] op_sel_hi:[1,0,1]
	v_xor_b32_e32 v80, 0x80000000, v53
	v_pk_fma_f32 v[22:23], v[30:31], v[54:55], v[22:23] op_sel:[1,1,0] op_sel_hi:[0,1,1] neg_lo:[1,0,0]
	v_pk_fma_f32 v[18:19], v[70:71], v[54:55], v[18:19] op_sel:[0,1,0]
	v_pk_fma_f32 v[20:21], v[46:47], v[54:55], v[20:21] op_sel:[1,1,0] op_sel_hi:[0,1,1] neg_lo:[1,0,0]
	v_pk_fma_f32 v[16:17], v[78:79], v[54:55], v[16:17] op_sel:[0,1,0]
	s_wait_loadcnt 0x1
	v_dual_mov_b32 v30, v57 :: v_dual_mov_b32 v33, v64
	v_pk_fma_f32 v[22:23], v[34:35], v[56:57], v[22:23] op_sel_hi:[1,0,1]
	v_pk_fma_f32 v[18:19], v[36:37], v[56:57], v[18:19] op_sel_hi:[1,0,1]
	;; [unrolled: 1-line block ×4, first 2 shown]
	v_xor_b32_e32 v32, 0x80000000, v65
	v_pk_fma_f32 v[22:23], v[34:35], v[30:31], v[22:23] op_sel:[1,0,0] op_sel_hi:[0,0,1] neg_lo:[1,0,0]
	v_pk_fma_f32 v[18:19], v[72:73], v[30:31], v[18:19] op_sel_hi:[1,0,1]
	v_pk_fma_f32 v[20:21], v[50:51], v[30:31], v[20:21] op_sel:[1,0,0] op_sel_hi:[0,0,1] neg_lo:[1,0,0]
	v_pk_fma_f32 v[16:17], v[80:81], v[30:31], v[16:17] op_sel_hi:[1,0,1]
	s_wait_loadcnt 0x0
	v_xor_b32_e32 v30, 0x80000000, v69
	v_pk_fma_f32 v[22:23], v[42:43], v[58:59], v[22:23] op_sel_hi:[1,0,1]
	v_pk_fma_f32 v[18:19], v[44:45], v[58:59], v[18:19] op_sel_hi:[1,0,1]
	;; [unrolled: 1-line block ×4, first 2 shown]
	v_mov_b32_e32 v31, v68
	v_pk_fma_f32 v[22:23], v[42:43], v[58:59], v[22:23] op_sel:[1,1,0] op_sel_hi:[0,1,1] neg_lo:[1,0,0]
	v_pk_fma_f32 v[18:19], v[74:75], v[58:59], v[18:19] op_sel:[0,1,0]
	v_pk_fma_f32 v[20:21], v[62:63], v[58:59], v[20:21] op_sel:[1,1,0] op_sel_hi:[0,1,1] neg_lo:[1,0,0]
	v_pk_fma_f32 v[16:17], v[32:33], v[58:59], v[16:17] op_sel:[0,1,0]
	v_mov_b32_e32 v32, v61
	v_pk_fma_f32 v[22:23], v[38:39], v[60:61], v[22:23] op_sel_hi:[1,0,1]
	v_pk_fma_f32 v[18:19], v[40:41], v[60:61], v[18:19] op_sel_hi:[1,0,1]
	;; [unrolled: 1-line block ×4, first 2 shown]
	s_delay_alu instid0(VALU_DEP_4) | instskip(NEXT) | instid1(VALU_DEP_4)
	v_pk_fma_f32 v[22:23], v[38:39], v[32:33], v[22:23] op_sel:[1,0,0] op_sel_hi:[0,0,1] neg_lo:[1,0,0]
	v_pk_fma_f32 v[18:19], v[76:77], v[32:33], v[18:19] op_sel_hi:[1,0,1]
	s_delay_alu instid0(VALU_DEP_4) | instskip(NEXT) | instid1(VALU_DEP_4)
	v_pk_fma_f32 v[20:21], v[66:67], v[32:33], v[20:21] op_sel:[1,0,0] op_sel_hi:[0,0,1] neg_lo:[1,0,0]
	v_pk_fma_f32 v[16:17], v[30:31], v[32:33], v[16:17] op_sel_hi:[1,0,1]
	s_and_not1_b32 exec_lo, exec_lo, s7
	s_cbranch_execnz .LBB52_27
; %bb.28:
	s_or_b32 exec_lo, exec_lo, s7
.LBB52_29:
	s_delay_alu instid0(SALU_CYCLE_1) | instskip(NEXT) | instid1(SALU_CYCLE_1)
	s_or_b32 exec_lo, exec_lo, s3
	s_mov_b32 s3, exec_lo
	v_cmpx_lt_u64_e32 47, v[24:25]
	s_cbranch_execz .LBB52_33
; %bb.30:
	v_lshl_add_u64 v[24:25], v[10:11], 3, s[8:9]
	s_mov_b32 s7, 0
	s_delay_alu instid0(VALU_DEP_1)
	v_add_nc_u64_e32 v[24:25], 0x100, v[24:25]
.LBB52_31:                              ; =>This Inner Loop Header: Depth=1
	global_load_b64 v[114:115], v[24:25], off offset:-256
	s_clause 0xd
	global_load_b128 v[26:29], v[14:15], off
	global_load_b128 v[30:33], v[14:15], off offset:16
	global_load_b128 v[34:37], v[14:15], off offset:48
	;; [unrolled: 1-line block ×13, first 2 shown]
	s_clause 0x2
	global_load_b64 v[122:123], v[24:25], off offset:-128
	global_load_b64 v[124:125], v[24:25], off
	global_load_b64 v[126:127], v[24:25], off offset:128
	s_clause 0x7
	global_load_b128 v[82:85], v[14:15], off offset:2128
	global_load_b128 v[86:89], v[14:15], off offset:2112
	;; [unrolled: 1-line block ×8, first 2 shown]
	v_add_nc_u64_e32 v[10:11], 64, v[10:11]
	s_wait_xcnt 0x8
	v_add_nc_u64_e32 v[24:25], 0x200, v[24:25]
	s_delay_alu instid0(VALU_DEP_2)
	v_cmp_ge_i64_e32 vcc_lo, v[10:11], v[12:13]
	s_or_b32 s7, vcc_lo, s7
	s_wait_loadcnt 0x19
	v_sub_nc_u64_e32 v[114:115], v[114:115], v[8:9]
	s_wait_loadcnt 0x18
	v_xor_b32_e32 v128, 0x80000000, v29
	v_mov_b32_e32 v129, v28
	s_delay_alu instid0(VALU_DEP_3) | instskip(NEXT) | instid1(VALU_DEP_1)
	v_lshlrev_b64_e32 v[114:115], 5, v[114:115]
	v_add_nc_u64_e32 v[130:131], s[4:5], v[114:115]
	s_wait_loadcnt 0xa
	v_sub_nc_u64_e32 v[122:123], v[122:123], v[8:9]
	s_wait_loadcnt 0x9
	v_sub_nc_u64_e32 v[124:125], v[124:125], v[8:9]
	;; [unrolled: 2-line block ×3, first 2 shown]
	s_clause 0x1
	global_load_b128 v[114:117], v[130:131], off
	global_load_b128 v[118:121], v[130:131], off offset:16
	v_lshlrev_b64_e32 v[122:123], 5, v[122:123]
	v_lshlrev_b64_e32 v[124:125], 5, v[124:125]
	s_delay_alu instid0(VALU_DEP_2) | instskip(NEXT) | instid1(VALU_DEP_2)
	v_add_nc_u64_e32 v[122:123], s[4:5], v[122:123]
	v_add_nc_u64_e32 v[124:125], s[4:5], v[124:125]
	s_wait_loadcnt 0x1
	v_pk_fma_f32 v[22:23], v[26:27], v[114:115], v[22:23] op_sel_hi:[1,0,1]
	s_wait_xcnt 0x0
	v_pk_fma_f32 v[130:131], v[28:29], v[114:115], v[18:19] op_sel_hi:[1,0,1]
	v_pk_fma_f32 v[18:19], v[30:31], v[114:115], v[20:21] op_sel_hi:[1,0,1]
	;; [unrolled: 1-line block ×3, first 2 shown]
	v_pk_fma_f32 v[132:133], v[26:27], v[114:115], v[22:23] op_sel:[1,1,0] op_sel_hi:[0,1,1] neg_lo:[1,0,0]
	v_xor_b32_e32 v22, 0x80000000, v33
	v_mov_b32_e32 v23, v32
	v_pk_fma_f32 v[30:31], v[30:31], v[114:115], v[18:19] op_sel:[1,1,0] op_sel_hi:[0,1,1] neg_lo:[1,0,0]
	v_pk_fma_f32 v[32:33], v[128:129], v[114:115], v[130:131] op_sel:[0,1,0]
	v_pk_fma_f32 v[128:129], v[38:39], v[116:117], v[132:133] op_sel_hi:[1,0,1]
	v_xor_b32_e32 v132, 0x80000000, v41
	v_pk_fma_f32 v[114:115], v[22:23], v[114:115], v[20:21] op_sel:[0,1,0]
	v_pk_fma_f32 v[30:31], v[34:35], v[116:117], v[30:31] op_sel_hi:[1,0,1]
	v_pk_fma_f32 v[130:131], v[40:41], v[116:117], v[32:33] op_sel_hi:[1,0,1]
	v_mov_b32_e32 v133, v40
	v_xor_b32_e32 v40, 0x80000000, v37
	v_pk_fma_f32 v[114:115], v[36:37], v[116:117], v[114:115] op_sel_hi:[1,0,1]
	v_dual_mov_b32 v116, v117 :: v_dual_mov_b32 v41, v36
	s_clause 0x2
	global_load_b128 v[26:29], v[14:15], off offset:4176
	global_load_b128 v[16:19], v[14:15], off offset:4160
	;; [unrolled: 1-line block ×3, first 2 shown]
	v_pk_fma_f32 v[38:39], v[38:39], v[116:117], v[128:129] op_sel:[1,0,0] op_sel_hi:[0,0,1] neg_lo:[1,0,0]
	v_pk_fma_f32 v[130:131], v[132:133], v[116:117], v[130:131] op_sel_hi:[1,0,1]
	v_pk_fma_f32 v[128:129], v[34:35], v[116:117], v[30:31] op_sel:[1,0,0] op_sel_hi:[0,0,1] neg_lo:[1,0,0]
	v_pk_fma_f32 v[114:115], v[40:41], v[116:117], v[114:115] op_sel_hi:[1,0,1]
	v_xor_b32_e32 v116, 0x80000000, v57
	v_mov_b32_e32 v117, v56
	s_wait_loadcnt 0x3
	v_pk_fma_f32 v[38:39], v[54:55], v[118:119], v[38:39] op_sel_hi:[1,0,1]
	v_pk_fma_f32 v[56:57], v[56:57], v[118:119], v[130:131] op_sel_hi:[1,0,1]
	v_xor_b32_e32 v130, 0x80000000, v53
	v_mov_b32_e32 v131, v52
	v_pk_fma_f32 v[114:115], v[52:53], v[118:119], v[114:115] op_sel_hi:[1,0,1]
	v_pk_fma_f32 v[54:55], v[54:55], v[118:119], v[38:39] op_sel:[1,1,0] op_sel_hi:[0,1,1] neg_lo:[1,0,0]
	v_pk_fma_f32 v[56:57], v[116:117], v[118:119], v[56:57] op_sel:[0,1,0]
	v_mov_b32_e32 v117, v48
	v_pk_fma_f32 v[128:129], v[50:51], v[118:119], v[128:129] op_sel_hi:[1,0,1]
	v_pk_fma_f32 v[114:115], v[130:131], v[118:119], v[114:115] op_sel:[0,1,0]
	v_pk_fma_f32 v[130:131], v[46:47], v[120:121], v[54:55] op_sel_hi:[1,0,1]
	v_pk_fma_f32 v[132:133], v[48:49], v[120:121], v[56:57] op_sel_hi:[1,0,1]
	global_load_b128 v[54:57], v[122:123], off
	v_pk_fma_f32 v[128:129], v[50:51], v[118:119], v[128:129] op_sel:[1,1,0] op_sel_hi:[0,1,1] neg_lo:[1,0,0]
	v_mov_b32_e32 v118, v121
	v_xor_b32_e32 v116, 0x80000000, v49
	v_pk_fma_f32 v[114:115], v[44:45], v[120:121], v[114:115] op_sel_hi:[1,0,1]
	global_load_b128 v[34:37], v[14:15], off offset:6144
	v_pk_fma_f32 v[128:129], v[42:43], v[120:121], v[128:129] op_sel_hi:[1,0,1]
	v_pk_fma_f32 v[120:121], v[46:47], v[118:119], v[130:131] op_sel:[1,0,0] op_sel_hi:[0,0,1] neg_lo:[1,0,0]
	global_load_b128 v[46:49], v[122:123], off offset:16
	s_wait_xcnt 0x0
	v_xor_b32_e32 v122, 0x80000000, v45
	v_mov_b32_e32 v123, v44
	v_pk_fma_f32 v[128:129], v[42:43], v[118:119], v[128:129] op_sel:[1,0,0] op_sel_hi:[0,0,1] neg_lo:[1,0,0]
	v_pk_fma_f32 v[130:131], v[116:117], v[118:119], v[132:133] op_sel_hi:[1,0,1]
	v_mov_b32_e32 v133, v72
	global_load_b128 v[42:45], v[14:15], off offset:6160
	v_pk_fma_f32 v[118:119], v[122:123], v[118:119], v[114:115] op_sel_hi:[1,0,1]
	global_load_b128 v[114:117], v[124:125], off
	v_xor_b32_e32 v132, 0x80000000, v73
	s_clause 0x2
	global_load_b128 v[30:33], v[14:15], off offset:6176
	global_load_b128 v[50:53], v[14:15], off offset:6208
	;; [unrolled: 1-line block ×3, first 2 shown]
	s_wait_loadcnt 0x7
	v_pk_fma_f32 v[120:121], v[70:71], v[54:55], v[120:121] op_sel_hi:[1,0,1]
	v_pk_fma_f32 v[118:119], v[68:69], v[54:55], v[118:119] op_sel_hi:[1,0,1]
	;; [unrolled: 1-line block ×3, first 2 shown]
	v_xor_b32_e32 v130, 0x80000000, v65
	v_mov_b32_e32 v131, v64
	v_pk_fma_f32 v[122:123], v[70:71], v[54:55], v[120:121] op_sel:[1,1,0] op_sel_hi:[0,1,1] neg_lo:[1,0,0]
	v_lshlrev_b64_e32 v[70:71], 5, v[126:127]
	v_pk_fma_f32 v[126:127], v[66:67], v[54:55], v[128:129] op_sel_hi:[1,0,1]
	v_xor_b32_e32 v120, 0x80000000, v69
	v_mov_b32_e32 v121, v68
	v_pk_fma_f32 v[128:129], v[132:133], v[54:55], v[72:73] op_sel:[0,1,0]
	v_pk_fma_f32 v[122:123], v[62:63], v[56:57], v[122:123] op_sel_hi:[1,0,1]
	v_pk_fma_f32 v[126:127], v[66:67], v[54:55], v[126:127] op_sel:[1,1,0] op_sel_hi:[0,1,1] neg_lo:[1,0,0]
	global_load_b128 v[66:69], v[124:125], off offset:16
	s_wait_xcnt 0x0
	v_add_nc_u64_e32 v[124:125], s[4:5], v[70:71]
	v_pk_fma_f32 v[54:55], v[120:121], v[54:55], v[118:119] op_sel:[0,1,0]
	v_pk_fma_f32 v[64:65], v[64:65], v[56:57], v[128:129] op_sel_hi:[1,0,1]
	v_mov_b32_e32 v128, v57
	s_clause 0x1
	global_load_b128 v[70:73], v[124:125], off offset:16
	global_load_b128 v[118:121], v[124:125], off
	s_wait_xcnt 0x0
	v_pk_fma_f32 v[124:125], v[58:59], v[56:57], v[126:127] op_sel_hi:[1,0,1]
	v_pk_fma_f32 v[126:127], v[60:61], v[56:57], v[54:55] op_sel_hi:[1,0,1]
	global_load_b128 v[54:57], v[14:15], off offset:6224
	v_pk_fma_f32 v[62:63], v[62:63], v[128:129], v[122:123] op_sel:[1,0,0] op_sel_hi:[0,0,1] neg_lo:[1,0,0]
	v_xor_b32_e32 v122, 0x80000000, v61
	v_mov_b32_e32 v123, v60
	v_pk_fma_f32 v[124:125], v[58:59], v[128:129], v[124:125] op_sel:[1,0,0] op_sel_hi:[0,0,1] neg_lo:[1,0,0]
	global_load_b128 v[58:61], v[14:15], off offset:6256
	v_pk_fma_f32 v[64:65], v[130:131], v[128:129], v[64:65] op_sel_hi:[1,0,1]
	v_mov_b32_e32 v131, v88
	v_pk_fma_f32 v[122:123], v[122:123], v[128:129], v[126:127] op_sel_hi:[1,0,1]
	v_xor_b32_e32 v130, 0x80000000, v89
	v_xor_b32_e32 v126, 0x80000000, v85
	v_dual_mov_b32 v127, v84 :: v_dual_mov_b32 v129, v80
	s_wait_loadcnt 0xa
	v_pk_fma_f32 v[62:63], v[86:87], v[46:47], v[62:63] op_sel_hi:[1,0,1]
	v_pk_fma_f32 v[64:65], v[88:89], v[46:47], v[64:65] op_sel_hi:[1,0,1]
	;; [unrolled: 1-line block ×4, first 2 shown]
	v_xor_b32_e32 v128, 0x80000000, v81
	v_pk_fma_f32 v[62:63], v[86:87], v[46:47], v[62:63] op_sel:[1,1,0] op_sel_hi:[0,1,1] neg_lo:[1,0,0]
	v_pk_fma_f32 v[64:65], v[130:131], v[46:47], v[64:65] op_sel:[0,1,0]
	v_pk_fma_f32 v[82:83], v[82:83], v[46:47], v[124:125] op_sel:[1,1,0] op_sel_hi:[0,1,1] neg_lo:[1,0,0]
	v_pk_fma_f32 v[46:47], v[126:127], v[46:47], v[84:85] op_sel:[0,1,0]
	v_xor_b32_e32 v86, 0x80000000, v77
	v_dual_mov_b32 v87, v76 :: v_dual_mov_b32 v89, v104
	v_mov_b32_e32 v85, v92
	v_pk_fma_f32 v[62:63], v[78:79], v[48:49], v[62:63] op_sel_hi:[1,0,1]
	v_pk_fma_f32 v[64:65], v[80:81], v[48:49], v[64:65] op_sel_hi:[1,0,1]
	;; [unrolled: 1-line block ×4, first 2 shown]
	v_mov_b32_e32 v48, v49
	v_xor_b32_e32 v88, 0x80000000, v105
	v_xor_b32_e32 v122, 0x80000000, v101
	v_dual_mov_b32 v123, v100 :: v_dual_mov_b32 v125, v96
	s_delay_alu instid0(VALU_DEP_4)
	v_pk_fma_f32 v[62:63], v[78:79], v[48:49], v[62:63] op_sel:[1,0,0] op_sel_hi:[0,0,1] neg_lo:[1,0,0]
	v_pk_fma_f32 v[74:75], v[74:75], v[48:49], v[80:81] op_sel:[1,0,0] op_sel_hi:[0,0,1] neg_lo:[1,0,0]
	v_pk_fma_f32 v[64:65], v[128:129], v[48:49], v[64:65] op_sel_hi:[1,0,1]
	v_pk_fma_f32 v[46:47], v[86:87], v[48:49], v[46:47] op_sel_hi:[1,0,1]
	v_xor_b32_e32 v124, 0x80000000, v97
	s_wait_loadcnt 0x8
	v_pk_fma_f32 v[48:49], v[102:103], v[114:115], v[62:63] op_sel_hi:[1,0,1]
	v_xor_b32_e32 v84, 0x80000000, v93
	v_pk_fma_f32 v[62:63], v[104:105], v[114:115], v[64:65] op_sel_hi:[1,0,1]
	v_pk_fma_f32 v[64:65], v[98:99], v[114:115], v[74:75] op_sel_hi:[1,0,1]
	;; [unrolled: 1-line block ×3, first 2 shown]
	v_pk_fma_f32 v[48:49], v[102:103], v[114:115], v[48:49] op_sel:[1,1,0] op_sel_hi:[0,1,1] neg_lo:[1,0,0]
	v_dual_mov_b32 v77, v28 :: v_dual_mov_b32 v86, v117
	v_pk_fma_f32 v[62:63], v[88:89], v[114:115], v[62:63] op_sel:[0,1,0]
	v_pk_fma_f32 v[64:65], v[98:99], v[114:115], v[64:65] op_sel:[1,1,0] op_sel_hi:[0,1,1] neg_lo:[1,0,0]
	v_pk_fma_f32 v[46:47], v[122:123], v[114:115], v[46:47] op_sel:[0,1,0]
	v_pk_fma_f32 v[48:49], v[94:95], v[116:117], v[48:49] op_sel_hi:[1,0,1]
	v_xor_b32_e32 v130, 0x80000000, v19
	v_pk_fma_f32 v[62:63], v[96:97], v[116:117], v[62:63] op_sel_hi:[1,0,1]
	v_pk_fma_f32 v[64:65], v[90:91], v[116:117], v[64:65] op_sel_hi:[1,0,1]
	v_pk_fma_f32 v[46:47], v[92:93], v[116:117], v[46:47] op_sel_hi:[1,0,1]
	v_pk_fma_f32 v[48:49], v[94:95], v[86:87], v[48:49] op_sel:[1,0,0] op_sel_hi:[0,0,1] neg_lo:[1,0,0]
	v_xor_b32_e32 v76, 0x80000000, v29
	v_pk_fma_f32 v[62:63], v[124:125], v[86:87], v[62:63] op_sel_hi:[1,0,1]
	v_pk_fma_f32 v[64:65], v[90:91], v[86:87], v[64:65] op_sel:[1,0,0] op_sel_hi:[0,0,1] neg_lo:[1,0,0]
	v_pk_fma_f32 v[46:47], v[84:85], v[86:87], v[46:47] op_sel_hi:[1,0,1]
	v_dual_mov_b32 v131, v18 :: v_dual_mov_b32 v79, v112
	v_xor_b32_e32 v78, 0x80000000, v113
	v_xor_b32_e32 v74, 0x80000000, v109
	v_dual_mov_b32 v75, v108 :: v_dual_mov_b32 v85, v44
	v_xor_b32_e32 v82, 0x80000000, v37
	s_wait_loadcnt 0x7
	v_dual_mov_b32 v83, v36 :: v_dual_mov_b32 v81, v32
	v_xor_b32_e32 v84, 0x80000000, v45
	v_xor_b32_e32 v80, 0x80000000, v33
	s_wait_loadcnt 0x6
	v_xor_b32_e32 v126, 0x80000000, v53
	s_wait_loadcnt 0x5
	v_dual_mov_b32 v127, v52 :: v_dual_mov_b32 v129, v40
	v_xor_b32_e32 v128, 0x80000000, v41
	s_wait_xcnt 0x0
	v_add_nc_u64_e32 v[14:15], 0x2000, v[14:15]
	s_wait_loadcnt 0x4
	v_pk_fma_f32 v[48:49], v[16:17], v[66:67], v[48:49] op_sel_hi:[1,0,1]
	v_pk_fma_f32 v[18:19], v[18:19], v[66:67], v[62:63] op_sel_hi:[1,0,1]
	v_pk_fma_f32 v[62:63], v[26:27], v[66:67], v[64:65] op_sel_hi:[1,0,1]
	v_pk_fma_f32 v[28:29], v[28:29], v[66:67], v[46:47] op_sel_hi:[1,0,1]
	v_mov_b32_e32 v46, v69
	v_pk_fma_f32 v[16:17], v[16:17], v[66:67], v[48:49] op_sel:[1,1,0] op_sel_hi:[0,1,1] neg_lo:[1,0,0]
	v_pk_fma_f32 v[18:19], v[130:131], v[66:67], v[18:19] op_sel:[0,1,0]
	v_pk_fma_f32 v[26:27], v[26:27], v[66:67], v[62:63] op_sel:[1,1,0] op_sel_hi:[0,1,1] neg_lo:[1,0,0]
	v_pk_fma_f32 v[28:29], v[76:77], v[66:67], v[28:29] op_sel:[0,1,0]
	v_mov_b32_e32 v49, v22
	v_pk_fma_f32 v[16:17], v[110:111], v[68:69], v[16:17] op_sel_hi:[1,0,1]
	v_pk_fma_f32 v[18:19], v[112:113], v[68:69], v[18:19] op_sel_hi:[1,0,1]
	;; [unrolled: 1-line block ×4, first 2 shown]
	v_xor_b32_e32 v48, 0x80000000, v23
	v_pk_fma_f32 v[16:17], v[110:111], v[46:47], v[16:17] op_sel:[1,0,0] op_sel_hi:[0,0,1] neg_lo:[1,0,0]
	v_pk_fma_f32 v[18:19], v[78:79], v[46:47], v[18:19] op_sel_hi:[1,0,1]
	v_pk_fma_f32 v[26:27], v[106:107], v[46:47], v[26:27] op_sel:[1,0,0] op_sel_hi:[0,0,1] neg_lo:[1,0,0]
	v_pk_fma_f32 v[28:29], v[74:75], v[46:47], v[28:29] op_sel_hi:[1,0,1]
	s_wait_loadcnt 0x2
	v_pk_fma_f32 v[16:17], v[34:35], v[118:119], v[16:17] op_sel_hi:[1,0,1]
	v_pk_fma_f32 v[18:19], v[36:37], v[118:119], v[18:19] op_sel_hi:[1,0,1]
	;; [unrolled: 1-line block ×4, first 2 shown]
	s_wait_loadcnt 0x1
	v_mov_b32_e32 v37, v56
	v_pk_fma_f32 v[16:17], v[34:35], v[118:119], v[16:17] op_sel:[1,1,0] op_sel_hi:[0,1,1] neg_lo:[1,0,0]
	v_pk_fma_f32 v[18:19], v[82:83], v[118:119], v[18:19] op_sel:[0,1,0]
	v_pk_fma_f32 v[26:27], v[42:43], v[118:119], v[26:27] op_sel:[1,1,0] op_sel_hi:[0,1,1] neg_lo:[1,0,0]
	v_pk_fma_f32 v[28:29], v[84:85], v[118:119], v[28:29] op_sel:[0,1,0]
	v_mov_b32_e32 v34, v121
	v_pk_fma_f32 v[16:17], v[30:31], v[120:121], v[16:17] op_sel_hi:[1,0,1]
	v_pk_fma_f32 v[18:19], v[32:33], v[120:121], v[18:19] op_sel_hi:[1,0,1]
	;; [unrolled: 1-line block ×4, first 2 shown]
	v_xor_b32_e32 v36, 0x80000000, v57
	v_pk_fma_f32 v[16:17], v[30:31], v[34:35], v[16:17] op_sel:[1,0,0] op_sel_hi:[0,0,1] neg_lo:[1,0,0]
	v_pk_fma_f32 v[18:19], v[80:81], v[34:35], v[18:19] op_sel_hi:[1,0,1]
	v_pk_fma_f32 v[20:21], v[20:21], v[34:35], v[26:27] op_sel:[1,0,0] op_sel_hi:[0,0,1] neg_lo:[1,0,0]
	v_pk_fma_f32 v[22:23], v[48:49], v[34:35], v[22:23] op_sel_hi:[1,0,1]
	s_wait_loadcnt 0x0
	v_xor_b32_e32 v26, 0x80000000, v61
	v_pk_fma_f32 v[16:17], v[50:51], v[70:71], v[16:17] op_sel_hi:[1,0,1]
	v_pk_fma_f32 v[18:19], v[52:53], v[70:71], v[18:19] op_sel_hi:[1,0,1]
	;; [unrolled: 1-line block ×4, first 2 shown]
	v_dual_mov_b32 v27, v60 :: v_dual_mov_b32 v28, v73
	v_pk_fma_f32 v[16:17], v[50:51], v[70:71], v[16:17] op_sel:[1,1,0] op_sel_hi:[0,1,1] neg_lo:[1,0,0]
	v_pk_fma_f32 v[18:19], v[126:127], v[70:71], v[18:19] op_sel:[0,1,0]
	v_pk_fma_f32 v[20:21], v[54:55], v[70:71], v[20:21] op_sel:[1,1,0] op_sel_hi:[0,1,1] neg_lo:[1,0,0]
	v_pk_fma_f32 v[22:23], v[36:37], v[70:71], v[22:23] op_sel:[0,1,0]
	s_delay_alu instid0(VALU_DEP_4) | instskip(NEXT) | instid1(VALU_DEP_4)
	v_pk_fma_f32 v[16:17], v[38:39], v[72:73], v[16:17] op_sel_hi:[1,0,1]
	v_pk_fma_f32 v[18:19], v[40:41], v[72:73], v[18:19] op_sel_hi:[1,0,1]
	s_delay_alu instid0(VALU_DEP_4) | instskip(NEXT) | instid1(VALU_DEP_4)
	v_pk_fma_f32 v[20:21], v[58:59], v[72:73], v[20:21] op_sel_hi:[1,0,1]
	v_pk_fma_f32 v[30:31], v[60:61], v[72:73], v[22:23] op_sel_hi:[1,0,1]
	s_delay_alu instid0(VALU_DEP_4) | instskip(NEXT) | instid1(VALU_DEP_4)
	v_pk_fma_f32 v[22:23], v[38:39], v[28:29], v[16:17] op_sel:[1,0,0] op_sel_hi:[0,0,1] neg_lo:[1,0,0]
	v_pk_fma_f32 v[18:19], v[128:129], v[28:29], v[18:19] op_sel_hi:[1,0,1]
	s_delay_alu instid0(VALU_DEP_4) | instskip(NEXT) | instid1(VALU_DEP_4)
	v_pk_fma_f32 v[20:21], v[58:59], v[28:29], v[20:21] op_sel:[1,0,0] op_sel_hi:[0,0,1] neg_lo:[1,0,0]
	v_pk_fma_f32 v[16:17], v[26:27], v[28:29], v[30:31] op_sel_hi:[1,0,1]
	s_and_not1_b32 exec_lo, exec_lo, s7
	s_cbranch_execnz .LBB52_31
; %bb.32:
	s_or_b32 exec_lo, exec_lo, s7
.LBB52_33:
	s_delay_alu instid0(SALU_CYCLE_1)
	s_or_b32 exec_lo, exec_lo, s3
.LBB52_34:
	s_delay_alu instid0(SALU_CYCLE_1)
	s_or_b32 exec_lo, exec_lo, s6
.LBB52_35:
	v_mbcnt_lo_u32_b32 v1, -1, 0
	s_delay_alu instid0(VALU_DEP_1) | instskip(SKIP_1) | instid1(VALU_DEP_1)
	v_xor_b32_e32 v24, 4, v1
	v_xor_b32_e32 v8, 8, v1
	v_cmp_gt_i32_e32 vcc_lo, 32, v8
	v_cndmask_b32_e32 v8, v1, v8, vcc_lo
	s_delay_alu instid0(VALU_DEP_1)
	v_lshlrev_b32_e32 v8, 2, v8
	ds_bpermute_b32 v10, v8, v23
	s_wait_dscnt 0x0
	v_add_f32_e32 v10, v23, v10
	ds_bpermute_b32 v11, v8, v18
	ds_bpermute_b32 v9, v8, v22
	ds_bpermute_b32 v13, v8, v20
	ds_bpermute_b32 v15, v8, v16
	ds_bpermute_b32 v12, v8, v19
	ds_bpermute_b32 v14, v8, v21
	ds_bpermute_b32 v8, v8, v17
	s_wait_dscnt 0x6
	v_add_f32_e32 v11, v18, v11
	v_cmp_gt_i32_e32 vcc_lo, 32, v24
	s_wait_dscnt 0x3
	v_dual_add_f32 v9, v22, v9 :: v_dual_add_f32 v15, v16, v15
	s_wait_dscnt 0x1
	v_dual_add_f32 v12, v19, v12 :: v_dual_add_f32 v14, v21, v14
	v_cndmask_b32_e32 v24, v1, v24, vcc_lo
	s_wait_dscnt 0x0
	v_dual_add_f32 v8, v17, v8 :: v_dual_add_f32 v13, v20, v13
	s_delay_alu instid0(VALU_DEP_2)
	v_lshlrev_b32_e32 v24, 2, v24
	ds_bpermute_b32 v16, v24, v9
	ds_bpermute_b32 v17, v24, v10
	;; [unrolled: 1-line block ×8, first 2 shown]
	s_wait_dscnt 0x7
	v_dual_add_f32 v9, v9, v16 :: v_dual_bitop2_b32 v24, 2, v1 bitop3:0x14
	s_delay_alu instid0(VALU_DEP_1)
	v_cmp_gt_i32_e32 vcc_lo, 32, v24
	s_wait_dscnt 0x4
	v_dual_add_f32 v10, v10, v17 :: v_dual_add_f32 v12, v12, v19
	s_wait_dscnt 0x2
	v_dual_add_f32 v13, v13, v20 :: v_dual_add_f32 v14, v14, v21
	s_wait_dscnt 0x1
	v_dual_add_f32 v15, v15, v22 :: v_dual_cndmask_b32 v24, v1, v24
	s_wait_dscnt 0x0
	v_dual_add_f32 v11, v11, v18 :: v_dual_add_f32 v16, v8, v23
	s_delay_alu instid0(VALU_DEP_2)
	v_lshlrev_b32_e32 v24, 2, v24
	ds_bpermute_b32 v8, v24, v9
	ds_bpermute_b32 v17, v24, v10
	;; [unrolled: 1-line block ×8, first 2 shown]
	v_xor_b32_e32 v24, 1, v1
	s_delay_alu instid0(VALU_DEP_1)
	v_cmp_gt_i32_e32 vcc_lo, 32, v24
	v_cndmask_b32_e32 v1, v1, v24, vcc_lo
	v_cmp_eq_u32_e32 vcc_lo, 15, v0
	s_wait_dscnt 0x6
	v_dual_add_f32 v8, v9, v8 :: v_dual_add_f32 v9, v10, v17
	s_wait_dscnt 0x5
	v_dual_add_f32 v10, v11, v18 :: v_dual_lshlrev_b32 v24, 2, v1
	s_wait_dscnt 0x3
	v_dual_add_f32 v11, v12, v19 :: v_dual_add_f32 v12, v13, v20
	s_wait_dscnt 0x1
	v_dual_add_f32 v13, v14, v21 :: v_dual_add_f32 v15, v15, v22
	s_wait_dscnt 0x0
	v_add_f32_e32 v1, v16, v23
	ds_bpermute_b32 v14, v24, v8
	ds_bpermute_b32 v17, v24, v9
	;; [unrolled: 1-line block ×8, first 2 shown]
	s_and_b32 exec_lo, exec_lo, vcc_lo
	s_cbranch_execz .LBB52_6
; %bb.36:
	s_load_b64 s[0:1], s[0:1], 0x58
	s_wait_dscnt 0x6
	v_dual_add_f32 v0, v8, v14 :: v_dual_add_f32 v20, v9, v17
	s_wait_dscnt 0x4
	v_dual_add_f32 v8, v10, v18 :: v_dual_add_f32 v18, v11, v19
	s_wait_dscnt 0x2
	v_dual_add_f32 v10, v12, v21 :: v_dual_add_f32 v14, v13, v22
	s_wait_dscnt 0x1
	v_add_f32_e32 v12, v15, v23
	v_cmp_eq_f32_e32 vcc_lo, 0, v4
	v_lshlrev_b64_e32 v[22:23], 5, v[6:7]
	s_wait_dscnt 0x0
	v_add_f32_e32 v6, v1, v16
	v_xor_b32_e32 v16, 0x80000000, v3
	s_xor_b32 s2, s2, -1
	s_delay_alu instid0(SALU_CYCLE_1) | instskip(NEXT) | instid1(SALU_CYCLE_1)
	s_and_b32 s2, vcc_lo, s2
	s_and_saveexec_b32 s3, s2
	s_delay_alu instid0(SALU_CYCLE_1)
	s_xor_b32 s2, exec_lo, s3
	s_cbranch_execz .LBB52_38
; %bb.37:
	v_mov_b32_e32 v17, v2
	s_delay_alu instid0(VALU_DEP_1)
	v_pk_mul_f32 v[4:5], v[20:21], v[16:17] op_sel_hi:[0,1]
	v_pk_mul_f32 v[18:19], v[18:19], v[16:17] op_sel_hi:[0,1]
	;; [unrolled: 1-line block ×4, first 2 shown]
	s_wait_kmcnt 0x0
	v_add_nc_u64_e32 v[20:21], s[0:1], v[22:23]
	v_pk_fma_f32 v[4:5], v[2:3], v[0:1], v[4:5] op_sel_hi:[1,0,1]
	v_pk_fma_f32 v[6:7], v[2:3], v[8:9], v[18:19] op_sel_hi:[1,0,1]
	;; [unrolled: 1-line block ×4, first 2 shown]
                                        ; implicit-def: $vgpr8
                                        ; implicit-def: $vgpr18
                                        ; implicit-def: $vgpr10
                                        ; implicit-def: $vgpr14
                                        ; implicit-def: $vgpr12
                                        ; implicit-def: $vgpr16
                                        ; implicit-def: $vgpr22_vgpr23
	s_clause 0x1
	global_store_b128 v[20:21], v[4:7], off
	global_store_b128 v[20:21], v[0:3], off offset:16
                                        ; implicit-def: $vgpr0
                                        ; implicit-def: $vgpr20
                                        ; implicit-def: $vgpr6
                                        ; implicit-def: $vgpr2_vgpr3
                                        ; implicit-def: $vgpr4_vgpr5
.LBB52_38:
	s_wait_xcnt 0x0
	s_and_not1_saveexec_b32 s2, s2
	s_cbranch_execz .LBB52_6
; %bb.39:
	s_wait_kmcnt 0x0
	v_add_nc_u64_e32 v[30:31], s[0:1], v[22:23]
	v_dual_mov_b32 v17, v2 :: v_dual_mov_b32 v33, v4
	v_xor_b32_e32 v32, 0x80000000, v5
	s_clause 0x1
	global_load_b128 v[22:25], v[30:31], off
	global_load_b128 v[26:29], v[30:31], off offset:16
	v_pk_mul_f32 v[20:21], v[20:21], v[16:17] op_sel_hi:[0,1]
	v_pk_mul_f32 v[18:19], v[18:19], v[16:17] op_sel_hi:[0,1]
	;; [unrolled: 1-line block ×4, first 2 shown]
	s_delay_alu instid0(VALU_DEP_4) | instskip(NEXT) | instid1(VALU_DEP_4)
	v_pk_fma_f32 v[0:1], v[2:3], v[0:1], v[20:21] op_sel_hi:[1,0,1]
	v_pk_fma_f32 v[8:9], v[2:3], v[8:9], v[18:19] op_sel_hi:[1,0,1]
	s_delay_alu instid0(VALU_DEP_4) | instskip(NEXT) | instid1(VALU_DEP_4)
	v_pk_fma_f32 v[10:11], v[2:3], v[10:11], v[14:15] op_sel_hi:[1,0,1]
	v_pk_fma_f32 v[2:3], v[2:3], v[12:13], v[6:7] op_sel_hi:[1,0,1]
	s_wait_loadcnt 0x1
	v_pk_fma_f32 v[0:1], v[4:5], v[22:23], v[0:1] op_sel_hi:[1,0,1]
	v_pk_fma_f32 v[6:7], v[4:5], v[24:25], v[8:9] op_sel_hi:[1,0,1]
	s_wait_loadcnt 0x0
	v_dual_mov_b32 v8, v25 :: v_dual_mov_b32 v14, v29
	v_pk_fma_f32 v[10:11], v[4:5], v[26:27], v[10:11] op_sel_hi:[1,0,1]
	v_pk_fma_f32 v[12:13], v[4:5], v[28:29], v[2:3] op_sel_hi:[1,0,1]
	v_pk_fma_f32 v[0:1], v[32:33], v[22:23], v[0:1] op_sel:[0,1,0]
	s_delay_alu instid0(VALU_DEP_4) | instskip(NEXT) | instid1(VALU_DEP_4)
	v_pk_fma_f32 v[2:3], v[32:33], v[8:9], v[6:7] op_sel_hi:[1,0,1]
	v_pk_fma_f32 v[4:5], v[32:33], v[26:27], v[10:11] op_sel:[0,1,0]
	s_delay_alu instid0(VALU_DEP_4)
	v_pk_fma_f32 v[6:7], v[32:33], v[14:15], v[12:13] op_sel_hi:[1,0,1]
	s_clause 0x1
	global_store_b128 v[30:31], v[0:3], off
	global_store_b128 v[30:31], v[4:7], off offset:16
	s_sendmsg sendmsg(MSG_DEALLOC_VGPRS)
	s_endpgm
	.section	.rodata,"a",@progbits
	.p2align	6, 0x0
	.amdhsa_kernel _ZN9rocsparseL18bsrxmvn_4x4_kernelILj128ELj16E21rocsparse_complex_numIfEllS2_S2_S2_EEvT3_20rocsparse_direction_NS_24const_host_device_scalarIT1_EES3_PKS3_PKT2_SC_S9_PKT4_PKT5_S7_PT6_21rocsparse_index_base_b
		.amdhsa_group_segment_fixed_size 0
		.amdhsa_private_segment_fixed_size 0
		.amdhsa_kernarg_size 104
		.amdhsa_user_sgpr_count 2
		.amdhsa_user_sgpr_dispatch_ptr 0
		.amdhsa_user_sgpr_queue_ptr 0
		.amdhsa_user_sgpr_kernarg_segment_ptr 1
		.amdhsa_user_sgpr_dispatch_id 0
		.amdhsa_user_sgpr_kernarg_preload_length 0
		.amdhsa_user_sgpr_kernarg_preload_offset 0
		.amdhsa_user_sgpr_private_segment_size 0
		.amdhsa_wavefront_size32 1
		.amdhsa_uses_dynamic_stack 0
		.amdhsa_enable_private_segment 0
		.amdhsa_system_sgpr_workgroup_id_x 1
		.amdhsa_system_sgpr_workgroup_id_y 0
		.amdhsa_system_sgpr_workgroup_id_z 0
		.amdhsa_system_sgpr_workgroup_info 0
		.amdhsa_system_vgpr_workitem_id 0
		.amdhsa_next_free_vgpr 160
		.amdhsa_next_free_sgpr 14
		.amdhsa_named_barrier_count 0
		.amdhsa_reserve_vcc 1
		.amdhsa_float_round_mode_32 0
		.amdhsa_float_round_mode_16_64 0
		.amdhsa_float_denorm_mode_32 3
		.amdhsa_float_denorm_mode_16_64 3
		.amdhsa_fp16_overflow 0
		.amdhsa_memory_ordered 1
		.amdhsa_forward_progress 1
		.amdhsa_inst_pref_size 63
		.amdhsa_round_robin_scheduling 0
		.amdhsa_exception_fp_ieee_invalid_op 0
		.amdhsa_exception_fp_denorm_src 0
		.amdhsa_exception_fp_ieee_div_zero 0
		.amdhsa_exception_fp_ieee_overflow 0
		.amdhsa_exception_fp_ieee_underflow 0
		.amdhsa_exception_fp_ieee_inexact 0
		.amdhsa_exception_int_div_zero 0
	.end_amdhsa_kernel
	.section	.text._ZN9rocsparseL18bsrxmvn_4x4_kernelILj128ELj16E21rocsparse_complex_numIfEllS2_S2_S2_EEvT3_20rocsparse_direction_NS_24const_host_device_scalarIT1_EES3_PKS3_PKT2_SC_S9_PKT4_PKT5_S7_PT6_21rocsparse_index_base_b,"axG",@progbits,_ZN9rocsparseL18bsrxmvn_4x4_kernelILj128ELj16E21rocsparse_complex_numIfEllS2_S2_S2_EEvT3_20rocsparse_direction_NS_24const_host_device_scalarIT1_EES3_PKS3_PKT2_SC_S9_PKT4_PKT5_S7_PT6_21rocsparse_index_base_b,comdat
.Lfunc_end52:
	.size	_ZN9rocsparseL18bsrxmvn_4x4_kernelILj128ELj16E21rocsparse_complex_numIfEllS2_S2_S2_EEvT3_20rocsparse_direction_NS_24const_host_device_scalarIT1_EES3_PKS3_PKT2_SC_S9_PKT4_PKT5_S7_PT6_21rocsparse_index_base_b, .Lfunc_end52-_ZN9rocsparseL18bsrxmvn_4x4_kernelILj128ELj16E21rocsparse_complex_numIfEllS2_S2_S2_EEvT3_20rocsparse_direction_NS_24const_host_device_scalarIT1_EES3_PKS3_PKT2_SC_S9_PKT4_PKT5_S7_PT6_21rocsparse_index_base_b
                                        ; -- End function
	.set _ZN9rocsparseL18bsrxmvn_4x4_kernelILj128ELj16E21rocsparse_complex_numIfEllS2_S2_S2_EEvT3_20rocsparse_direction_NS_24const_host_device_scalarIT1_EES3_PKS3_PKT2_SC_S9_PKT4_PKT5_S7_PT6_21rocsparse_index_base_b.num_vgpr, 160
	.set _ZN9rocsparseL18bsrxmvn_4x4_kernelILj128ELj16E21rocsparse_complex_numIfEllS2_S2_S2_EEvT3_20rocsparse_direction_NS_24const_host_device_scalarIT1_EES3_PKS3_PKT2_SC_S9_PKT4_PKT5_S7_PT6_21rocsparse_index_base_b.num_agpr, 0
	.set _ZN9rocsparseL18bsrxmvn_4x4_kernelILj128ELj16E21rocsparse_complex_numIfEllS2_S2_S2_EEvT3_20rocsparse_direction_NS_24const_host_device_scalarIT1_EES3_PKS3_PKT2_SC_S9_PKT4_PKT5_S7_PT6_21rocsparse_index_base_b.numbered_sgpr, 14
	.set _ZN9rocsparseL18bsrxmvn_4x4_kernelILj128ELj16E21rocsparse_complex_numIfEllS2_S2_S2_EEvT3_20rocsparse_direction_NS_24const_host_device_scalarIT1_EES3_PKS3_PKT2_SC_S9_PKT4_PKT5_S7_PT6_21rocsparse_index_base_b.num_named_barrier, 0
	.set _ZN9rocsparseL18bsrxmvn_4x4_kernelILj128ELj16E21rocsparse_complex_numIfEllS2_S2_S2_EEvT3_20rocsparse_direction_NS_24const_host_device_scalarIT1_EES3_PKS3_PKT2_SC_S9_PKT4_PKT5_S7_PT6_21rocsparse_index_base_b.private_seg_size, 0
	.set _ZN9rocsparseL18bsrxmvn_4x4_kernelILj128ELj16E21rocsparse_complex_numIfEllS2_S2_S2_EEvT3_20rocsparse_direction_NS_24const_host_device_scalarIT1_EES3_PKS3_PKT2_SC_S9_PKT4_PKT5_S7_PT6_21rocsparse_index_base_b.uses_vcc, 1
	.set _ZN9rocsparseL18bsrxmvn_4x4_kernelILj128ELj16E21rocsparse_complex_numIfEllS2_S2_S2_EEvT3_20rocsparse_direction_NS_24const_host_device_scalarIT1_EES3_PKS3_PKT2_SC_S9_PKT4_PKT5_S7_PT6_21rocsparse_index_base_b.uses_flat_scratch, 1
	.set _ZN9rocsparseL18bsrxmvn_4x4_kernelILj128ELj16E21rocsparse_complex_numIfEllS2_S2_S2_EEvT3_20rocsparse_direction_NS_24const_host_device_scalarIT1_EES3_PKS3_PKT2_SC_S9_PKT4_PKT5_S7_PT6_21rocsparse_index_base_b.has_dyn_sized_stack, 0
	.set _ZN9rocsparseL18bsrxmvn_4x4_kernelILj128ELj16E21rocsparse_complex_numIfEllS2_S2_S2_EEvT3_20rocsparse_direction_NS_24const_host_device_scalarIT1_EES3_PKS3_PKT2_SC_S9_PKT4_PKT5_S7_PT6_21rocsparse_index_base_b.has_recursion, 0
	.set _ZN9rocsparseL18bsrxmvn_4x4_kernelILj128ELj16E21rocsparse_complex_numIfEllS2_S2_S2_EEvT3_20rocsparse_direction_NS_24const_host_device_scalarIT1_EES3_PKS3_PKT2_SC_S9_PKT4_PKT5_S7_PT6_21rocsparse_index_base_b.has_indirect_call, 0
	.section	.AMDGPU.csdata,"",@progbits
; Kernel info:
; codeLenInByte = 7968
; TotalNumSgprs: 16
; NumVgprs: 160
; ScratchSize: 0
; MemoryBound: 0
; FloatMode: 240
; IeeeMode: 1
; LDSByteSize: 0 bytes/workgroup (compile time only)
; SGPRBlocks: 0
; VGPRBlocks: 9
; NumSGPRsForWavesPerEU: 16
; NumVGPRsForWavesPerEU: 160
; NamedBarCnt: 0
; Occupancy: 6
; WaveLimiterHint : 1
; COMPUTE_PGM_RSRC2:SCRATCH_EN: 0
; COMPUTE_PGM_RSRC2:USER_SGPR: 2
; COMPUTE_PGM_RSRC2:TRAP_HANDLER: 0
; COMPUTE_PGM_RSRC2:TGID_X_EN: 1
; COMPUTE_PGM_RSRC2:TGID_Y_EN: 0
; COMPUTE_PGM_RSRC2:TGID_Z_EN: 0
; COMPUTE_PGM_RSRC2:TIDIG_COMP_CNT: 0
	.section	.text._ZN9rocsparseL18bsrxmvn_4x4_kernelILj128ELj32E21rocsparse_complex_numIfEllS2_S2_S2_EEvT3_20rocsparse_direction_NS_24const_host_device_scalarIT1_EES3_PKS3_PKT2_SC_S9_PKT4_PKT5_S7_PT6_21rocsparse_index_base_b,"axG",@progbits,_ZN9rocsparseL18bsrxmvn_4x4_kernelILj128ELj32E21rocsparse_complex_numIfEllS2_S2_S2_EEvT3_20rocsparse_direction_NS_24const_host_device_scalarIT1_EES3_PKS3_PKT2_SC_S9_PKT4_PKT5_S7_PT6_21rocsparse_index_base_b,comdat
	.globl	_ZN9rocsparseL18bsrxmvn_4x4_kernelILj128ELj32E21rocsparse_complex_numIfEllS2_S2_S2_EEvT3_20rocsparse_direction_NS_24const_host_device_scalarIT1_EES3_PKS3_PKT2_SC_S9_PKT4_PKT5_S7_PT6_21rocsparse_index_base_b ; -- Begin function _ZN9rocsparseL18bsrxmvn_4x4_kernelILj128ELj32E21rocsparse_complex_numIfEllS2_S2_S2_EEvT3_20rocsparse_direction_NS_24const_host_device_scalarIT1_EES3_PKS3_PKT2_SC_S9_PKT4_PKT5_S7_PT6_21rocsparse_index_base_b
	.p2align	8
	.type	_ZN9rocsparseL18bsrxmvn_4x4_kernelILj128ELj32E21rocsparse_complex_numIfEllS2_S2_S2_EEvT3_20rocsparse_direction_NS_24const_host_device_scalarIT1_EES3_PKS3_PKT2_SC_S9_PKT4_PKT5_S7_PT6_21rocsparse_index_base_b,@function
_ZN9rocsparseL18bsrxmvn_4x4_kernelILj128ELj32E21rocsparse_complex_numIfEllS2_S2_S2_EEvT3_20rocsparse_direction_NS_24const_host_device_scalarIT1_EES3_PKS3_PKT2_SC_S9_PKT4_PKT5_S7_PT6_21rocsparse_index_base_b: ; @_ZN9rocsparseL18bsrxmvn_4x4_kernelILj128ELj32E21rocsparse_complex_numIfEllS2_S2_S2_EEvT3_20rocsparse_direction_NS_24const_host_device_scalarIT1_EES3_PKS3_PKT2_SC_S9_PKT4_PKT5_S7_PT6_21rocsparse_index_base_b
; %bb.0:
	s_clause 0x2
	s_load_b64 s[8:9], s[0:1], 0x60
	s_load_b128 s[4:7], s[0:1], 0x10
	s_load_b64 s[2:3], s[0:1], 0x50
	v_mov_b32_e32 v11, 0
	s_add_nc_u64 s[10:11], s[0:1], 16
	s_add_nc_u64 s[12:13], s[0:1], 0x50
	s_wait_kmcnt 0x0
	s_bitcmp1_b32 s9, 0
	s_cselect_b32 s5, s11, s5
	s_cselect_b32 s4, s10, s4
	;; [unrolled: 1-line block ×4, first 2 shown]
	s_clause 0x1
	flat_load_b64 v[2:3], v11, s[4:5]
	flat_load_b64 v[4:5], v11, s[2:3]
	s_wait_loadcnt_dscnt 0x101
	v_cmp_neq_f32_e32 vcc_lo, 0, v2
	s_wait_xcnt 0x0
	v_cmp_neq_f32_e64 s3, 0, v3
	s_wait_loadcnt_dscnt 0x0
	v_cmp_neq_f32_e64 s4, 1.0, v4
	v_cmp_neq_f32_e64 s2, 0, v5
	s_or_b32 s5, vcc_lo, s3
	s_mov_b32 s3, 0
	s_or_b32 s4, s4, s2
	s_delay_alu instid0(SALU_CYCLE_1) | instskip(NEXT) | instid1(SALU_CYCLE_1)
	s_or_b32 s4, s5, s4
	s_and_saveexec_b32 s5, s4
	s_cbranch_execz .LBB53_6
; %bb.1:
	s_load_b64 s[4:5], s[0:1], 0x20
	s_bfe_u32 s9, ttmp6, 0x4000c
	s_and_b32 s10, ttmp6, 15
	s_add_co_i32 s9, s9, 1
	s_getreg_b32 s11, hwreg(HW_REG_IB_STS2, 6, 4)
	s_mul_i32 s9, ttmp9, s9
	v_lshrrev_b32_e32 v1, 5, v0
	s_add_co_i32 s10, s10, s9
	s_cmp_eq_u32 s11, 0
	s_cselect_b32 s9, ttmp9, s10
	s_delay_alu instid0(VALU_DEP_1) | instid1(SALU_CYCLE_1)
	v_lshl_or_b32 v10, s9, 2, v1
	s_wait_kmcnt 0x0
	s_cmp_lg_u64 s[4:5], 0
	s_cbranch_scc0 .LBB53_7
; %bb.2:
	s_delay_alu instid0(VALU_DEP_1) | instskip(SKIP_2) | instid1(SALU_CYCLE_1)
	v_cmp_gt_i64_e32 vcc_lo, s[6:7], v[10:11]
	s_mov_b32 s6, 0
                                        ; implicit-def: $vgpr6_vgpr7
                                        ; implicit-def: $vgpr8_vgpr9
	s_and_saveexec_b32 s7, vcc_lo
	s_xor_b32 s7, exec_lo, s7
	s_cbranch_execz .LBB53_4
; %bb.3:
	v_lshl_add_u64 v[6:7], v[10:11], 3, s[4:5]
	s_mov_b32 s9, 0
	s_mov_b32 s3, exec_lo
	v_mov_b64_e32 v[8:9], s[8:9]
	global_load_b64 v[6:7], v[6:7], off
	s_wait_loadcnt 0x0
	v_sub_nc_u64_e64 v[6:7], v[6:7], s[8:9]
.LBB53_4:
	s_or_b32 exec_lo, exec_lo, s7
	s_delay_alu instid0(SALU_CYCLE_1)
	s_and_b32 vcc_lo, exec_lo, s6
	s_cbranch_vccnz .LBB53_8
.LBB53_5:
	s_and_b32 exec_lo, exec_lo, s3
	s_cbranch_execnz .LBB53_11
.LBB53_6:
	s_sendmsg sendmsg(MSG_DEALLOC_VGPRS)
	s_endpgm
.LBB53_7:
                                        ; implicit-def: $vgpr6_vgpr7
                                        ; implicit-def: $vgpr8_vgpr9
	s_cbranch_execz .LBB53_5
.LBB53_8:
	s_load_b64 s[4:5], s[0:1], 0x0
	s_wait_kmcnt 0x0
	v_cmp_gt_i64_e32 vcc_lo, s[4:5], v[10:11]
	s_and_saveexec_b32 s4, vcc_lo
; %bb.9:
	s_mov_b32 s9, 0
	s_or_b32 s3, s3, exec_lo
; %bb.10:
	s_or_b32 exec_lo, exec_lo, s4
	v_mov_b64_e32 v[8:9], s[8:9]
	v_mov_b64_e32 v[6:7], v[10:11]
	s_and_b32 exec_lo, exec_lo, s3
	s_cbranch_execz .LBB53_6
.LBB53_11:
	s_load_b256 s[4:11], s[0:1], 0x28
	s_delay_alu instid0(VALU_DEP_1) | instskip(SKIP_2) | instid1(VALU_DEP_2)
	v_lshlrev_b64_e32 v[10:11], 3, v[6:7]
	v_dual_mov_b32 v1, 0 :: v_dual_bitop2_b32 v0, 31, v0 bitop3:0x40
	s_wait_kmcnt 0x0
	v_add_nc_u64_e32 v[12:13], s[4:5], v[10:11]
	v_add_nc_u64_e32 v[10:11], s[6:7], v[10:11]
	s_cmp_eq_u64 s[6:7], 0
	s_clause 0x1
	s_load_b32 s6, s[0:1], 0x8
	s_load_b64 s[4:5], s[0:1], 0x48
	s_cselect_b32 vcc_lo, -1, 0
	global_load_b64 v[24:25], v[12:13], off
	s_wait_xcnt 0x0
	v_add_nc_u64_e32 v[12:13], 8, v[12:13]
	s_delay_alu instid0(VALU_DEP_1)
	v_dual_cndmask_b32 v11, v11, v13 :: v_dual_cndmask_b32 v10, v10, v12
	global_load_b64 v[12:13], v[10:11], off
	s_wait_kmcnt 0x0
	s_cmp_eq_u32 s6, 1
	s_wait_loadcnt 0x1
	s_wait_xcnt 0x0
	v_sub_nc_u64_e32 v[10:11], v[24:25], v[8:9]
	s_delay_alu instid0(VALU_DEP_1) | instskip(SKIP_2) | instid1(VALU_DEP_2)
	v_add_nc_u64_e32 v[10:11], v[10:11], v[0:1]
	s_wait_loadcnt 0x0
	v_sub_nc_u64_e32 v[12:13], v[12:13], v[8:9]
	v_lshlrev_b64_e32 v[14:15], 7, v[10:11]
	s_delay_alu instid0(VALU_DEP_2) | instskip(NEXT) | instid1(VALU_DEP_2)
	v_cmp_lt_i64_e64 s3, v[10:11], v[12:13]
	v_add_nc_u64_e32 v[14:15], s[10:11], v[14:15]
	s_cbranch_scc1 .LBB53_23
; %bb.12:
	v_dual_mov_b32 v23, v1 :: v_dual_mov_b32 v22, v1
	v_dual_mov_b32 v17, v1 :: v_dual_mov_b32 v16, v1
	;; [unrolled: 1-line block ×4, first 2 shown]
	s_and_saveexec_b32 s6, s3
	s_cbranch_execz .LBB53_22
; %bb.13:
	v_dual_mov_b32 v17, v1 :: v_dual_bitop2_b32 v16, 32, v0 bitop3:0x54
	v_sub_nc_u64_e32 v[18:19], v[8:9], v[0:1]
	v_not_b32_e32 v21, v25
	v_not_b32_e32 v20, v24
	v_mov_b64_e32 v[28:29], v[14:15]
	v_sub_nc_u64_e32 v[16:17], v[16:17], v[8:9]
	v_mov_b64_e32 v[26:27], v[10:11]
	s_delay_alu instid0(VALU_DEP_4) | instskip(NEXT) | instid1(VALU_DEP_3)
	v_add_nc_u64_e32 v[18:19], v[18:19], v[20:21]
	v_add_nc_u64_e32 v[16:17], v[16:17], v[24:25]
	s_delay_alu instid0(VALU_DEP_1) | instskip(NEXT) | instid1(VALU_DEP_1)
	v_max_i64 v[16:17], v[16:17], v[12:13]
	v_add_nc_u64_e32 v[30:31], v[18:19], v[16:17]
	v_mov_b32_e32 v19, 0
	s_delay_alu instid0(VALU_DEP_1) | instskip(NEXT) | instid1(VALU_DEP_3)
	v_dual_mov_b32 v21, v19 :: v_dual_mov_b32 v20, v19
	v_and_b32_e32 v18, 0x60, v30
	v_dual_mov_b32 v17, v19 :: v_dual_mov_b32 v16, v19
	v_dual_mov_b32 v22, v19 :: v_dual_mov_b32 v23, v19
	s_delay_alu instid0(VALU_DEP_3)
	v_cmp_ne_u64_e32 vcc_lo, 0x60, v[18:19]
	v_mov_b32_e32 v18, v19
	s_and_saveexec_b32 s7, vcc_lo
	s_cbranch_execz .LBB53_17
; %bb.14:
	v_dual_mov_b32 v19, 0 :: v_dual_lshrrev_b32 v16, 5, v30
	v_mov_b64_e32 v[26:27], v[10:11]
	v_mov_b64_e32 v[28:29], v[14:15]
	v_lshl_add_u64 v[32:33], v[10:11], 3, s[8:9]
	s_delay_alu instid0(VALU_DEP_4) | instskip(SKIP_1) | instid1(VALU_DEP_2)
	v_dual_add_nc_u32 v16, 1, v16 :: v_dual_mov_b32 v20, v19
	v_dual_mov_b32 v17, v19 :: v_dual_mov_b32 v22, v19
	v_dual_mov_b32 v23, v19 :: v_dual_bitop2_b32 v18, 3, v16 bitop3:0x40
	v_dual_mov_b32 v21, v19 :: v_dual_mov_b32 v16, v19
	s_mov_b32 s10, 0
	s_delay_alu instid0(VALU_DEP_2)
	v_sub_nc_u64_e32 v[34:35], 0, v[18:19]
	v_mov_b32_e32 v18, v19
.LBB53_15:                              ; =>This Inner Loop Header: Depth=1
	global_load_b64 v[36:37], v[32:33], off
	v_add_nc_u64_e32 v[34:35], 1, v[34:35]
	v_add_nc_u64_e32 v[26:27], 32, v[26:27]
	s_wait_xcnt 0x0
	v_add_nc_u64_e32 v[32:33], 0x100, v[32:33]
	s_delay_alu instid0(VALU_DEP_3)
	v_cmp_eq_u64_e32 vcc_lo, 0, v[34:35]
	s_or_b32 s10, vcc_lo, s10
	s_wait_loadcnt 0x0
	v_sub_nc_u64_e32 v[44:45], v[36:37], v[8:9]
	s_clause 0x1
	global_load_b128 v[36:39], v[28:29], off offset:16
	global_load_b128 v[40:43], v[28:29], off
	v_lshlrev_b64_e32 v[56:57], 5, v[44:45]
	s_clause 0x2
	global_load_b128 v[44:47], v[28:29], off offset:48
	global_load_b128 v[48:51], v[28:29], off offset:32
	;; [unrolled: 1-line block ×3, first 2 shown]
	v_add_nc_u64_e32 v[76:77], s[4:5], v[56:57]
	s_clause 0x2
	global_load_b128 v[56:59], v[28:29], off offset:80
	global_load_b128 v[60:63], v[28:29], off offset:112
	;; [unrolled: 1-line block ×3, first 2 shown]
	s_clause 0x1
	global_load_b128 v[68:71], v[76:77], off
	global_load_b128 v[72:75], v[76:77], off offset:16
	s_wait_xcnt 0x2
	v_add_nc_u64_e32 v[28:29], 0x1000, v[28:29]
	s_wait_loadcnt 0x9
	v_xor_b32_e32 v78, 0x80000000, v39
	s_wait_loadcnt 0x8
	s_wait_xcnt 0x0
	v_xor_b32_e32 v76, 0x80000000, v43
	v_dual_mov_b32 v77, v42 :: v_dual_mov_b32 v79, v38
	s_wait_loadcnt 0x7
	v_xor_b32_e32 v82, 0x80000000, v47
	s_wait_loadcnt 0x6
	v_xor_b32_e32 v80, 0x80000000, v51
	v_dual_mov_b32 v81, v50 :: v_dual_mov_b32 v83, v46
	s_wait_loadcnt 0x5
	v_xor_b32_e32 v84, 0x80000000, v55
	v_mov_b32_e32 v85, v54
	s_wait_loadcnt 0x4
	v_xor_b32_e32 v86, 0x80000000, v59
	v_mov_b32_e32 v87, v58
	s_wait_loadcnt 0x2
	v_xor_b32_e32 v88, 0x80000000, v67
	s_wait_loadcnt 0x1
	v_pk_fma_f32 v[22:23], v[40:41], v[68:69], v[22:23] op_sel_hi:[1,0,1]
	v_pk_fma_f32 v[18:19], v[48:49], v[68:69], v[18:19] op_sel_hi:[1,0,1]
	;; [unrolled: 1-line block ×4, first 2 shown]
	v_mov_b32_e32 v89, v66
	v_pk_fma_f32 v[22:23], v[40:41], v[68:69], v[22:23] op_sel:[1,1,0] op_sel_hi:[0,1,1] neg_lo:[1,0,0]
	v_pk_fma_f32 v[18:19], v[48:49], v[68:69], v[18:19] op_sel:[1,1,0] op_sel_hi:[0,1,1] neg_lo:[1,0,0]
	;; [unrolled: 1-line block ×4, first 2 shown]
	v_mov_b32_e32 v40, v71
	v_pk_fma_f32 v[22:23], v[42:43], v[70:71], v[22:23] op_sel_hi:[1,0,1]
	v_pk_fma_f32 v[18:19], v[50:51], v[70:71], v[18:19] op_sel_hi:[1,0,1]
	;; [unrolled: 1-line block ×4, first 2 shown]
	s_delay_alu instid0(VALU_DEP_4) | instskip(NEXT) | instid1(VALU_DEP_4)
	v_pk_fma_f32 v[22:23], v[76:77], v[40:41], v[22:23] op_sel_hi:[1,0,1]
	v_pk_fma_f32 v[18:19], v[80:81], v[40:41], v[18:19] op_sel_hi:[1,0,1]
	s_delay_alu instid0(VALU_DEP_4) | instskip(NEXT) | instid1(VALU_DEP_4)
	v_pk_fma_f32 v[20:21], v[84:85], v[40:41], v[20:21] op_sel_hi:[1,0,1]
	v_pk_fma_f32 v[16:17], v[88:89], v[40:41], v[16:17] op_sel_hi:[1,0,1]
	v_xor_b32_e32 v40, 0x80000000, v63
	s_wait_loadcnt 0x0
	v_pk_fma_f32 v[22:23], v[36:37], v[72:73], v[22:23] op_sel_hi:[1,0,1]
	v_pk_fma_f32 v[18:19], v[44:45], v[72:73], v[18:19] op_sel_hi:[1,0,1]
	;; [unrolled: 1-line block ×4, first 2 shown]
	v_mov_b32_e32 v41, v62
	v_pk_fma_f32 v[22:23], v[36:37], v[72:73], v[22:23] op_sel:[1,1,0] op_sel_hi:[0,1,1] neg_lo:[1,0,0]
	v_pk_fma_f32 v[18:19], v[44:45], v[72:73], v[18:19] op_sel:[1,1,0] op_sel_hi:[0,1,1] neg_lo:[1,0,0]
	;; [unrolled: 1-line block ×4, first 2 shown]
	v_mov_b32_e32 v36, v75
	v_pk_fma_f32 v[22:23], v[38:39], v[74:75], v[22:23] op_sel_hi:[1,0,1]
	v_pk_fma_f32 v[18:19], v[46:47], v[74:75], v[18:19] op_sel_hi:[1,0,1]
	;; [unrolled: 1-line block ×4, first 2 shown]
	s_delay_alu instid0(VALU_DEP_4) | instskip(NEXT) | instid1(VALU_DEP_4)
	v_pk_fma_f32 v[22:23], v[78:79], v[36:37], v[22:23] op_sel_hi:[1,0,1]
	v_pk_fma_f32 v[18:19], v[82:83], v[36:37], v[18:19] op_sel_hi:[1,0,1]
	s_delay_alu instid0(VALU_DEP_4) | instskip(NEXT) | instid1(VALU_DEP_4)
	v_pk_fma_f32 v[20:21], v[86:87], v[36:37], v[20:21] op_sel_hi:[1,0,1]
	v_pk_fma_f32 v[16:17], v[40:41], v[36:37], v[16:17] op_sel_hi:[1,0,1]
	s_and_not1_b32 exec_lo, exec_lo, s10
	s_cbranch_execnz .LBB53_15
; %bb.16:
	s_or_b32 exec_lo, exec_lo, s10
.LBB53_17:
	s_delay_alu instid0(SALU_CYCLE_1) | instskip(NEXT) | instid1(SALU_CYCLE_1)
	s_or_b32 exec_lo, exec_lo, s7
	s_mov_b32 s7, exec_lo
	v_cmpx_lt_u64_e32 0x5f, v[30:31]
	s_cbranch_execz .LBB53_21
; %bb.18:
	v_lshl_add_u64 v[30:31], v[26:27], 3, s[8:9]
	s_mov_b32 s10, 0
	s_delay_alu instid0(VALU_DEP_1)
	v_add_nc_u64_e32 v[30:31], 0x200, v[30:31]
.LBB53_19:                              ; =>This Inner Loop Header: Depth=1
	global_load_b64 v[136:137], v[30:31], off offset:-512
	s_clause 0x11
	global_load_b128 v[32:35], v[28:29], off
	global_load_b128 v[36:39], v[28:29], off offset:16
	global_load_b128 v[40:43], v[28:29], off offset:48
	;; [unrolled: 1-line block ×17, first 2 shown]
	s_clause 0x2
	global_load_b64 v[144:145], v[30:31], off offset:-256
	global_load_b64 v[146:147], v[30:31], off
	global_load_b64 v[148:149], v[30:31], off offset:256
	s_clause 0x7
	global_load_b128 v[104:107], v[28:29], off offset:8208
	global_load_b128 v[108:111], v[28:29], off offset:8192
	;; [unrolled: 1-line block ×8, first 2 shown]
	v_add_nc_u64_e32 v[26:27], 0x80, v[26:27]
	s_wait_xcnt 0x8
	v_add_nc_u64_e32 v[30:31], 0x400, v[30:31]
	s_delay_alu instid0(VALU_DEP_2)
	v_cmp_ge_i64_e32 vcc_lo, v[26:27], v[12:13]
	s_or_b32 s10, vcc_lo, s10
	s_wait_loadcnt 0x1d
	v_sub_nc_u64_e32 v[136:137], v[136:137], v[8:9]
	s_wait_loadcnt 0x1c
	v_xor_b32_e32 v150, 0x80000000, v35
	v_mov_b32_e32 v151, v34
	s_delay_alu instid0(VALU_DEP_3) | instskip(SKIP_3) | instid1(VALU_DEP_3)
	v_lshlrev_b64_e32 v[136:137], 5, v[136:137]
	s_wait_loadcnt 0x11
	v_xor_b32_e32 v156, 0x80000000, v79
	v_mov_b32_e32 v157, v78
	v_add_nc_u64_e32 v[152:153], s[4:5], v[136:137]
	s_clause 0x1
	global_load_b128 v[136:139], v[152:153], off
	global_load_b128 v[140:143], v[152:153], off offset:16
	s_wait_xcnt 0x0
	v_xor_b32_e32 v152, 0x80000000, v47
	v_mov_b32_e32 v153, v46
	s_wait_loadcnt 0x1
	v_pk_fma_f32 v[18:19], v[44:45], v[136:137], v[18:19] op_sel_hi:[1,0,1]
	v_pk_fma_f32 v[22:23], v[32:33], v[136:137], v[22:23] op_sel_hi:[1,0,1]
	;; [unrolled: 1-line block ×3, first 2 shown]
	s_delay_alu instid0(VALU_DEP_3) | instskip(NEXT) | instid1(VALU_DEP_3)
	v_pk_fma_f32 v[18:19], v[44:45], v[136:137], v[18:19] op_sel:[1,1,0] op_sel_hi:[0,1,1] neg_lo:[1,0,0]
	v_pk_fma_f32 v[22:23], v[32:33], v[136:137], v[22:23] op_sel:[1,1,0] op_sel_hi:[0,1,1] neg_lo:[1,0,0]
	s_delay_alu instid0(VALU_DEP_3) | instskip(NEXT) | instid1(VALU_DEP_3)
	v_pk_fma_f32 v[16:17], v[68:69], v[136:137], v[16:17] op_sel:[1,1,0] op_sel_hi:[0,1,1] neg_lo:[1,0,0]
	v_pk_fma_f32 v[154:155], v[46:47], v[138:139], v[18:19] op_sel_hi:[1,0,1]
	v_pk_fma_f32 v[18:19], v[76:77], v[136:137], v[20:21] op_sel_hi:[1,0,1]
	s_delay_alu instid0(VALU_DEP_4) | instskip(NEXT) | instid1(VALU_DEP_4)
	v_pk_fma_f32 v[22:23], v[34:35], v[138:139], v[22:23] op_sel_hi:[1,0,1]
	v_pk_fma_f32 v[16:17], v[70:71], v[138:139], v[16:17] op_sel_hi:[1,0,1]
	s_clause 0x1
	global_load_b128 v[32:35], v[28:29], off offset:12304
	global_load_b128 v[44:47], v[28:29], off offset:12352
	v_pk_fma_f32 v[18:19], v[76:77], v[136:137], v[18:19] op_sel:[1,1,0] op_sel_hi:[0,1,1] neg_lo:[1,0,0]
	v_mov_b32_e32 v136, v139
	s_delay_alu instid0(VALU_DEP_2) | instskip(SKIP_1) | instid1(VALU_DEP_3)
	v_pk_fma_f32 v[76:77], v[78:79], v[138:139], v[18:19] op_sel_hi:[1,0,1]
	v_mov_b32_e32 v79, v70
	v_pk_fma_f32 v[22:23], v[150:151], v[136:137], v[22:23] op_sel_hi:[1,0,1]
	v_mov_b32_e32 v151, v38
	v_pk_fma_f32 v[138:139], v[152:153], v[136:137], v[154:155] op_sel_hi:[1,0,1]
	v_pk_fma_f32 v[152:153], v[156:157], v[136:137], v[76:77] op_sel_hi:[1,0,1]
	v_sub_nc_u64_e32 v[76:77], v[144:145], v[8:9]
	v_sub_nc_u64_e32 v[144:145], v[146:147], v[8:9]
	v_xor_b32_e32 v78, 0x80000000, v71
	s_wait_loadcnt 0x2
	v_pk_fma_f32 v[22:23], v[36:37], v[140:141], v[22:23] op_sel_hi:[1,0,1]
	s_clause 0x1
	global_load_b128 v[18:21], v[28:29], off offset:12288
	global_load_b128 v[68:71], v[28:29], off offset:12384
	v_xor_b32_e32 v150, 0x80000000, v39
	v_lshlrev_b64_e32 v[76:77], 5, v[76:77]
	v_pk_fma_f32 v[16:17], v[78:79], v[136:137], v[16:17] op_sel_hi:[1,0,1]
	v_lshlrev_b64_e32 v[78:79], 5, v[144:145]
	v_pk_fma_f32 v[22:23], v[36:37], v[140:141], v[22:23] op_sel:[1,1,0] op_sel_hi:[0,1,1] neg_lo:[1,0,0]
	v_sub_nc_u64_e32 v[136:137], v[148:149], v[8:9]
	v_pk_fma_f32 v[138:139], v[40:41], v[140:141], v[138:139] op_sel_hi:[1,0,1]
	v_xor_b32_e32 v154, 0x80000000, v43
	v_add_nc_u64_e32 v[144:145], s[4:5], v[76:77]
	v_pk_fma_f32 v[22:23], v[38:39], v[142:143], v[22:23] op_sel_hi:[1,0,1]
	v_add_nc_u64_e32 v[148:149], s[4:5], v[78:79]
	v_pk_fma_f32 v[40:41], v[40:41], v[140:141], v[138:139] op_sel:[1,1,0] op_sel_hi:[0,1,1] neg_lo:[1,0,0]
	v_dual_mov_b32 v155, v42 :: v_dual_mov_b32 v147, v74
	s_clause 0x1
	global_load_b128 v[36:39], v[144:145], off
	global_load_b128 v[76:79], v[144:145], off offset:16
	s_wait_xcnt 0x0
	v_pk_fma_f32 v[144:145], v[42:43], v[142:143], v[40:41] op_sel_hi:[1,0,1]
	global_load_b128 v[40:43], v[148:149], off
	v_pk_fma_f32 v[138:139], v[72:73], v[140:141], v[152:153] op_sel_hi:[1,0,1]
	v_xor_b32_e32 v146, 0x80000000, v75
	v_pk_fma_f32 v[16:17], v[64:65], v[140:141], v[16:17] op_sel_hi:[1,0,1]
	v_xor_b32_e32 v156, 0x80000000, v67
	v_mov_b32_e32 v157, v66
	v_pk_fma_f32 v[72:73], v[72:73], v[140:141], v[138:139] op_sel:[1,1,0] op_sel_hi:[0,1,1] neg_lo:[1,0,0]
	s_delay_alu instid0(VALU_DEP_4) | instskip(NEXT) | instid1(VALU_DEP_2)
	v_pk_fma_f32 v[16:17], v[64:65], v[140:141], v[16:17] op_sel:[1,1,0] op_sel_hi:[0,1,1] neg_lo:[1,0,0]
	v_pk_fma_f32 v[152:153], v[74:75], v[142:143], v[72:73] op_sel_hi:[1,0,1]
	v_lshlrev_b64_e32 v[72:73], 5, v[136:137]
	s_delay_alu instid0(VALU_DEP_3)
	v_pk_fma_f32 v[16:17], v[66:67], v[142:143], v[16:17] op_sel_hi:[1,0,1]
	global_load_b128 v[136:139], v[28:29], off offset:12368
	v_add_nc_u64_e32 v[158:159], s[4:5], v[72:73]
	global_load_b128 v[72:75], v[148:149], off offset:16
	s_wait_xcnt 0x0
	v_mov_b32_e32 v148, v143
	global_load_b128 v[140:143], v[28:29], off offset:12400
	s_wait_xcnt 0x0
	v_add_nc_u64_e32 v[28:29], 0x4000, v[28:29]
	global_load_b128 v[64:67], v[158:159], off
	v_pk_fma_f32 v[22:23], v[150:151], v[148:149], v[22:23] op_sel_hi:[1,0,1]
	v_pk_fma_f32 v[150:151], v[154:155], v[148:149], v[144:145] op_sel_hi:[1,0,1]
	;; [unrolled: 1-line block ×3, first 2 shown]
	global_load_b128 v[144:147], v[158:159], off offset:16
	v_pk_fma_f32 v[16:17], v[156:157], v[148:149], v[16:17] op_sel_hi:[1,0,1]
	v_xor_b32_e32 v148, 0x80000000, v63
	v_mov_b32_e32 v149, v62
	s_wait_loadcnt 0x7
	v_pk_fma_f32 v[22:23], v[60:61], v[36:37], v[22:23] op_sel_hi:[1,0,1]
	v_pk_fma_f32 v[150:151], v[52:53], v[36:37], v[150:151] op_sel_hi:[1,0,1]
	;; [unrolled: 1-line block ×4, first 2 shown]
	s_delay_alu instid0(VALU_DEP_4) | instskip(NEXT) | instid1(VALU_DEP_4)
	v_pk_fma_f32 v[22:23], v[60:61], v[36:37], v[22:23] op_sel:[1,1,0] op_sel_hi:[0,1,1] neg_lo:[1,0,0]
	v_pk_fma_f32 v[52:53], v[52:53], v[36:37], v[150:151] op_sel:[1,1,0] op_sel_hi:[0,1,1] neg_lo:[1,0,0]
	s_delay_alu instid0(VALU_DEP_4) | instskip(NEXT) | instid1(VALU_DEP_4)
	v_pk_fma_f32 v[92:93], v[92:93], v[36:37], v[152:153] op_sel:[1,1,0] op_sel_hi:[0,1,1] neg_lo:[1,0,0]
	v_pk_fma_f32 v[16:17], v[84:85], v[36:37], v[16:17] op_sel:[1,1,0] op_sel_hi:[0,1,1] neg_lo:[1,0,0]
	v_xor_b32_e32 v60, 0x80000000, v55
	v_pk_fma_f32 v[22:23], v[62:63], v[38:39], v[22:23] op_sel_hi:[1,0,1]
	v_mov_b32_e32 v61, v54
	v_xor_b32_e32 v62, 0x80000000, v95
	v_mov_b32_e32 v63, v94
	v_pk_fma_f32 v[52:53], v[54:55], v[38:39], v[52:53] op_sel_hi:[1,0,1]
	v_xor_b32_e32 v54, 0x80000000, v87
	v_mov_b32_e32 v55, v86
	v_pk_fma_f32 v[92:93], v[94:95], v[38:39], v[92:93] op_sel_hi:[1,0,1]
	v_pk_fma_f32 v[16:17], v[86:87], v[38:39], v[16:17] op_sel_hi:[1,0,1]
	v_dual_mov_b32 v85, v110 :: v_dual_mov_b32 v38, v39
	v_xor_b32_e32 v150, 0x80000000, v59
	v_dual_mov_b32 v151, v58 :: v_dual_mov_b32 v95, v50
	v_xor_b32_e32 v94, 0x80000000, v51
	s_delay_alu instid0(VALU_DEP_4)
	v_pk_fma_f32 v[22:23], v[148:149], v[38:39], v[22:23] op_sel_hi:[1,0,1]
	v_pk_fma_f32 v[52:53], v[60:61], v[38:39], v[52:53] op_sel_hi:[1,0,1]
	;; [unrolled: 1-line block ×4, first 2 shown]
	v_xor_b32_e32 v152, 0x80000000, v91
	s_wait_loadcnt 0x6
	v_pk_fma_f32 v[22:23], v[56:57], v[76:77], v[22:23] op_sel_hi:[1,0,1]
	v_pk_fma_f32 v[52:53], v[48:49], v[76:77], v[52:53] op_sel_hi:[1,0,1]
	;; [unrolled: 1-line block ×4, first 2 shown]
	v_dual_mov_b32 v153, v90 :: v_dual_mov_b32 v37, v82
	v_pk_fma_f32 v[22:23], v[56:57], v[76:77], v[22:23] op_sel:[1,1,0] op_sel_hi:[0,1,1] neg_lo:[1,0,0]
	v_pk_fma_f32 v[48:49], v[48:49], v[76:77], v[52:53] op_sel:[1,1,0] op_sel_hi:[0,1,1] neg_lo:[1,0,0]
	v_pk_fma_f32 v[52:53], v[88:89], v[76:77], v[62:63] op_sel:[1,1,0] op_sel_hi:[0,1,1] neg_lo:[1,0,0]
	v_pk_fma_f32 v[16:17], v[80:81], v[76:77], v[16:17] op_sel:[1,1,0] op_sel_hi:[0,1,1] neg_lo:[1,0,0]
	v_xor_b32_e32 v36, 0x80000000, v83
	v_pk_fma_f32 v[22:23], v[58:59], v[78:79], v[22:23] op_sel_hi:[1,0,1]
	v_pk_fma_f32 v[48:49], v[50:51], v[78:79], v[48:49] op_sel_hi:[1,0,1]
	v_dual_mov_b32 v51, v130 :: v_dual_mov_b32 v62, v79
	v_pk_fma_f32 v[52:53], v[90:91], v[78:79], v[52:53] op_sel_hi:[1,0,1]
	v_pk_fma_f32 v[16:17], v[82:83], v[78:79], v[16:17] op_sel_hi:[1,0,1]
	v_xor_b32_e32 v84, 0x80000000, v111
	v_xor_b32_e32 v86, 0x80000000, v103
	v_pk_fma_f32 v[22:23], v[150:151], v[62:63], v[22:23] op_sel_hi:[1,0,1]
	v_pk_fma_f32 v[48:49], v[94:95], v[62:63], v[48:49] op_sel_hi:[1,0,1]
	;; [unrolled: 1-line block ×4, first 2 shown]
	v_dual_mov_b32 v87, v102 :: v_dual_mov_b32 v149, v126
	s_wait_loadcnt 0x5
	v_pk_fma_f32 v[22:23], v[108:109], v[40:41], v[22:23] op_sel_hi:[1,0,1]
	v_pk_fma_f32 v[36:37], v[100:101], v[40:41], v[48:49] op_sel_hi:[1,0,1]
	;; [unrolled: 1-line block ×4, first 2 shown]
	v_xor_b32_e32 v148, 0x80000000, v127
	v_pk_fma_f32 v[22:23], v[108:109], v[40:41], v[22:23] op_sel:[1,1,0] op_sel_hi:[0,1,1] neg_lo:[1,0,0]
	v_pk_fma_f32 v[36:37], v[100:101], v[40:41], v[36:37] op_sel:[1,1,0] op_sel_hi:[0,1,1] neg_lo:[1,0,0]
	;; [unrolled: 1-line block ×4, first 2 shown]
	v_xor_b32_e32 v60, 0x80000000, v119
	v_dual_mov_b32 v61, v118 :: v_dual_mov_b32 v93, v106
	v_dual_mov_b32 v77, v122 :: v_dual_mov_b32 v40, v43
	v_pk_fma_f32 v[22:23], v[110:111], v[42:43], v[22:23] op_sel_hi:[1,0,1]
	v_pk_fma_f32 v[36:37], v[102:103], v[42:43], v[36:37] op_sel_hi:[1,0,1]
	v_pk_fma_f32 v[48:49], v[126:127], v[42:43], v[48:49] op_sel_hi:[1,0,1]
	v_pk_fma_f32 v[16:17], v[118:119], v[42:43], v[16:17] op_sel_hi:[1,0,1]
	v_xor_b32_e32 v92, 0x80000000, v107
	v_pk_fma_f32 v[22:23], v[84:85], v[40:41], v[22:23] op_sel_hi:[1,0,1]
	v_pk_fma_f32 v[36:37], v[86:87], v[40:41], v[36:37] op_sel_hi:[1,0,1]
	;; [unrolled: 1-line block ×4, first 2 shown]
	v_xor_b32_e32 v56, 0x80000000, v99
	s_wait_loadcnt 0x3
	v_pk_fma_f32 v[22:23], v[104:105], v[72:73], v[22:23] op_sel_hi:[1,0,1]
	v_pk_fma_f32 v[36:37], v[96:97], v[72:73], v[36:37] op_sel_hi:[1,0,1]
	;; [unrolled: 1-line block ×4, first 2 shown]
	v_dual_mov_b32 v57, v98 :: v_dual_mov_b32 v59, v134
	v_pk_fma_f32 v[22:23], v[104:105], v[72:73], v[22:23] op_sel:[1,1,0] op_sel_hi:[0,1,1] neg_lo:[1,0,0]
	v_pk_fma_f32 v[36:37], v[96:97], v[72:73], v[36:37] op_sel:[1,1,0] op_sel_hi:[0,1,1] neg_lo:[1,0,0]
	;; [unrolled: 1-line block ×4, first 2 shown]
	v_xor_b32_e32 v76, 0x80000000, v123
	v_dual_mov_b32 v53, v46 :: v_dual_mov_b32 v41, v114
	v_xor_b32_e32 v40, 0x80000000, v115
	v_mov_b32_e32 v48, v75
	v_pk_fma_f32 v[22:23], v[106:107], v[74:75], v[22:23] op_sel_hi:[1,0,1]
	v_pk_fma_f32 v[36:37], v[98:99], v[74:75], v[36:37] op_sel_hi:[1,0,1]
	;; [unrolled: 1-line block ×4, first 2 shown]
	v_xor_b32_e32 v38, 0x80000000, v21
	v_dual_mov_b32 v39, v20 :: v_dual_mov_b32 v55, v34
	v_xor_b32_e32 v58, 0x80000000, v135
	s_delay_alu instid0(VALU_DEP_4)
	v_pk_fma_f32 v[16:17], v[40:41], v[48:49], v[16:17] op_sel_hi:[1,0,1]
	v_mov_b32_e32 v41, v70
	v_pk_fma_f32 v[22:23], v[92:93], v[48:49], v[22:23] op_sel_hi:[1,0,1]
	v_pk_fma_f32 v[36:37], v[56:57], v[48:49], v[36:37] op_sel_hi:[1,0,1]
	;; [unrolled: 1-line block ×3, first 2 shown]
	s_wait_loadcnt 0x1
	v_pk_fma_f32 v[16:17], v[68:69], v[64:65], v[16:17] op_sel_hi:[1,0,1]
	v_xor_b32_e32 v52, 0x80000000, v47
	v_pk_fma_f32 v[22:23], v[18:19], v[64:65], v[22:23] op_sel_hi:[1,0,1]
	v_pk_fma_f32 v[36:37], v[132:133], v[64:65], v[36:37] op_sel_hi:[1,0,1]
	v_pk_fma_f32 v[42:43], v[44:45], v[64:65], v[42:43] op_sel_hi:[1,0,1]
	v_pk_fma_f32 v[16:17], v[68:69], v[64:65], v[16:17] op_sel:[1,1,0] op_sel_hi:[0,1,1] neg_lo:[1,0,0]
	v_xor_b32_e32 v40, 0x80000000, v71
	v_pk_fma_f32 v[18:19], v[18:19], v[64:65], v[22:23] op_sel:[1,1,0] op_sel_hi:[0,1,1] neg_lo:[1,0,0]
	v_pk_fma_f32 v[22:23], v[132:133], v[64:65], v[36:37] op_sel:[1,1,0] op_sel_hi:[0,1,1] neg_lo:[1,0,0]
	;; [unrolled: 1-line block ×3, first 2 shown]
	v_dual_mov_b32 v42, v67 :: v_dual_mov_b32 v61, v138
	s_delay_alu instid0(VALU_DEP_4) | instskip(NEXT) | instid1(VALU_DEP_4)
	v_pk_fma_f32 v[18:19], v[20:21], v[66:67], v[18:19] op_sel_hi:[1,0,1]
	v_pk_fma_f32 v[20:21], v[134:135], v[66:67], v[22:23] op_sel_hi:[1,0,1]
	s_delay_alu instid0(VALU_DEP_4)
	v_pk_fma_f32 v[22:23], v[46:47], v[66:67], v[36:37] op_sel_hi:[1,0,1]
	v_pk_fma_f32 v[16:17], v[70:71], v[66:67], v[16:17] op_sel_hi:[1,0,1]
	v_xor_b32_e32 v54, 0x80000000, v35
	v_pk_fma_f32 v[18:19], v[38:39], v[42:43], v[18:19] op_sel_hi:[1,0,1]
	v_pk_fma_f32 v[20:21], v[58:59], v[42:43], v[20:21] op_sel_hi:[1,0,1]
	v_pk_fma_f32 v[22:23], v[52:53], v[42:43], v[22:23] op_sel_hi:[1,0,1]
	v_pk_fma_f32 v[16:17], v[40:41], v[42:43], v[16:17] op_sel_hi:[1,0,1]
	v_xor_b32_e32 v50, 0x80000000, v131
	s_wait_loadcnt 0x0
	v_pk_fma_f32 v[18:19], v[32:33], v[144:145], v[18:19] op_sel_hi:[1,0,1]
	v_pk_fma_f32 v[20:21], v[128:129], v[144:145], v[20:21] op_sel_hi:[1,0,1]
	;; [unrolled: 1-line block ×4, first 2 shown]
	v_xor_b32_e32 v60, 0x80000000, v139
	v_pk_fma_f32 v[18:19], v[32:33], v[144:145], v[18:19] op_sel:[1,1,0] op_sel_hi:[0,1,1] neg_lo:[1,0,0]
	v_pk_fma_f32 v[20:21], v[128:129], v[144:145], v[20:21] op_sel:[1,1,0] op_sel_hi:[0,1,1] neg_lo:[1,0,0]
	;; [unrolled: 1-line block ×4, first 2 shown]
	v_xor_b32_e32 v36, 0x80000000, v143
	v_dual_mov_b32 v37, v142 :: v_dual_mov_b32 v32, v147
	v_pk_fma_f32 v[18:19], v[34:35], v[146:147], v[18:19] op_sel_hi:[1,0,1]
	v_pk_fma_f32 v[20:21], v[130:131], v[146:147], v[20:21] op_sel_hi:[1,0,1]
	;; [unrolled: 1-line block ×4, first 2 shown]
	s_delay_alu instid0(VALU_DEP_4) | instskip(NEXT) | instid1(VALU_DEP_4)
	v_pk_fma_f32 v[22:23], v[54:55], v[32:33], v[18:19] op_sel_hi:[1,0,1]
	v_pk_fma_f32 v[18:19], v[50:51], v[32:33], v[20:21] op_sel_hi:[1,0,1]
	s_delay_alu instid0(VALU_DEP_4) | instskip(NEXT) | instid1(VALU_DEP_4)
	v_pk_fma_f32 v[20:21], v[60:61], v[32:33], v[34:35] op_sel_hi:[1,0,1]
	v_pk_fma_f32 v[16:17], v[36:37], v[32:33], v[16:17] op_sel_hi:[1,0,1]
	s_and_not1_b32 exec_lo, exec_lo, s10
	s_cbranch_execnz .LBB53_19
; %bb.20:
	s_or_b32 exec_lo, exec_lo, s10
.LBB53_21:
	s_delay_alu instid0(SALU_CYCLE_1)
	s_or_b32 exec_lo, exec_lo, s7
.LBB53_22:
	s_delay_alu instid0(SALU_CYCLE_1)
	s_or_b32 exec_lo, exec_lo, s6
	s_cbranch_execz .LBB53_24
	s_branch .LBB53_35
.LBB53_23:
                                        ; implicit-def: $vgpr23
                                        ; implicit-def: $vgpr17
                                        ; implicit-def: $vgpr21
                                        ; implicit-def: $vgpr19
.LBB53_24:
	v_dual_mov_b32 v23, 0 :: v_dual_mov_b32 v22, 0
	v_dual_mov_b32 v17, 0 :: v_dual_mov_b32 v16, 0
	;; [unrolled: 1-line block ×4, first 2 shown]
	s_and_saveexec_b32 s6, s3
	s_cbranch_execz .LBB53_34
; %bb.25:
	v_dual_mov_b32 v17, v1 :: v_dual_bitop2_b32 v16, 32, v0 bitop3:0x54
	v_sub_nc_u64_e32 v[18:19], v[8:9], v[0:1]
	v_not_b32_e32 v21, v25
	v_not_b32_e32 v20, v24
	s_delay_alu instid0(VALU_DEP_4) | instskip(NEXT) | instid1(VALU_DEP_2)
	v_sub_nc_u64_e32 v[16:17], v[16:17], v[8:9]
	v_add_nc_u64_e32 v[18:19], v[18:19], v[20:21]
	s_delay_alu instid0(VALU_DEP_2) | instskip(NEXT) | instid1(VALU_DEP_1)
	v_add_nc_u64_e32 v[16:17], v[16:17], v[24:25]
	v_max_i64 v[16:17], v[16:17], v[12:13]
	s_delay_alu instid0(VALU_DEP_1) | instskip(SKIP_1) | instid1(VALU_DEP_1)
	v_add_nc_u64_e32 v[24:25], v[18:19], v[16:17]
	v_mov_b32_e32 v19, 0
	v_dual_mov_b32 v21, v19 :: v_dual_mov_b32 v20, v19
	s_delay_alu instid0(VALU_DEP_3) | instskip(SKIP_2) | instid1(VALU_DEP_3)
	v_and_b32_e32 v18, 0x60, v24
	v_dual_mov_b32 v17, v19 :: v_dual_mov_b32 v16, v19
	v_dual_mov_b32 v22, v19 :: v_dual_mov_b32 v23, v19
	v_cmp_ne_u64_e32 vcc_lo, 0x60, v[18:19]
	v_mov_b32_e32 v18, v19
	s_and_saveexec_b32 s3, vcc_lo
	s_cbranch_execz .LBB53_29
; %bb.26:
	v_dual_lshrrev_b32 v1, 5, v24 :: v_dual_mov_b32 v19, 0
	v_lshl_add_u64 v[26:27], v[10:11], 3, s[8:9]
	s_mov_b32 s7, 0
	s_delay_alu instid0(VALU_DEP_2) | instskip(SKIP_1) | instid1(VALU_DEP_2)
	v_dual_mov_b32 v20, v19 :: v_dual_add_nc_u32 v1, 1, v1
	v_dual_mov_b32 v16, v19 :: v_dual_mov_b32 v17, v19
	v_dual_mov_b32 v22, v19 :: v_dual_bitop2_b32 v18, 3, v1 bitop3:0x40
	v_dual_mov_b32 v21, v19 :: v_dual_mov_b32 v23, v19
	s_delay_alu instid0(VALU_DEP_2)
	v_sub_nc_u64_e32 v[28:29], 0, v[18:19]
	v_mov_b32_e32 v18, v19
.LBB53_27:                              ; =>This Inner Loop Header: Depth=1
	global_load_b64 v[30:31], v[26:27], off
	v_add_nc_u64_e32 v[28:29], 1, v[28:29]
	v_add_nc_u64_e32 v[10:11], 32, v[10:11]
	s_wait_xcnt 0x0
	v_add_nc_u64_e32 v[26:27], 0x100, v[26:27]
	s_delay_alu instid0(VALU_DEP_3)
	v_cmp_eq_u64_e32 vcc_lo, 0, v[28:29]
	s_or_b32 s7, vcc_lo, s7
	s_wait_loadcnt 0x0
	v_sub_nc_u64_e32 v[34:35], v[30:31], v[8:9]
	global_load_b128 v[30:33], v[14:15], off
	v_lshlrev_b64_e32 v[46:47], 5, v[34:35]
	s_clause 0x2
	global_load_b128 v[34:37], v[14:15], off offset:32
	global_load_b128 v[38:41], v[14:15], off offset:96
	;; [unrolled: 1-line block ×3, first 2 shown]
	v_add_nc_u64_e32 v[70:71], s[4:5], v[46:47]
	s_clause 0x1
	global_load_b128 v[46:49], v[14:15], off offset:16
	global_load_b128 v[50:53], v[14:15], off offset:48
	s_clause 0x1
	global_load_b128 v[54:57], v[70:71], off
	global_load_b128 v[58:61], v[70:71], off offset:16
	s_clause 0x1
	global_load_b128 v[62:65], v[14:15], off offset:80
	global_load_b128 v[66:69], v[14:15], off offset:112
	s_wait_xcnt 0x0
	v_add_nc_u64_e32 v[14:15], 0x1000, v[14:15]
	s_wait_loadcnt 0x9
	v_xor_b32_e32 v70, 0x80000000, v33
	s_wait_loadcnt 0x8
	v_dual_mov_b32 v71, v32 :: v_dual_mov_b32 v73, v36
	v_xor_b32_e32 v72, 0x80000000, v37
	s_wait_loadcnt 0x6
	v_xor_b32_e32 v74, 0x80000000, v45
	v_dual_mov_b32 v75, v44 :: v_dual_mov_b32 v77, v40
	v_xor_b32_e32 v76, 0x80000000, v41
	s_wait_loadcnt 0x5
	v_xor_b32_e32 v78, 0x80000000, v49
	s_wait_loadcnt 0x4
	v_dual_mov_b32 v79, v48 :: v_dual_mov_b32 v81, v52
	s_wait_loadcnt 0x3
	v_pk_fma_f32 v[22:23], v[30:31], v[54:55], v[22:23] op_sel_hi:[1,0,1]
	v_pk_fma_f32 v[18:19], v[32:33], v[54:55], v[18:19] op_sel_hi:[1,0,1]
	;; [unrolled: 1-line block ×4, first 2 shown]
	v_xor_b32_e32 v80, 0x80000000, v53
	v_pk_fma_f32 v[22:23], v[30:31], v[54:55], v[22:23] op_sel:[1,1,0] op_sel_hi:[0,1,1] neg_lo:[1,0,0]
	v_pk_fma_f32 v[18:19], v[70:71], v[54:55], v[18:19] op_sel:[0,1,0]
	v_pk_fma_f32 v[20:21], v[46:47], v[54:55], v[20:21] op_sel:[1,1,0] op_sel_hi:[0,1,1] neg_lo:[1,0,0]
	v_pk_fma_f32 v[16:17], v[78:79], v[54:55], v[16:17] op_sel:[0,1,0]
	s_wait_loadcnt 0x1
	v_dual_mov_b32 v30, v57 :: v_dual_mov_b32 v33, v64
	v_pk_fma_f32 v[22:23], v[34:35], v[56:57], v[22:23] op_sel_hi:[1,0,1]
	v_pk_fma_f32 v[18:19], v[36:37], v[56:57], v[18:19] op_sel_hi:[1,0,1]
	;; [unrolled: 1-line block ×4, first 2 shown]
	v_xor_b32_e32 v32, 0x80000000, v65
	v_pk_fma_f32 v[22:23], v[34:35], v[30:31], v[22:23] op_sel:[1,0,0] op_sel_hi:[0,0,1] neg_lo:[1,0,0]
	v_pk_fma_f32 v[18:19], v[72:73], v[30:31], v[18:19] op_sel_hi:[1,0,1]
	v_pk_fma_f32 v[20:21], v[50:51], v[30:31], v[20:21] op_sel:[1,0,0] op_sel_hi:[0,0,1] neg_lo:[1,0,0]
	v_pk_fma_f32 v[16:17], v[80:81], v[30:31], v[16:17] op_sel_hi:[1,0,1]
	s_wait_loadcnt 0x0
	v_xor_b32_e32 v30, 0x80000000, v69
	v_pk_fma_f32 v[22:23], v[42:43], v[58:59], v[22:23] op_sel_hi:[1,0,1]
	v_pk_fma_f32 v[18:19], v[44:45], v[58:59], v[18:19] op_sel_hi:[1,0,1]
	;; [unrolled: 1-line block ×4, first 2 shown]
	v_mov_b32_e32 v31, v68
	v_pk_fma_f32 v[22:23], v[42:43], v[58:59], v[22:23] op_sel:[1,1,0] op_sel_hi:[0,1,1] neg_lo:[1,0,0]
	v_pk_fma_f32 v[18:19], v[74:75], v[58:59], v[18:19] op_sel:[0,1,0]
	v_pk_fma_f32 v[20:21], v[62:63], v[58:59], v[20:21] op_sel:[1,1,0] op_sel_hi:[0,1,1] neg_lo:[1,0,0]
	v_pk_fma_f32 v[16:17], v[32:33], v[58:59], v[16:17] op_sel:[0,1,0]
	v_mov_b32_e32 v32, v61
	v_pk_fma_f32 v[22:23], v[38:39], v[60:61], v[22:23] op_sel_hi:[1,0,1]
	v_pk_fma_f32 v[18:19], v[40:41], v[60:61], v[18:19] op_sel_hi:[1,0,1]
	;; [unrolled: 1-line block ×4, first 2 shown]
	s_delay_alu instid0(VALU_DEP_4) | instskip(NEXT) | instid1(VALU_DEP_4)
	v_pk_fma_f32 v[22:23], v[38:39], v[32:33], v[22:23] op_sel:[1,0,0] op_sel_hi:[0,0,1] neg_lo:[1,0,0]
	v_pk_fma_f32 v[18:19], v[76:77], v[32:33], v[18:19] op_sel_hi:[1,0,1]
	s_delay_alu instid0(VALU_DEP_4) | instskip(NEXT) | instid1(VALU_DEP_4)
	v_pk_fma_f32 v[20:21], v[66:67], v[32:33], v[20:21] op_sel:[1,0,0] op_sel_hi:[0,0,1] neg_lo:[1,0,0]
	v_pk_fma_f32 v[16:17], v[30:31], v[32:33], v[16:17] op_sel_hi:[1,0,1]
	s_and_not1_b32 exec_lo, exec_lo, s7
	s_cbranch_execnz .LBB53_27
; %bb.28:
	s_or_b32 exec_lo, exec_lo, s7
.LBB53_29:
	s_delay_alu instid0(SALU_CYCLE_1) | instskip(NEXT) | instid1(SALU_CYCLE_1)
	s_or_b32 exec_lo, exec_lo, s3
	s_mov_b32 s3, exec_lo
	v_cmpx_lt_u64_e32 0x5f, v[24:25]
	s_cbranch_execz .LBB53_33
; %bb.30:
	v_lshl_add_u64 v[24:25], v[10:11], 3, s[8:9]
	s_mov_b32 s7, 0
	s_delay_alu instid0(VALU_DEP_1)
	v_add_nc_u64_e32 v[24:25], 0x200, v[24:25]
.LBB53_31:                              ; =>This Inner Loop Header: Depth=1
	global_load_b64 v[114:115], v[24:25], off offset:-512
	s_clause 0xd
	global_load_b128 v[26:29], v[14:15], off
	global_load_b128 v[30:33], v[14:15], off offset:16
	global_load_b128 v[34:37], v[14:15], off offset:48
	;; [unrolled: 1-line block ×13, first 2 shown]
	s_clause 0x2
	global_load_b64 v[122:123], v[24:25], off offset:-256
	global_load_b64 v[124:125], v[24:25], off
	global_load_b64 v[126:127], v[24:25], off offset:256
	s_clause 0x7
	global_load_b128 v[82:85], v[14:15], off offset:4176
	global_load_b128 v[86:89], v[14:15], off offset:4160
	;; [unrolled: 1-line block ×8, first 2 shown]
	v_add_nc_u64_e32 v[10:11], 0x80, v[10:11]
	s_wait_xcnt 0x8
	v_add_nc_u64_e32 v[24:25], 0x400, v[24:25]
	s_delay_alu instid0(VALU_DEP_2)
	v_cmp_ge_i64_e32 vcc_lo, v[10:11], v[12:13]
	s_or_b32 s7, vcc_lo, s7
	s_wait_loadcnt 0x19
	v_sub_nc_u64_e32 v[114:115], v[114:115], v[8:9]
	s_wait_loadcnt 0x18
	v_xor_b32_e32 v128, 0x80000000, v29
	v_mov_b32_e32 v129, v28
	s_delay_alu instid0(VALU_DEP_3) | instskip(NEXT) | instid1(VALU_DEP_1)
	v_lshlrev_b64_e32 v[114:115], 5, v[114:115]
	v_add_nc_u64_e32 v[130:131], s[4:5], v[114:115]
	s_wait_loadcnt 0xa
	v_sub_nc_u64_e32 v[122:123], v[122:123], v[8:9]
	s_wait_loadcnt 0x9
	v_sub_nc_u64_e32 v[124:125], v[124:125], v[8:9]
	;; [unrolled: 2-line block ×3, first 2 shown]
	s_clause 0x1
	global_load_b128 v[114:117], v[130:131], off
	global_load_b128 v[118:121], v[130:131], off offset:16
	v_lshlrev_b64_e32 v[122:123], 5, v[122:123]
	v_lshlrev_b64_e32 v[124:125], 5, v[124:125]
	s_delay_alu instid0(VALU_DEP_2) | instskip(NEXT) | instid1(VALU_DEP_2)
	v_add_nc_u64_e32 v[122:123], s[4:5], v[122:123]
	v_add_nc_u64_e32 v[124:125], s[4:5], v[124:125]
	s_wait_loadcnt 0x1
	v_pk_fma_f32 v[22:23], v[26:27], v[114:115], v[22:23] op_sel_hi:[1,0,1]
	s_wait_xcnt 0x0
	v_pk_fma_f32 v[130:131], v[28:29], v[114:115], v[18:19] op_sel_hi:[1,0,1]
	v_pk_fma_f32 v[18:19], v[30:31], v[114:115], v[20:21] op_sel_hi:[1,0,1]
	;; [unrolled: 1-line block ×3, first 2 shown]
	v_pk_fma_f32 v[132:133], v[26:27], v[114:115], v[22:23] op_sel:[1,1,0] op_sel_hi:[0,1,1] neg_lo:[1,0,0]
	v_xor_b32_e32 v22, 0x80000000, v33
	v_mov_b32_e32 v23, v32
	v_pk_fma_f32 v[30:31], v[30:31], v[114:115], v[18:19] op_sel:[1,1,0] op_sel_hi:[0,1,1] neg_lo:[1,0,0]
	v_pk_fma_f32 v[32:33], v[128:129], v[114:115], v[130:131] op_sel:[0,1,0]
	v_pk_fma_f32 v[128:129], v[38:39], v[116:117], v[132:133] op_sel_hi:[1,0,1]
	v_xor_b32_e32 v132, 0x80000000, v41
	v_pk_fma_f32 v[114:115], v[22:23], v[114:115], v[20:21] op_sel:[0,1,0]
	v_pk_fma_f32 v[30:31], v[34:35], v[116:117], v[30:31] op_sel_hi:[1,0,1]
	v_pk_fma_f32 v[130:131], v[40:41], v[116:117], v[32:33] op_sel_hi:[1,0,1]
	v_mov_b32_e32 v133, v40
	v_xor_b32_e32 v40, 0x80000000, v37
	v_pk_fma_f32 v[114:115], v[36:37], v[116:117], v[114:115] op_sel_hi:[1,0,1]
	v_dual_mov_b32 v116, v117 :: v_dual_mov_b32 v41, v36
	s_clause 0x2
	global_load_b128 v[26:29], v[14:15], off offset:8272
	global_load_b128 v[16:19], v[14:15], off offset:8256
	;; [unrolled: 1-line block ×3, first 2 shown]
	v_pk_fma_f32 v[38:39], v[38:39], v[116:117], v[128:129] op_sel:[1,0,0] op_sel_hi:[0,0,1] neg_lo:[1,0,0]
	v_pk_fma_f32 v[130:131], v[132:133], v[116:117], v[130:131] op_sel_hi:[1,0,1]
	v_pk_fma_f32 v[128:129], v[34:35], v[116:117], v[30:31] op_sel:[1,0,0] op_sel_hi:[0,0,1] neg_lo:[1,0,0]
	v_pk_fma_f32 v[114:115], v[40:41], v[116:117], v[114:115] op_sel_hi:[1,0,1]
	v_xor_b32_e32 v116, 0x80000000, v57
	v_mov_b32_e32 v117, v56
	s_wait_loadcnt 0x3
	v_pk_fma_f32 v[38:39], v[54:55], v[118:119], v[38:39] op_sel_hi:[1,0,1]
	v_pk_fma_f32 v[56:57], v[56:57], v[118:119], v[130:131] op_sel_hi:[1,0,1]
	v_xor_b32_e32 v130, 0x80000000, v53
	v_mov_b32_e32 v131, v52
	v_pk_fma_f32 v[114:115], v[52:53], v[118:119], v[114:115] op_sel_hi:[1,0,1]
	v_pk_fma_f32 v[54:55], v[54:55], v[118:119], v[38:39] op_sel:[1,1,0] op_sel_hi:[0,1,1] neg_lo:[1,0,0]
	v_pk_fma_f32 v[56:57], v[116:117], v[118:119], v[56:57] op_sel:[0,1,0]
	v_mov_b32_e32 v117, v48
	v_pk_fma_f32 v[128:129], v[50:51], v[118:119], v[128:129] op_sel_hi:[1,0,1]
	v_pk_fma_f32 v[114:115], v[130:131], v[118:119], v[114:115] op_sel:[0,1,0]
	v_pk_fma_f32 v[130:131], v[46:47], v[120:121], v[54:55] op_sel_hi:[1,0,1]
	v_pk_fma_f32 v[132:133], v[48:49], v[120:121], v[56:57] op_sel_hi:[1,0,1]
	global_load_b128 v[54:57], v[122:123], off
	v_pk_fma_f32 v[128:129], v[50:51], v[118:119], v[128:129] op_sel:[1,1,0] op_sel_hi:[0,1,1] neg_lo:[1,0,0]
	v_mov_b32_e32 v118, v121
	v_xor_b32_e32 v116, 0x80000000, v49
	v_pk_fma_f32 v[114:115], v[44:45], v[120:121], v[114:115] op_sel_hi:[1,0,1]
	global_load_b128 v[34:37], v[14:15], off offset:12288
	v_pk_fma_f32 v[128:129], v[42:43], v[120:121], v[128:129] op_sel_hi:[1,0,1]
	v_pk_fma_f32 v[120:121], v[46:47], v[118:119], v[130:131] op_sel:[1,0,0] op_sel_hi:[0,0,1] neg_lo:[1,0,0]
	global_load_b128 v[46:49], v[122:123], off offset:16
	s_wait_xcnt 0x0
	v_xor_b32_e32 v122, 0x80000000, v45
	v_mov_b32_e32 v123, v44
	v_pk_fma_f32 v[128:129], v[42:43], v[118:119], v[128:129] op_sel:[1,0,0] op_sel_hi:[0,0,1] neg_lo:[1,0,0]
	v_pk_fma_f32 v[130:131], v[116:117], v[118:119], v[132:133] op_sel_hi:[1,0,1]
	v_mov_b32_e32 v133, v72
	global_load_b128 v[42:45], v[14:15], off offset:12304
	v_pk_fma_f32 v[118:119], v[122:123], v[118:119], v[114:115] op_sel_hi:[1,0,1]
	global_load_b128 v[114:117], v[124:125], off
	v_xor_b32_e32 v132, 0x80000000, v73
	s_clause 0x2
	global_load_b128 v[30:33], v[14:15], off offset:12320
	global_load_b128 v[50:53], v[14:15], off offset:12352
	;; [unrolled: 1-line block ×3, first 2 shown]
	s_wait_loadcnt 0x7
	v_pk_fma_f32 v[120:121], v[70:71], v[54:55], v[120:121] op_sel_hi:[1,0,1]
	v_pk_fma_f32 v[118:119], v[68:69], v[54:55], v[118:119] op_sel_hi:[1,0,1]
	;; [unrolled: 1-line block ×3, first 2 shown]
	v_xor_b32_e32 v130, 0x80000000, v65
	v_mov_b32_e32 v131, v64
	v_pk_fma_f32 v[122:123], v[70:71], v[54:55], v[120:121] op_sel:[1,1,0] op_sel_hi:[0,1,1] neg_lo:[1,0,0]
	v_lshlrev_b64_e32 v[70:71], 5, v[126:127]
	v_pk_fma_f32 v[126:127], v[66:67], v[54:55], v[128:129] op_sel_hi:[1,0,1]
	v_xor_b32_e32 v120, 0x80000000, v69
	v_mov_b32_e32 v121, v68
	v_pk_fma_f32 v[128:129], v[132:133], v[54:55], v[72:73] op_sel:[0,1,0]
	v_pk_fma_f32 v[122:123], v[62:63], v[56:57], v[122:123] op_sel_hi:[1,0,1]
	v_pk_fma_f32 v[126:127], v[66:67], v[54:55], v[126:127] op_sel:[1,1,0] op_sel_hi:[0,1,1] neg_lo:[1,0,0]
	global_load_b128 v[66:69], v[124:125], off offset:16
	s_wait_xcnt 0x0
	v_add_nc_u64_e32 v[124:125], s[4:5], v[70:71]
	v_pk_fma_f32 v[54:55], v[120:121], v[54:55], v[118:119] op_sel:[0,1,0]
	v_pk_fma_f32 v[64:65], v[64:65], v[56:57], v[128:129] op_sel_hi:[1,0,1]
	v_mov_b32_e32 v128, v57
	s_clause 0x1
	global_load_b128 v[70:73], v[124:125], off offset:16
	global_load_b128 v[118:121], v[124:125], off
	s_wait_xcnt 0x0
	v_pk_fma_f32 v[124:125], v[58:59], v[56:57], v[126:127] op_sel_hi:[1,0,1]
	v_pk_fma_f32 v[126:127], v[60:61], v[56:57], v[54:55] op_sel_hi:[1,0,1]
	global_load_b128 v[54:57], v[14:15], off offset:12368
	v_pk_fma_f32 v[62:63], v[62:63], v[128:129], v[122:123] op_sel:[1,0,0] op_sel_hi:[0,0,1] neg_lo:[1,0,0]
	v_xor_b32_e32 v122, 0x80000000, v61
	v_mov_b32_e32 v123, v60
	v_pk_fma_f32 v[124:125], v[58:59], v[128:129], v[124:125] op_sel:[1,0,0] op_sel_hi:[0,0,1] neg_lo:[1,0,0]
	global_load_b128 v[58:61], v[14:15], off offset:12400
	v_pk_fma_f32 v[64:65], v[130:131], v[128:129], v[64:65] op_sel_hi:[1,0,1]
	v_mov_b32_e32 v131, v88
	v_pk_fma_f32 v[122:123], v[122:123], v[128:129], v[126:127] op_sel_hi:[1,0,1]
	v_xor_b32_e32 v130, 0x80000000, v89
	v_xor_b32_e32 v126, 0x80000000, v85
	v_dual_mov_b32 v127, v84 :: v_dual_mov_b32 v129, v80
	s_wait_loadcnt 0xa
	v_pk_fma_f32 v[62:63], v[86:87], v[46:47], v[62:63] op_sel_hi:[1,0,1]
	v_pk_fma_f32 v[64:65], v[88:89], v[46:47], v[64:65] op_sel_hi:[1,0,1]
	;; [unrolled: 1-line block ×4, first 2 shown]
	v_xor_b32_e32 v128, 0x80000000, v81
	v_pk_fma_f32 v[62:63], v[86:87], v[46:47], v[62:63] op_sel:[1,1,0] op_sel_hi:[0,1,1] neg_lo:[1,0,0]
	v_pk_fma_f32 v[64:65], v[130:131], v[46:47], v[64:65] op_sel:[0,1,0]
	v_pk_fma_f32 v[82:83], v[82:83], v[46:47], v[124:125] op_sel:[1,1,0] op_sel_hi:[0,1,1] neg_lo:[1,0,0]
	v_pk_fma_f32 v[46:47], v[126:127], v[46:47], v[84:85] op_sel:[0,1,0]
	v_xor_b32_e32 v86, 0x80000000, v77
	v_dual_mov_b32 v87, v76 :: v_dual_mov_b32 v89, v104
	v_mov_b32_e32 v85, v92
	v_pk_fma_f32 v[62:63], v[78:79], v[48:49], v[62:63] op_sel_hi:[1,0,1]
	v_pk_fma_f32 v[64:65], v[80:81], v[48:49], v[64:65] op_sel_hi:[1,0,1]
	v_pk_fma_f32 v[80:81], v[74:75], v[48:49], v[82:83] op_sel_hi:[1,0,1]
	v_pk_fma_f32 v[46:47], v[76:77], v[48:49], v[46:47] op_sel_hi:[1,0,1]
	v_mov_b32_e32 v48, v49
	v_xor_b32_e32 v88, 0x80000000, v105
	v_xor_b32_e32 v122, 0x80000000, v101
	v_dual_mov_b32 v123, v100 :: v_dual_mov_b32 v125, v96
	s_delay_alu instid0(VALU_DEP_4)
	v_pk_fma_f32 v[62:63], v[78:79], v[48:49], v[62:63] op_sel:[1,0,0] op_sel_hi:[0,0,1] neg_lo:[1,0,0]
	v_pk_fma_f32 v[74:75], v[74:75], v[48:49], v[80:81] op_sel:[1,0,0] op_sel_hi:[0,0,1] neg_lo:[1,0,0]
	v_pk_fma_f32 v[64:65], v[128:129], v[48:49], v[64:65] op_sel_hi:[1,0,1]
	v_pk_fma_f32 v[46:47], v[86:87], v[48:49], v[46:47] op_sel_hi:[1,0,1]
	v_xor_b32_e32 v124, 0x80000000, v97
	s_wait_loadcnt 0x8
	v_pk_fma_f32 v[48:49], v[102:103], v[114:115], v[62:63] op_sel_hi:[1,0,1]
	v_xor_b32_e32 v84, 0x80000000, v93
	v_pk_fma_f32 v[62:63], v[104:105], v[114:115], v[64:65] op_sel_hi:[1,0,1]
	v_pk_fma_f32 v[64:65], v[98:99], v[114:115], v[74:75] op_sel_hi:[1,0,1]
	;; [unrolled: 1-line block ×3, first 2 shown]
	v_pk_fma_f32 v[48:49], v[102:103], v[114:115], v[48:49] op_sel:[1,1,0] op_sel_hi:[0,1,1] neg_lo:[1,0,0]
	v_dual_mov_b32 v77, v28 :: v_dual_mov_b32 v86, v117
	v_pk_fma_f32 v[62:63], v[88:89], v[114:115], v[62:63] op_sel:[0,1,0]
	v_pk_fma_f32 v[64:65], v[98:99], v[114:115], v[64:65] op_sel:[1,1,0] op_sel_hi:[0,1,1] neg_lo:[1,0,0]
	v_pk_fma_f32 v[46:47], v[122:123], v[114:115], v[46:47] op_sel:[0,1,0]
	v_pk_fma_f32 v[48:49], v[94:95], v[116:117], v[48:49] op_sel_hi:[1,0,1]
	v_xor_b32_e32 v130, 0x80000000, v19
	v_pk_fma_f32 v[62:63], v[96:97], v[116:117], v[62:63] op_sel_hi:[1,0,1]
	v_pk_fma_f32 v[64:65], v[90:91], v[116:117], v[64:65] op_sel_hi:[1,0,1]
	;; [unrolled: 1-line block ×3, first 2 shown]
	v_pk_fma_f32 v[48:49], v[94:95], v[86:87], v[48:49] op_sel:[1,0,0] op_sel_hi:[0,0,1] neg_lo:[1,0,0]
	v_xor_b32_e32 v76, 0x80000000, v29
	v_pk_fma_f32 v[62:63], v[124:125], v[86:87], v[62:63] op_sel_hi:[1,0,1]
	v_pk_fma_f32 v[64:65], v[90:91], v[86:87], v[64:65] op_sel:[1,0,0] op_sel_hi:[0,0,1] neg_lo:[1,0,0]
	v_pk_fma_f32 v[46:47], v[84:85], v[86:87], v[46:47] op_sel_hi:[1,0,1]
	v_dual_mov_b32 v131, v18 :: v_dual_mov_b32 v79, v112
	v_xor_b32_e32 v78, 0x80000000, v113
	v_xor_b32_e32 v74, 0x80000000, v109
	v_dual_mov_b32 v75, v108 :: v_dual_mov_b32 v85, v44
	v_xor_b32_e32 v82, 0x80000000, v37
	s_wait_loadcnt 0x7
	v_dual_mov_b32 v83, v36 :: v_dual_mov_b32 v81, v32
	v_xor_b32_e32 v84, 0x80000000, v45
	v_xor_b32_e32 v80, 0x80000000, v33
	s_wait_loadcnt 0x6
	v_xor_b32_e32 v126, 0x80000000, v53
	s_wait_loadcnt 0x5
	v_dual_mov_b32 v127, v52 :: v_dual_mov_b32 v129, v40
	v_xor_b32_e32 v128, 0x80000000, v41
	s_wait_xcnt 0x0
	v_add_nc_u64_e32 v[14:15], 0x4000, v[14:15]
	s_wait_loadcnt 0x4
	v_pk_fma_f32 v[48:49], v[16:17], v[66:67], v[48:49] op_sel_hi:[1,0,1]
	v_pk_fma_f32 v[18:19], v[18:19], v[66:67], v[62:63] op_sel_hi:[1,0,1]
	;; [unrolled: 1-line block ×4, first 2 shown]
	v_mov_b32_e32 v46, v69
	v_pk_fma_f32 v[16:17], v[16:17], v[66:67], v[48:49] op_sel:[1,1,0] op_sel_hi:[0,1,1] neg_lo:[1,0,0]
	v_pk_fma_f32 v[18:19], v[130:131], v[66:67], v[18:19] op_sel:[0,1,0]
	v_pk_fma_f32 v[26:27], v[26:27], v[66:67], v[62:63] op_sel:[1,1,0] op_sel_hi:[0,1,1] neg_lo:[1,0,0]
	v_pk_fma_f32 v[28:29], v[76:77], v[66:67], v[28:29] op_sel:[0,1,0]
	v_mov_b32_e32 v49, v22
	v_pk_fma_f32 v[16:17], v[110:111], v[68:69], v[16:17] op_sel_hi:[1,0,1]
	v_pk_fma_f32 v[18:19], v[112:113], v[68:69], v[18:19] op_sel_hi:[1,0,1]
	;; [unrolled: 1-line block ×4, first 2 shown]
	v_xor_b32_e32 v48, 0x80000000, v23
	v_pk_fma_f32 v[16:17], v[110:111], v[46:47], v[16:17] op_sel:[1,0,0] op_sel_hi:[0,0,1] neg_lo:[1,0,0]
	v_pk_fma_f32 v[18:19], v[78:79], v[46:47], v[18:19] op_sel_hi:[1,0,1]
	v_pk_fma_f32 v[26:27], v[106:107], v[46:47], v[26:27] op_sel:[1,0,0] op_sel_hi:[0,0,1] neg_lo:[1,0,0]
	v_pk_fma_f32 v[28:29], v[74:75], v[46:47], v[28:29] op_sel_hi:[1,0,1]
	s_wait_loadcnt 0x2
	v_pk_fma_f32 v[16:17], v[34:35], v[118:119], v[16:17] op_sel_hi:[1,0,1]
	v_pk_fma_f32 v[18:19], v[36:37], v[118:119], v[18:19] op_sel_hi:[1,0,1]
	;; [unrolled: 1-line block ×4, first 2 shown]
	s_wait_loadcnt 0x1
	v_mov_b32_e32 v37, v56
	v_pk_fma_f32 v[16:17], v[34:35], v[118:119], v[16:17] op_sel:[1,1,0] op_sel_hi:[0,1,1] neg_lo:[1,0,0]
	v_pk_fma_f32 v[18:19], v[82:83], v[118:119], v[18:19] op_sel:[0,1,0]
	v_pk_fma_f32 v[26:27], v[42:43], v[118:119], v[26:27] op_sel:[1,1,0] op_sel_hi:[0,1,1] neg_lo:[1,0,0]
	v_pk_fma_f32 v[28:29], v[84:85], v[118:119], v[28:29] op_sel:[0,1,0]
	v_mov_b32_e32 v34, v121
	v_pk_fma_f32 v[16:17], v[30:31], v[120:121], v[16:17] op_sel_hi:[1,0,1]
	v_pk_fma_f32 v[18:19], v[32:33], v[120:121], v[18:19] op_sel_hi:[1,0,1]
	;; [unrolled: 1-line block ×4, first 2 shown]
	v_xor_b32_e32 v36, 0x80000000, v57
	v_pk_fma_f32 v[16:17], v[30:31], v[34:35], v[16:17] op_sel:[1,0,0] op_sel_hi:[0,0,1] neg_lo:[1,0,0]
	v_pk_fma_f32 v[18:19], v[80:81], v[34:35], v[18:19] op_sel_hi:[1,0,1]
	v_pk_fma_f32 v[20:21], v[20:21], v[34:35], v[26:27] op_sel:[1,0,0] op_sel_hi:[0,0,1] neg_lo:[1,0,0]
	v_pk_fma_f32 v[22:23], v[48:49], v[34:35], v[22:23] op_sel_hi:[1,0,1]
	s_wait_loadcnt 0x0
	v_xor_b32_e32 v26, 0x80000000, v61
	v_pk_fma_f32 v[16:17], v[50:51], v[70:71], v[16:17] op_sel_hi:[1,0,1]
	v_pk_fma_f32 v[18:19], v[52:53], v[70:71], v[18:19] op_sel_hi:[1,0,1]
	;; [unrolled: 1-line block ×4, first 2 shown]
	v_dual_mov_b32 v27, v60 :: v_dual_mov_b32 v28, v73
	v_pk_fma_f32 v[16:17], v[50:51], v[70:71], v[16:17] op_sel:[1,1,0] op_sel_hi:[0,1,1] neg_lo:[1,0,0]
	v_pk_fma_f32 v[18:19], v[126:127], v[70:71], v[18:19] op_sel:[0,1,0]
	v_pk_fma_f32 v[20:21], v[54:55], v[70:71], v[20:21] op_sel:[1,1,0] op_sel_hi:[0,1,1] neg_lo:[1,0,0]
	v_pk_fma_f32 v[22:23], v[36:37], v[70:71], v[22:23] op_sel:[0,1,0]
	s_delay_alu instid0(VALU_DEP_4) | instskip(NEXT) | instid1(VALU_DEP_4)
	v_pk_fma_f32 v[16:17], v[38:39], v[72:73], v[16:17] op_sel_hi:[1,0,1]
	v_pk_fma_f32 v[18:19], v[40:41], v[72:73], v[18:19] op_sel_hi:[1,0,1]
	s_delay_alu instid0(VALU_DEP_4) | instskip(NEXT) | instid1(VALU_DEP_4)
	v_pk_fma_f32 v[20:21], v[58:59], v[72:73], v[20:21] op_sel_hi:[1,0,1]
	v_pk_fma_f32 v[30:31], v[60:61], v[72:73], v[22:23] op_sel_hi:[1,0,1]
	s_delay_alu instid0(VALU_DEP_4) | instskip(NEXT) | instid1(VALU_DEP_4)
	v_pk_fma_f32 v[22:23], v[38:39], v[28:29], v[16:17] op_sel:[1,0,0] op_sel_hi:[0,0,1] neg_lo:[1,0,0]
	v_pk_fma_f32 v[18:19], v[128:129], v[28:29], v[18:19] op_sel_hi:[1,0,1]
	s_delay_alu instid0(VALU_DEP_4) | instskip(NEXT) | instid1(VALU_DEP_4)
	v_pk_fma_f32 v[20:21], v[58:59], v[28:29], v[20:21] op_sel:[1,0,0] op_sel_hi:[0,0,1] neg_lo:[1,0,0]
	v_pk_fma_f32 v[16:17], v[26:27], v[28:29], v[30:31] op_sel_hi:[1,0,1]
	s_and_not1_b32 exec_lo, exec_lo, s7
	s_cbranch_execnz .LBB53_31
; %bb.32:
	s_or_b32 exec_lo, exec_lo, s7
.LBB53_33:
	s_delay_alu instid0(SALU_CYCLE_1)
	s_or_b32 exec_lo, exec_lo, s3
.LBB53_34:
	s_delay_alu instid0(SALU_CYCLE_1)
	s_or_b32 exec_lo, exec_lo, s6
.LBB53_35:
	v_mbcnt_lo_u32_b32 v1, -1, 0
	s_delay_alu instid0(VALU_DEP_1) | instskip(SKIP_1) | instid1(VALU_DEP_1)
	v_xor_b32_e32 v24, 8, v1
	v_xor_b32_e32 v8, 16, v1
	v_cmp_gt_i32_e32 vcc_lo, 32, v8
	v_cndmask_b32_e32 v8, v1, v8, vcc_lo
	s_delay_alu instid0(VALU_DEP_1)
	v_lshlrev_b32_e32 v8, 2, v8
	ds_bpermute_b32 v10, v8, v23
	s_wait_dscnt 0x0
	v_add_f32_e32 v10, v23, v10
	ds_bpermute_b32 v11, v8, v18
	ds_bpermute_b32 v9, v8, v22
	;; [unrolled: 1-line block ×7, first 2 shown]
	s_wait_dscnt 0x6
	v_add_f32_e32 v11, v18, v11
	v_cmp_gt_i32_e32 vcc_lo, 32, v24
	s_wait_dscnt 0x3
	v_dual_add_f32 v9, v22, v9 :: v_dual_add_f32 v15, v16, v15
	s_wait_dscnt 0x1
	v_dual_add_f32 v12, v19, v12 :: v_dual_add_f32 v14, v21, v14
	v_cndmask_b32_e32 v24, v1, v24, vcc_lo
	s_wait_dscnt 0x0
	v_dual_add_f32 v8, v17, v8 :: v_dual_add_f32 v13, v20, v13
	s_delay_alu instid0(VALU_DEP_2)
	v_lshlrev_b32_e32 v24, 2, v24
	ds_bpermute_b32 v16, v24, v9
	ds_bpermute_b32 v17, v24, v10
	;; [unrolled: 1-line block ×8, first 2 shown]
	s_wait_dscnt 0x7
	v_dual_add_f32 v9, v9, v16 :: v_dual_bitop2_b32 v24, 4, v1 bitop3:0x14
	s_delay_alu instid0(VALU_DEP_1)
	v_cmp_gt_i32_e32 vcc_lo, 32, v24
	s_wait_dscnt 0x4
	v_dual_add_f32 v10, v10, v17 :: v_dual_add_f32 v12, v12, v19
	s_wait_dscnt 0x2
	v_dual_add_f32 v13, v13, v20 :: v_dual_add_f32 v14, v14, v21
	s_wait_dscnt 0x1
	v_dual_add_f32 v15, v15, v22 :: v_dual_cndmask_b32 v24, v1, v24
	s_wait_dscnt 0x0
	v_dual_add_f32 v11, v11, v18 :: v_dual_add_f32 v8, v8, v23
	s_delay_alu instid0(VALU_DEP_2)
	v_lshlrev_b32_e32 v24, 2, v24
	ds_bpermute_b32 v16, v24, v9
	ds_bpermute_b32 v17, v24, v10
	;; [unrolled: 1-line block ×8, first 2 shown]
	v_xor_b32_e32 v24, 2, v1
	s_delay_alu instid0(VALU_DEP_1) | instskip(SKIP_4) | instid1(VALU_DEP_2)
	v_cmp_gt_i32_e32 vcc_lo, 32, v24
	v_cndmask_b32_e32 v24, v1, v24, vcc_lo
	s_wait_dscnt 0x6
	v_dual_add_f32 v9, v9, v16 :: v_dual_add_f32 v10, v10, v17
	s_wait_dscnt 0x5
	v_dual_add_f32 v11, v11, v18 :: v_dual_lshlrev_b32 v24, 2, v24
	s_wait_dscnt 0x3
	v_dual_add_f32 v12, v12, v19 :: v_dual_add_f32 v13, v13, v20
	s_wait_dscnt 0x1
	v_dual_add_f32 v14, v14, v21 :: v_dual_add_f32 v15, v15, v22
	s_wait_dscnt 0x0
	v_add_f32_e32 v16, v8, v23
	ds_bpermute_b32 v8, v24, v9
	ds_bpermute_b32 v17, v24, v10
	;; [unrolled: 1-line block ×8, first 2 shown]
	s_wait_dscnt 0x7
	v_dual_add_f32 v8, v9, v8 :: v_dual_bitop2_b32 v24, 1, v1 bitop3:0x14
	s_delay_alu instid0(VALU_DEP_1)
	v_cmp_gt_i32_e32 vcc_lo, 32, v24
	s_wait_dscnt 0x5
	v_dual_add_f32 v9, v10, v17 :: v_dual_add_f32 v10, v11, v18
	s_wait_dscnt 0x3
	v_dual_add_f32 v11, v12, v19 :: v_dual_add_f32 v12, v13, v20
	s_wait_dscnt 0x2
	v_dual_cndmask_b32 v1, v1, v24, vcc_lo :: v_dual_add_f32 v13, v14, v21
	s_wait_dscnt 0x1
	v_add_f32_e32 v15, v15, v22
	v_cmp_eq_u32_e32 vcc_lo, 31, v0
	s_wait_dscnt 0x0
	v_dual_add_f32 v1, v16, v23 :: v_dual_lshlrev_b32 v24, 2, v1
	ds_bpermute_b32 v14, v24, v8
	ds_bpermute_b32 v17, v24, v9
	;; [unrolled: 1-line block ×8, first 2 shown]
	s_and_b32 exec_lo, exec_lo, vcc_lo
	s_cbranch_execz .LBB53_6
; %bb.36:
	s_load_b64 s[0:1], s[0:1], 0x58
	s_wait_dscnt 0x6
	v_dual_add_f32 v0, v8, v14 :: v_dual_add_f32 v20, v9, v17
	s_wait_dscnt 0x4
	v_dual_add_f32 v8, v10, v18 :: v_dual_add_f32 v18, v11, v19
	;; [unrolled: 2-line block ×3, first 2 shown]
	s_wait_dscnt 0x1
	v_add_f32_e32 v12, v15, v23
	v_cmp_eq_f32_e32 vcc_lo, 0, v4
	v_lshlrev_b64_e32 v[22:23], 5, v[6:7]
	s_wait_dscnt 0x0
	v_add_f32_e32 v6, v1, v16
	v_xor_b32_e32 v16, 0x80000000, v3
	s_xor_b32 s2, s2, -1
	s_delay_alu instid0(SALU_CYCLE_1) | instskip(NEXT) | instid1(SALU_CYCLE_1)
	s_and_b32 s2, vcc_lo, s2
	s_and_saveexec_b32 s3, s2
	s_delay_alu instid0(SALU_CYCLE_1)
	s_xor_b32 s2, exec_lo, s3
	s_cbranch_execz .LBB53_38
; %bb.37:
	v_mov_b32_e32 v17, v2
	s_delay_alu instid0(VALU_DEP_1)
	v_pk_mul_f32 v[4:5], v[20:21], v[16:17] op_sel_hi:[0,1]
	v_pk_mul_f32 v[18:19], v[18:19], v[16:17] op_sel_hi:[0,1]
	;; [unrolled: 1-line block ×4, first 2 shown]
	s_wait_kmcnt 0x0
	v_add_nc_u64_e32 v[20:21], s[0:1], v[22:23]
	v_pk_fma_f32 v[4:5], v[2:3], v[0:1], v[4:5] op_sel_hi:[1,0,1]
	v_pk_fma_f32 v[6:7], v[2:3], v[8:9], v[18:19] op_sel_hi:[1,0,1]
	v_pk_fma_f32 v[0:1], v[2:3], v[10:11], v[14:15] op_sel_hi:[1,0,1]
	v_pk_fma_f32 v[2:3], v[2:3], v[12:13], v[16:17] op_sel_hi:[1,0,1]
                                        ; implicit-def: $vgpr8
                                        ; implicit-def: $vgpr18
                                        ; implicit-def: $vgpr10
                                        ; implicit-def: $vgpr14
                                        ; implicit-def: $vgpr12
                                        ; implicit-def: $vgpr16
                                        ; implicit-def: $vgpr22_vgpr23
	s_clause 0x1
	global_store_b128 v[20:21], v[4:7], off
	global_store_b128 v[20:21], v[0:3], off offset:16
                                        ; implicit-def: $vgpr0
                                        ; implicit-def: $vgpr20
                                        ; implicit-def: $vgpr6
                                        ; implicit-def: $vgpr2_vgpr3
                                        ; implicit-def: $vgpr4_vgpr5
.LBB53_38:
	s_wait_xcnt 0x0
	s_and_not1_saveexec_b32 s2, s2
	s_cbranch_execz .LBB53_6
; %bb.39:
	s_wait_kmcnt 0x0
	v_add_nc_u64_e32 v[30:31], s[0:1], v[22:23]
	v_dual_mov_b32 v17, v2 :: v_dual_mov_b32 v33, v4
	v_xor_b32_e32 v32, 0x80000000, v5
	s_clause 0x1
	global_load_b128 v[22:25], v[30:31], off
	global_load_b128 v[26:29], v[30:31], off offset:16
	v_pk_mul_f32 v[20:21], v[20:21], v[16:17] op_sel_hi:[0,1]
	v_pk_mul_f32 v[18:19], v[18:19], v[16:17] op_sel_hi:[0,1]
	;; [unrolled: 1-line block ×4, first 2 shown]
	s_delay_alu instid0(VALU_DEP_4) | instskip(NEXT) | instid1(VALU_DEP_4)
	v_pk_fma_f32 v[0:1], v[2:3], v[0:1], v[20:21] op_sel_hi:[1,0,1]
	v_pk_fma_f32 v[8:9], v[2:3], v[8:9], v[18:19] op_sel_hi:[1,0,1]
	s_delay_alu instid0(VALU_DEP_4) | instskip(NEXT) | instid1(VALU_DEP_4)
	v_pk_fma_f32 v[10:11], v[2:3], v[10:11], v[14:15] op_sel_hi:[1,0,1]
	v_pk_fma_f32 v[2:3], v[2:3], v[12:13], v[6:7] op_sel_hi:[1,0,1]
	s_wait_loadcnt 0x1
	v_pk_fma_f32 v[0:1], v[4:5], v[22:23], v[0:1] op_sel_hi:[1,0,1]
	v_pk_fma_f32 v[6:7], v[4:5], v[24:25], v[8:9] op_sel_hi:[1,0,1]
	s_wait_loadcnt 0x0
	v_dual_mov_b32 v8, v25 :: v_dual_mov_b32 v14, v29
	v_pk_fma_f32 v[10:11], v[4:5], v[26:27], v[10:11] op_sel_hi:[1,0,1]
	v_pk_fma_f32 v[12:13], v[4:5], v[28:29], v[2:3] op_sel_hi:[1,0,1]
	v_pk_fma_f32 v[0:1], v[32:33], v[22:23], v[0:1] op_sel:[0,1,0]
	s_delay_alu instid0(VALU_DEP_4) | instskip(NEXT) | instid1(VALU_DEP_4)
	v_pk_fma_f32 v[2:3], v[32:33], v[8:9], v[6:7] op_sel_hi:[1,0,1]
	v_pk_fma_f32 v[4:5], v[32:33], v[26:27], v[10:11] op_sel:[0,1,0]
	s_delay_alu instid0(VALU_DEP_4)
	v_pk_fma_f32 v[6:7], v[32:33], v[14:15], v[12:13] op_sel_hi:[1,0,1]
	s_clause 0x1
	global_store_b128 v[30:31], v[0:3], off
	global_store_b128 v[30:31], v[4:7], off offset:16
	s_sendmsg sendmsg(MSG_DEALLOC_VGPRS)
	s_endpgm
	.section	.rodata,"a",@progbits
	.p2align	6, 0x0
	.amdhsa_kernel _ZN9rocsparseL18bsrxmvn_4x4_kernelILj128ELj32E21rocsparse_complex_numIfEllS2_S2_S2_EEvT3_20rocsparse_direction_NS_24const_host_device_scalarIT1_EES3_PKS3_PKT2_SC_S9_PKT4_PKT5_S7_PT6_21rocsparse_index_base_b
		.amdhsa_group_segment_fixed_size 0
		.amdhsa_private_segment_fixed_size 0
		.amdhsa_kernarg_size 104
		.amdhsa_user_sgpr_count 2
		.amdhsa_user_sgpr_dispatch_ptr 0
		.amdhsa_user_sgpr_queue_ptr 0
		.amdhsa_user_sgpr_kernarg_segment_ptr 1
		.amdhsa_user_sgpr_dispatch_id 0
		.amdhsa_user_sgpr_kernarg_preload_length 0
		.amdhsa_user_sgpr_kernarg_preload_offset 0
		.amdhsa_user_sgpr_private_segment_size 0
		.amdhsa_wavefront_size32 1
		.amdhsa_uses_dynamic_stack 0
		.amdhsa_enable_private_segment 0
		.amdhsa_system_sgpr_workgroup_id_x 1
		.amdhsa_system_sgpr_workgroup_id_y 0
		.amdhsa_system_sgpr_workgroup_id_z 0
		.amdhsa_system_sgpr_workgroup_info 0
		.amdhsa_system_vgpr_workitem_id 0
		.amdhsa_next_free_vgpr 160
		.amdhsa_next_free_sgpr 14
		.amdhsa_named_barrier_count 0
		.amdhsa_reserve_vcc 1
		.amdhsa_float_round_mode_32 0
		.amdhsa_float_round_mode_16_64 0
		.amdhsa_float_denorm_mode_32 3
		.amdhsa_float_denorm_mode_16_64 3
		.amdhsa_fp16_overflow 0
		.amdhsa_memory_ordered 1
		.amdhsa_forward_progress 1
		.amdhsa_inst_pref_size 64
		.amdhsa_round_robin_scheduling 0
		.amdhsa_exception_fp_ieee_invalid_op 0
		.amdhsa_exception_fp_denorm_src 0
		.amdhsa_exception_fp_ieee_div_zero 0
		.amdhsa_exception_fp_ieee_overflow 0
		.amdhsa_exception_fp_ieee_underflow 0
		.amdhsa_exception_fp_ieee_inexact 0
		.amdhsa_exception_int_div_zero 0
	.end_amdhsa_kernel
	.section	.text._ZN9rocsparseL18bsrxmvn_4x4_kernelILj128ELj32E21rocsparse_complex_numIfEllS2_S2_S2_EEvT3_20rocsparse_direction_NS_24const_host_device_scalarIT1_EES3_PKS3_PKT2_SC_S9_PKT4_PKT5_S7_PT6_21rocsparse_index_base_b,"axG",@progbits,_ZN9rocsparseL18bsrxmvn_4x4_kernelILj128ELj32E21rocsparse_complex_numIfEllS2_S2_S2_EEvT3_20rocsparse_direction_NS_24const_host_device_scalarIT1_EES3_PKS3_PKT2_SC_S9_PKT4_PKT5_S7_PT6_21rocsparse_index_base_b,comdat
.Lfunc_end53:
	.size	_ZN9rocsparseL18bsrxmvn_4x4_kernelILj128ELj32E21rocsparse_complex_numIfEllS2_S2_S2_EEvT3_20rocsparse_direction_NS_24const_host_device_scalarIT1_EES3_PKS3_PKT2_SC_S9_PKT4_PKT5_S7_PT6_21rocsparse_index_base_b, .Lfunc_end53-_ZN9rocsparseL18bsrxmvn_4x4_kernelILj128ELj32E21rocsparse_complex_numIfEllS2_S2_S2_EEvT3_20rocsparse_direction_NS_24const_host_device_scalarIT1_EES3_PKS3_PKT2_SC_S9_PKT4_PKT5_S7_PT6_21rocsparse_index_base_b
                                        ; -- End function
	.set _ZN9rocsparseL18bsrxmvn_4x4_kernelILj128ELj32E21rocsparse_complex_numIfEllS2_S2_S2_EEvT3_20rocsparse_direction_NS_24const_host_device_scalarIT1_EES3_PKS3_PKT2_SC_S9_PKT4_PKT5_S7_PT6_21rocsparse_index_base_b.num_vgpr, 160
	.set _ZN9rocsparseL18bsrxmvn_4x4_kernelILj128ELj32E21rocsparse_complex_numIfEllS2_S2_S2_EEvT3_20rocsparse_direction_NS_24const_host_device_scalarIT1_EES3_PKS3_PKT2_SC_S9_PKT4_PKT5_S7_PT6_21rocsparse_index_base_b.num_agpr, 0
	.set _ZN9rocsparseL18bsrxmvn_4x4_kernelILj128ELj32E21rocsparse_complex_numIfEllS2_S2_S2_EEvT3_20rocsparse_direction_NS_24const_host_device_scalarIT1_EES3_PKS3_PKT2_SC_S9_PKT4_PKT5_S7_PT6_21rocsparse_index_base_b.numbered_sgpr, 14
	.set _ZN9rocsparseL18bsrxmvn_4x4_kernelILj128ELj32E21rocsparse_complex_numIfEllS2_S2_S2_EEvT3_20rocsparse_direction_NS_24const_host_device_scalarIT1_EES3_PKS3_PKT2_SC_S9_PKT4_PKT5_S7_PT6_21rocsparse_index_base_b.num_named_barrier, 0
	.set _ZN9rocsparseL18bsrxmvn_4x4_kernelILj128ELj32E21rocsparse_complex_numIfEllS2_S2_S2_EEvT3_20rocsparse_direction_NS_24const_host_device_scalarIT1_EES3_PKS3_PKT2_SC_S9_PKT4_PKT5_S7_PT6_21rocsparse_index_base_b.private_seg_size, 0
	.set _ZN9rocsparseL18bsrxmvn_4x4_kernelILj128ELj32E21rocsparse_complex_numIfEllS2_S2_S2_EEvT3_20rocsparse_direction_NS_24const_host_device_scalarIT1_EES3_PKS3_PKT2_SC_S9_PKT4_PKT5_S7_PT6_21rocsparse_index_base_b.uses_vcc, 1
	.set _ZN9rocsparseL18bsrxmvn_4x4_kernelILj128ELj32E21rocsparse_complex_numIfEllS2_S2_S2_EEvT3_20rocsparse_direction_NS_24const_host_device_scalarIT1_EES3_PKS3_PKT2_SC_S9_PKT4_PKT5_S7_PT6_21rocsparse_index_base_b.uses_flat_scratch, 1
	.set _ZN9rocsparseL18bsrxmvn_4x4_kernelILj128ELj32E21rocsparse_complex_numIfEllS2_S2_S2_EEvT3_20rocsparse_direction_NS_24const_host_device_scalarIT1_EES3_PKS3_PKT2_SC_S9_PKT4_PKT5_S7_PT6_21rocsparse_index_base_b.has_dyn_sized_stack, 0
	.set _ZN9rocsparseL18bsrxmvn_4x4_kernelILj128ELj32E21rocsparse_complex_numIfEllS2_S2_S2_EEvT3_20rocsparse_direction_NS_24const_host_device_scalarIT1_EES3_PKS3_PKT2_SC_S9_PKT4_PKT5_S7_PT6_21rocsparse_index_base_b.has_recursion, 0
	.set _ZN9rocsparseL18bsrxmvn_4x4_kernelILj128ELj32E21rocsparse_complex_numIfEllS2_S2_S2_EEvT3_20rocsparse_direction_NS_24const_host_device_scalarIT1_EES3_PKS3_PKT2_SC_S9_PKT4_PKT5_S7_PT6_21rocsparse_index_base_b.has_indirect_call, 0
	.section	.AMDGPU.csdata,"",@progbits
; Kernel info:
; codeLenInByte = 8128
; TotalNumSgprs: 16
; NumVgprs: 160
; ScratchSize: 0
; MemoryBound: 0
; FloatMode: 240
; IeeeMode: 1
; LDSByteSize: 0 bytes/workgroup (compile time only)
; SGPRBlocks: 0
; VGPRBlocks: 9
; NumSGPRsForWavesPerEU: 16
; NumVGPRsForWavesPerEU: 160
; NamedBarCnt: 0
; Occupancy: 6
; WaveLimiterHint : 1
; COMPUTE_PGM_RSRC2:SCRATCH_EN: 0
; COMPUTE_PGM_RSRC2:USER_SGPR: 2
; COMPUTE_PGM_RSRC2:TRAP_HANDLER: 0
; COMPUTE_PGM_RSRC2:TGID_X_EN: 1
; COMPUTE_PGM_RSRC2:TGID_Y_EN: 0
; COMPUTE_PGM_RSRC2:TGID_Z_EN: 0
; COMPUTE_PGM_RSRC2:TIDIG_COMP_CNT: 0
	.section	.text._ZN9rocsparseL18bsrxmvn_4x4_kernelILj128ELj64E21rocsparse_complex_numIfEllS2_S2_S2_EEvT3_20rocsparse_direction_NS_24const_host_device_scalarIT1_EES3_PKS3_PKT2_SC_S9_PKT4_PKT5_S7_PT6_21rocsparse_index_base_b,"axG",@progbits,_ZN9rocsparseL18bsrxmvn_4x4_kernelILj128ELj64E21rocsparse_complex_numIfEllS2_S2_S2_EEvT3_20rocsparse_direction_NS_24const_host_device_scalarIT1_EES3_PKS3_PKT2_SC_S9_PKT4_PKT5_S7_PT6_21rocsparse_index_base_b,comdat
	.globl	_ZN9rocsparseL18bsrxmvn_4x4_kernelILj128ELj64E21rocsparse_complex_numIfEllS2_S2_S2_EEvT3_20rocsparse_direction_NS_24const_host_device_scalarIT1_EES3_PKS3_PKT2_SC_S9_PKT4_PKT5_S7_PT6_21rocsparse_index_base_b ; -- Begin function _ZN9rocsparseL18bsrxmvn_4x4_kernelILj128ELj64E21rocsparse_complex_numIfEllS2_S2_S2_EEvT3_20rocsparse_direction_NS_24const_host_device_scalarIT1_EES3_PKS3_PKT2_SC_S9_PKT4_PKT5_S7_PT6_21rocsparse_index_base_b
	.p2align	8
	.type	_ZN9rocsparseL18bsrxmvn_4x4_kernelILj128ELj64E21rocsparse_complex_numIfEllS2_S2_S2_EEvT3_20rocsparse_direction_NS_24const_host_device_scalarIT1_EES3_PKS3_PKT2_SC_S9_PKT4_PKT5_S7_PT6_21rocsparse_index_base_b,@function
_ZN9rocsparseL18bsrxmvn_4x4_kernelILj128ELj64E21rocsparse_complex_numIfEllS2_S2_S2_EEvT3_20rocsparse_direction_NS_24const_host_device_scalarIT1_EES3_PKS3_PKT2_SC_S9_PKT4_PKT5_S7_PT6_21rocsparse_index_base_b: ; @_ZN9rocsparseL18bsrxmvn_4x4_kernelILj128ELj64E21rocsparse_complex_numIfEllS2_S2_S2_EEvT3_20rocsparse_direction_NS_24const_host_device_scalarIT1_EES3_PKS3_PKT2_SC_S9_PKT4_PKT5_S7_PT6_21rocsparse_index_base_b
; %bb.0:
	s_clause 0x2
	s_load_b64 s[8:9], s[0:1], 0x60
	s_load_b128 s[4:7], s[0:1], 0x10
	s_load_b64 s[2:3], s[0:1], 0x50
	v_mov_b32_e32 v11, 0
	s_add_nc_u64 s[10:11], s[0:1], 16
	s_add_nc_u64 s[12:13], s[0:1], 0x50
	s_wait_kmcnt 0x0
	s_bitcmp1_b32 s9, 0
	s_cselect_b32 s5, s11, s5
	s_cselect_b32 s4, s10, s4
	;; [unrolled: 1-line block ×4, first 2 shown]
	s_clause 0x1
	flat_load_b64 v[2:3], v11, s[4:5]
	flat_load_b64 v[4:5], v11, s[2:3]
	s_wait_loadcnt_dscnt 0x101
	v_cmp_neq_f32_e32 vcc_lo, 0, v2
	s_wait_xcnt 0x0
	v_cmp_neq_f32_e64 s3, 0, v3
	s_wait_loadcnt_dscnt 0x0
	v_cmp_neq_f32_e64 s4, 1.0, v4
	v_cmp_neq_f32_e64 s2, 0, v5
	s_or_b32 s5, vcc_lo, s3
	s_mov_b32 s3, 0
	s_or_b32 s4, s4, s2
	s_delay_alu instid0(SALU_CYCLE_1) | instskip(NEXT) | instid1(SALU_CYCLE_1)
	s_or_b32 s4, s5, s4
	s_and_saveexec_b32 s5, s4
	s_cbranch_execz .LBB54_6
; %bb.1:
	s_load_b64 s[4:5], s[0:1], 0x20
	s_bfe_u32 s9, ttmp6, 0x4000c
	s_and_b32 s10, ttmp6, 15
	s_add_co_i32 s9, s9, 1
	s_getreg_b32 s11, hwreg(HW_REG_IB_STS2, 6, 4)
	s_mul_i32 s9, ttmp9, s9
	v_lshrrev_b32_e32 v1, 6, v0
	s_add_co_i32 s10, s10, s9
	s_cmp_eq_u32 s11, 0
	s_cselect_b32 s9, ttmp9, s10
	s_delay_alu instid0(VALU_DEP_1) | instid1(SALU_CYCLE_1)
	v_lshl_or_b32 v10, s9, 1, v1
	s_wait_kmcnt 0x0
	s_cmp_lg_u64 s[4:5], 0
	s_cbranch_scc0 .LBB54_7
; %bb.2:
	s_delay_alu instid0(VALU_DEP_1) | instskip(SKIP_2) | instid1(SALU_CYCLE_1)
	v_cmp_gt_i64_e32 vcc_lo, s[6:7], v[10:11]
	s_mov_b32 s6, 0
                                        ; implicit-def: $vgpr6_vgpr7
                                        ; implicit-def: $vgpr8_vgpr9
	s_and_saveexec_b32 s7, vcc_lo
	s_xor_b32 s7, exec_lo, s7
	s_cbranch_execz .LBB54_4
; %bb.3:
	v_lshl_add_u64 v[6:7], v[10:11], 3, s[4:5]
	s_mov_b32 s9, 0
	s_mov_b32 s3, exec_lo
	v_mov_b64_e32 v[8:9], s[8:9]
	global_load_b64 v[6:7], v[6:7], off
	s_wait_loadcnt 0x0
	v_sub_nc_u64_e64 v[6:7], v[6:7], s[8:9]
.LBB54_4:
	s_or_b32 exec_lo, exec_lo, s7
	s_delay_alu instid0(SALU_CYCLE_1)
	s_and_b32 vcc_lo, exec_lo, s6
	s_cbranch_vccnz .LBB54_8
.LBB54_5:
	s_and_b32 exec_lo, exec_lo, s3
	s_cbranch_execnz .LBB54_11
.LBB54_6:
	s_sendmsg sendmsg(MSG_DEALLOC_VGPRS)
	s_endpgm
.LBB54_7:
                                        ; implicit-def: $vgpr6_vgpr7
                                        ; implicit-def: $vgpr8_vgpr9
	s_cbranch_execz .LBB54_5
.LBB54_8:
	s_load_b64 s[4:5], s[0:1], 0x0
	s_wait_kmcnt 0x0
	v_cmp_gt_i64_e32 vcc_lo, s[4:5], v[10:11]
	s_and_saveexec_b32 s4, vcc_lo
; %bb.9:
	s_mov_b32 s9, 0
	s_or_b32 s3, s3, exec_lo
; %bb.10:
	s_or_b32 exec_lo, exec_lo, s4
	v_mov_b64_e32 v[8:9], s[8:9]
	v_mov_b64_e32 v[6:7], v[10:11]
	s_and_b32 exec_lo, exec_lo, s3
	s_cbranch_execz .LBB54_6
.LBB54_11:
	s_load_b256 s[4:11], s[0:1], 0x28
	s_delay_alu instid0(VALU_DEP_1) | instskip(SKIP_2) | instid1(VALU_DEP_2)
	v_lshlrev_b64_e32 v[10:11], 3, v[6:7]
	v_dual_mov_b32 v1, 0 :: v_dual_bitop2_b32 v0, 63, v0 bitop3:0x40
	s_wait_kmcnt 0x0
	v_add_nc_u64_e32 v[12:13], s[4:5], v[10:11]
	v_add_nc_u64_e32 v[10:11], s[6:7], v[10:11]
	s_cmp_eq_u64 s[6:7], 0
	s_clause 0x1
	s_load_b32 s6, s[0:1], 0x8
	s_load_b64 s[4:5], s[0:1], 0x48
	s_cselect_b32 vcc_lo, -1, 0
	global_load_b64 v[24:25], v[12:13], off
	s_wait_xcnt 0x0
	v_add_nc_u64_e32 v[12:13], 8, v[12:13]
	s_delay_alu instid0(VALU_DEP_1)
	v_dual_cndmask_b32 v11, v11, v13 :: v_dual_cndmask_b32 v10, v10, v12
	global_load_b64 v[12:13], v[10:11], off
	s_wait_kmcnt 0x0
	s_cmp_eq_u32 s6, 1
	s_wait_loadcnt 0x1
	s_wait_xcnt 0x0
	v_sub_nc_u64_e32 v[10:11], v[24:25], v[8:9]
	s_delay_alu instid0(VALU_DEP_1) | instskip(SKIP_2) | instid1(VALU_DEP_2)
	v_add_nc_u64_e32 v[10:11], v[10:11], v[0:1]
	s_wait_loadcnt 0x0
	v_sub_nc_u64_e32 v[12:13], v[12:13], v[8:9]
	v_lshlrev_b64_e32 v[14:15], 7, v[10:11]
	s_delay_alu instid0(VALU_DEP_2) | instskip(NEXT) | instid1(VALU_DEP_2)
	v_cmp_lt_i64_e64 s3, v[10:11], v[12:13]
	v_add_nc_u64_e32 v[14:15], s[10:11], v[14:15]
	s_cbranch_scc1 .LBB54_23
; %bb.12:
	v_dual_mov_b32 v23, v1 :: v_dual_mov_b32 v22, v1
	v_dual_mov_b32 v17, v1 :: v_dual_mov_b32 v16, v1
	;; [unrolled: 1-line block ×4, first 2 shown]
	s_and_saveexec_b32 s6, s3
	s_cbranch_execz .LBB54_22
; %bb.13:
	v_dual_mov_b32 v17, v1 :: v_dual_bitop2_b32 v16, 64, v0 bitop3:0x54
	v_sub_nc_u64_e32 v[18:19], v[8:9], v[0:1]
	v_not_b32_e32 v21, v25
	v_not_b32_e32 v20, v24
	v_mov_b64_e32 v[28:29], v[14:15]
	v_sub_nc_u64_e32 v[16:17], v[16:17], v[8:9]
	v_mov_b64_e32 v[26:27], v[10:11]
	s_delay_alu instid0(VALU_DEP_4) | instskip(NEXT) | instid1(VALU_DEP_3)
	v_add_nc_u64_e32 v[18:19], v[18:19], v[20:21]
	v_add_nc_u64_e32 v[16:17], v[16:17], v[24:25]
	s_delay_alu instid0(VALU_DEP_1) | instskip(NEXT) | instid1(VALU_DEP_1)
	v_max_i64 v[16:17], v[16:17], v[12:13]
	v_add_nc_u64_e32 v[30:31], v[18:19], v[16:17]
	v_mov_b32_e32 v19, 0
	s_delay_alu instid0(VALU_DEP_1) | instskip(NEXT) | instid1(VALU_DEP_3)
	v_dual_mov_b32 v21, v19 :: v_dual_mov_b32 v20, v19
	v_and_b32_e32 v18, 0xc0, v30
	v_dual_mov_b32 v17, v19 :: v_dual_mov_b32 v16, v19
	v_dual_mov_b32 v22, v19 :: v_dual_mov_b32 v23, v19
	s_delay_alu instid0(VALU_DEP_3)
	v_cmp_ne_u64_e32 vcc_lo, 0xc0, v[18:19]
	v_mov_b32_e32 v18, v19
	s_and_saveexec_b32 s7, vcc_lo
	s_cbranch_execz .LBB54_17
; %bb.14:
	v_dual_mov_b32 v19, 0 :: v_dual_lshrrev_b32 v16, 6, v30
	v_mov_b64_e32 v[26:27], v[10:11]
	v_mov_b64_e32 v[28:29], v[14:15]
	v_lshl_add_u64 v[32:33], v[10:11], 3, s[8:9]
	s_delay_alu instid0(VALU_DEP_4) | instskip(SKIP_1) | instid1(VALU_DEP_2)
	v_dual_add_nc_u32 v16, 1, v16 :: v_dual_mov_b32 v20, v19
	v_dual_mov_b32 v17, v19 :: v_dual_mov_b32 v22, v19
	v_dual_mov_b32 v23, v19 :: v_dual_bitop2_b32 v18, 3, v16 bitop3:0x40
	v_dual_mov_b32 v21, v19 :: v_dual_mov_b32 v16, v19
	s_mov_b32 s10, 0
	s_delay_alu instid0(VALU_DEP_2)
	v_sub_nc_u64_e32 v[34:35], 0, v[18:19]
	v_mov_b32_e32 v18, v19
.LBB54_15:                              ; =>This Inner Loop Header: Depth=1
	global_load_b64 v[36:37], v[32:33], off
	v_add_nc_u64_e32 v[34:35], 1, v[34:35]
	v_add_nc_u64_e32 v[26:27], 64, v[26:27]
	s_wait_xcnt 0x0
	v_add_nc_u64_e32 v[32:33], 0x200, v[32:33]
	s_delay_alu instid0(VALU_DEP_3)
	v_cmp_eq_u64_e32 vcc_lo, 0, v[34:35]
	s_or_b32 s10, vcc_lo, s10
	s_wait_loadcnt 0x0
	v_sub_nc_u64_e32 v[44:45], v[36:37], v[8:9]
	s_clause 0x1
	global_load_b128 v[36:39], v[28:29], off offset:16
	global_load_b128 v[40:43], v[28:29], off
	v_lshlrev_b64_e32 v[56:57], 5, v[44:45]
	s_clause 0x2
	global_load_b128 v[44:47], v[28:29], off offset:48
	global_load_b128 v[48:51], v[28:29], off offset:32
	global_load_b128 v[52:55], v[28:29], off offset:64
	v_add_nc_u64_e32 v[76:77], s[4:5], v[56:57]
	s_clause 0x2
	global_load_b128 v[56:59], v[28:29], off offset:80
	global_load_b128 v[60:63], v[28:29], off offset:112
	global_load_b128 v[64:67], v[28:29], off offset:96
	s_clause 0x1
	global_load_b128 v[68:71], v[76:77], off
	global_load_b128 v[72:75], v[76:77], off offset:16
	s_wait_xcnt 0x2
	v_add_nc_u64_e32 v[28:29], 0x2000, v[28:29]
	s_wait_loadcnt 0x9
	v_xor_b32_e32 v78, 0x80000000, v39
	s_wait_loadcnt 0x8
	s_wait_xcnt 0x0
	v_xor_b32_e32 v76, 0x80000000, v43
	v_dual_mov_b32 v77, v42 :: v_dual_mov_b32 v79, v38
	s_wait_loadcnt 0x7
	v_xor_b32_e32 v82, 0x80000000, v47
	s_wait_loadcnt 0x6
	v_xor_b32_e32 v80, 0x80000000, v51
	v_dual_mov_b32 v81, v50 :: v_dual_mov_b32 v83, v46
	s_wait_loadcnt 0x5
	v_xor_b32_e32 v84, 0x80000000, v55
	v_mov_b32_e32 v85, v54
	s_wait_loadcnt 0x4
	v_xor_b32_e32 v86, 0x80000000, v59
	v_mov_b32_e32 v87, v58
	s_wait_loadcnt 0x2
	v_xor_b32_e32 v88, 0x80000000, v67
	s_wait_loadcnt 0x1
	v_pk_fma_f32 v[22:23], v[40:41], v[68:69], v[22:23] op_sel_hi:[1,0,1]
	v_pk_fma_f32 v[18:19], v[48:49], v[68:69], v[18:19] op_sel_hi:[1,0,1]
	;; [unrolled: 1-line block ×4, first 2 shown]
	v_mov_b32_e32 v89, v66
	v_pk_fma_f32 v[22:23], v[40:41], v[68:69], v[22:23] op_sel:[1,1,0] op_sel_hi:[0,1,1] neg_lo:[1,0,0]
	v_pk_fma_f32 v[18:19], v[48:49], v[68:69], v[18:19] op_sel:[1,1,0] op_sel_hi:[0,1,1] neg_lo:[1,0,0]
	;; [unrolled: 1-line block ×4, first 2 shown]
	v_mov_b32_e32 v40, v71
	v_pk_fma_f32 v[22:23], v[42:43], v[70:71], v[22:23] op_sel_hi:[1,0,1]
	v_pk_fma_f32 v[18:19], v[50:51], v[70:71], v[18:19] op_sel_hi:[1,0,1]
	;; [unrolled: 1-line block ×4, first 2 shown]
	s_delay_alu instid0(VALU_DEP_4) | instskip(NEXT) | instid1(VALU_DEP_4)
	v_pk_fma_f32 v[22:23], v[76:77], v[40:41], v[22:23] op_sel_hi:[1,0,1]
	v_pk_fma_f32 v[18:19], v[80:81], v[40:41], v[18:19] op_sel_hi:[1,0,1]
	s_delay_alu instid0(VALU_DEP_4) | instskip(NEXT) | instid1(VALU_DEP_4)
	v_pk_fma_f32 v[20:21], v[84:85], v[40:41], v[20:21] op_sel_hi:[1,0,1]
	v_pk_fma_f32 v[16:17], v[88:89], v[40:41], v[16:17] op_sel_hi:[1,0,1]
	v_xor_b32_e32 v40, 0x80000000, v63
	s_wait_loadcnt 0x0
	v_pk_fma_f32 v[22:23], v[36:37], v[72:73], v[22:23] op_sel_hi:[1,0,1]
	v_pk_fma_f32 v[18:19], v[44:45], v[72:73], v[18:19] op_sel_hi:[1,0,1]
	v_pk_fma_f32 v[20:21], v[56:57], v[72:73], v[20:21] op_sel_hi:[1,0,1]
	v_pk_fma_f32 v[16:17], v[60:61], v[72:73], v[16:17] op_sel_hi:[1,0,1]
	v_mov_b32_e32 v41, v62
	v_pk_fma_f32 v[22:23], v[36:37], v[72:73], v[22:23] op_sel:[1,1,0] op_sel_hi:[0,1,1] neg_lo:[1,0,0]
	v_pk_fma_f32 v[18:19], v[44:45], v[72:73], v[18:19] op_sel:[1,1,0] op_sel_hi:[0,1,1] neg_lo:[1,0,0]
	;; [unrolled: 1-line block ×4, first 2 shown]
	v_mov_b32_e32 v36, v75
	v_pk_fma_f32 v[22:23], v[38:39], v[74:75], v[22:23] op_sel_hi:[1,0,1]
	v_pk_fma_f32 v[18:19], v[46:47], v[74:75], v[18:19] op_sel_hi:[1,0,1]
	;; [unrolled: 1-line block ×4, first 2 shown]
	s_delay_alu instid0(VALU_DEP_4) | instskip(NEXT) | instid1(VALU_DEP_4)
	v_pk_fma_f32 v[22:23], v[78:79], v[36:37], v[22:23] op_sel_hi:[1,0,1]
	v_pk_fma_f32 v[18:19], v[82:83], v[36:37], v[18:19] op_sel_hi:[1,0,1]
	s_delay_alu instid0(VALU_DEP_4) | instskip(NEXT) | instid1(VALU_DEP_4)
	v_pk_fma_f32 v[20:21], v[86:87], v[36:37], v[20:21] op_sel_hi:[1,0,1]
	v_pk_fma_f32 v[16:17], v[40:41], v[36:37], v[16:17] op_sel_hi:[1,0,1]
	s_and_not1_b32 exec_lo, exec_lo, s10
	s_cbranch_execnz .LBB54_15
; %bb.16:
	s_or_b32 exec_lo, exec_lo, s10
.LBB54_17:
	s_delay_alu instid0(SALU_CYCLE_1) | instskip(NEXT) | instid1(SALU_CYCLE_1)
	s_or_b32 exec_lo, exec_lo, s7
	s_mov_b32 s7, exec_lo
	v_cmpx_lt_u64_e32 0xbf, v[30:31]
	s_cbranch_execz .LBB54_21
; %bb.18:
	v_lshl_add_u64 v[30:31], v[26:27], 3, s[8:9]
	s_mov_b32 s10, 0
	s_delay_alu instid0(VALU_DEP_1)
	v_add_nc_u64_e32 v[30:31], 0x400, v[30:31]
.LBB54_19:                              ; =>This Inner Loop Header: Depth=1
	global_load_b64 v[136:137], v[30:31], off offset:-1024
	s_clause 0x11
	global_load_b128 v[32:35], v[28:29], off
	global_load_b128 v[36:39], v[28:29], off offset:16
	global_load_b128 v[40:43], v[28:29], off offset:48
	;; [unrolled: 1-line block ×17, first 2 shown]
	s_clause 0x2
	global_load_b64 v[144:145], v[30:31], off offset:-512
	global_load_b64 v[146:147], v[30:31], off
	global_load_b64 v[148:149], v[30:31], off offset:512
	s_clause 0x7
	global_load_b128 v[104:107], v[28:29], off offset:16400
	global_load_b128 v[108:111], v[28:29], off offset:16384
	;; [unrolled: 1-line block ×8, first 2 shown]
	v_add_nc_u64_e32 v[26:27], 0x100, v[26:27]
	s_wait_xcnt 0x8
	v_add_nc_u64_e32 v[30:31], 0x800, v[30:31]
	s_delay_alu instid0(VALU_DEP_2)
	v_cmp_ge_i64_e32 vcc_lo, v[26:27], v[12:13]
	s_or_b32 s10, vcc_lo, s10
	s_wait_loadcnt 0x1d
	v_sub_nc_u64_e32 v[136:137], v[136:137], v[8:9]
	s_wait_loadcnt 0x1c
	v_xor_b32_e32 v150, 0x80000000, v35
	v_mov_b32_e32 v151, v34
	s_delay_alu instid0(VALU_DEP_3) | instskip(SKIP_3) | instid1(VALU_DEP_3)
	v_lshlrev_b64_e32 v[136:137], 5, v[136:137]
	s_wait_loadcnt 0x11
	v_xor_b32_e32 v156, 0x80000000, v79
	v_mov_b32_e32 v157, v78
	v_add_nc_u64_e32 v[152:153], s[4:5], v[136:137]
	s_clause 0x1
	global_load_b128 v[136:139], v[152:153], off
	global_load_b128 v[140:143], v[152:153], off offset:16
	s_wait_xcnt 0x0
	v_xor_b32_e32 v152, 0x80000000, v47
	v_mov_b32_e32 v153, v46
	s_wait_loadcnt 0x1
	v_pk_fma_f32 v[18:19], v[44:45], v[136:137], v[18:19] op_sel_hi:[1,0,1]
	v_pk_fma_f32 v[22:23], v[32:33], v[136:137], v[22:23] op_sel_hi:[1,0,1]
	;; [unrolled: 1-line block ×3, first 2 shown]
	s_delay_alu instid0(VALU_DEP_3) | instskip(NEXT) | instid1(VALU_DEP_3)
	v_pk_fma_f32 v[18:19], v[44:45], v[136:137], v[18:19] op_sel:[1,1,0] op_sel_hi:[0,1,1] neg_lo:[1,0,0]
	v_pk_fma_f32 v[22:23], v[32:33], v[136:137], v[22:23] op_sel:[1,1,0] op_sel_hi:[0,1,1] neg_lo:[1,0,0]
	s_delay_alu instid0(VALU_DEP_3) | instskip(NEXT) | instid1(VALU_DEP_3)
	v_pk_fma_f32 v[16:17], v[68:69], v[136:137], v[16:17] op_sel:[1,1,0] op_sel_hi:[0,1,1] neg_lo:[1,0,0]
	v_pk_fma_f32 v[154:155], v[46:47], v[138:139], v[18:19] op_sel_hi:[1,0,1]
	v_pk_fma_f32 v[18:19], v[76:77], v[136:137], v[20:21] op_sel_hi:[1,0,1]
	s_delay_alu instid0(VALU_DEP_4) | instskip(NEXT) | instid1(VALU_DEP_4)
	v_pk_fma_f32 v[22:23], v[34:35], v[138:139], v[22:23] op_sel_hi:[1,0,1]
	v_pk_fma_f32 v[16:17], v[70:71], v[138:139], v[16:17] op_sel_hi:[1,0,1]
	s_clause 0x1
	global_load_b128 v[32:35], v[28:29], off offset:24592
	global_load_b128 v[44:47], v[28:29], off offset:24640
	v_pk_fma_f32 v[18:19], v[76:77], v[136:137], v[18:19] op_sel:[1,1,0] op_sel_hi:[0,1,1] neg_lo:[1,0,0]
	v_mov_b32_e32 v136, v139
	s_delay_alu instid0(VALU_DEP_2) | instskip(SKIP_1) | instid1(VALU_DEP_3)
	v_pk_fma_f32 v[76:77], v[78:79], v[138:139], v[18:19] op_sel_hi:[1,0,1]
	v_mov_b32_e32 v79, v70
	v_pk_fma_f32 v[22:23], v[150:151], v[136:137], v[22:23] op_sel_hi:[1,0,1]
	v_mov_b32_e32 v151, v38
	v_pk_fma_f32 v[138:139], v[152:153], v[136:137], v[154:155] op_sel_hi:[1,0,1]
	v_pk_fma_f32 v[152:153], v[156:157], v[136:137], v[76:77] op_sel_hi:[1,0,1]
	v_sub_nc_u64_e32 v[76:77], v[144:145], v[8:9]
	v_sub_nc_u64_e32 v[144:145], v[146:147], v[8:9]
	v_xor_b32_e32 v78, 0x80000000, v71
	s_wait_loadcnt 0x2
	v_pk_fma_f32 v[22:23], v[36:37], v[140:141], v[22:23] op_sel_hi:[1,0,1]
	s_clause 0x1
	global_load_b128 v[18:21], v[28:29], off offset:24576
	global_load_b128 v[68:71], v[28:29], off offset:24672
	v_xor_b32_e32 v150, 0x80000000, v39
	v_lshlrev_b64_e32 v[76:77], 5, v[76:77]
	v_pk_fma_f32 v[16:17], v[78:79], v[136:137], v[16:17] op_sel_hi:[1,0,1]
	v_lshlrev_b64_e32 v[78:79], 5, v[144:145]
	v_pk_fma_f32 v[22:23], v[36:37], v[140:141], v[22:23] op_sel:[1,1,0] op_sel_hi:[0,1,1] neg_lo:[1,0,0]
	v_sub_nc_u64_e32 v[136:137], v[148:149], v[8:9]
	v_pk_fma_f32 v[138:139], v[40:41], v[140:141], v[138:139] op_sel_hi:[1,0,1]
	v_xor_b32_e32 v154, 0x80000000, v43
	v_add_nc_u64_e32 v[144:145], s[4:5], v[76:77]
	v_pk_fma_f32 v[22:23], v[38:39], v[142:143], v[22:23] op_sel_hi:[1,0,1]
	v_add_nc_u64_e32 v[148:149], s[4:5], v[78:79]
	v_pk_fma_f32 v[40:41], v[40:41], v[140:141], v[138:139] op_sel:[1,1,0] op_sel_hi:[0,1,1] neg_lo:[1,0,0]
	v_dual_mov_b32 v155, v42 :: v_dual_mov_b32 v147, v74
	s_clause 0x1
	global_load_b128 v[36:39], v[144:145], off
	global_load_b128 v[76:79], v[144:145], off offset:16
	s_wait_xcnt 0x0
	v_pk_fma_f32 v[144:145], v[42:43], v[142:143], v[40:41] op_sel_hi:[1,0,1]
	global_load_b128 v[40:43], v[148:149], off
	v_pk_fma_f32 v[138:139], v[72:73], v[140:141], v[152:153] op_sel_hi:[1,0,1]
	v_xor_b32_e32 v146, 0x80000000, v75
	v_pk_fma_f32 v[16:17], v[64:65], v[140:141], v[16:17] op_sel_hi:[1,0,1]
	v_xor_b32_e32 v156, 0x80000000, v67
	v_mov_b32_e32 v157, v66
	v_pk_fma_f32 v[72:73], v[72:73], v[140:141], v[138:139] op_sel:[1,1,0] op_sel_hi:[0,1,1] neg_lo:[1,0,0]
	s_delay_alu instid0(VALU_DEP_4) | instskip(NEXT) | instid1(VALU_DEP_2)
	v_pk_fma_f32 v[16:17], v[64:65], v[140:141], v[16:17] op_sel:[1,1,0] op_sel_hi:[0,1,1] neg_lo:[1,0,0]
	v_pk_fma_f32 v[152:153], v[74:75], v[142:143], v[72:73] op_sel_hi:[1,0,1]
	v_lshlrev_b64_e32 v[72:73], 5, v[136:137]
	s_delay_alu instid0(VALU_DEP_3)
	v_pk_fma_f32 v[16:17], v[66:67], v[142:143], v[16:17] op_sel_hi:[1,0,1]
	global_load_b128 v[136:139], v[28:29], off offset:24656
	v_add_nc_u64_e32 v[158:159], s[4:5], v[72:73]
	global_load_b128 v[72:75], v[148:149], off offset:16
	s_wait_xcnt 0x0
	v_mov_b32_e32 v148, v143
	global_load_b128 v[140:143], v[28:29], off offset:24688
	s_wait_xcnt 0x0
	v_add_nc_u64_e32 v[28:29], 0x8000, v[28:29]
	global_load_b128 v[64:67], v[158:159], off
	v_pk_fma_f32 v[22:23], v[150:151], v[148:149], v[22:23] op_sel_hi:[1,0,1]
	v_pk_fma_f32 v[150:151], v[154:155], v[148:149], v[144:145] op_sel_hi:[1,0,1]
	v_pk_fma_f32 v[152:153], v[146:147], v[148:149], v[152:153] op_sel_hi:[1,0,1]
	global_load_b128 v[144:147], v[158:159], off offset:16
	v_pk_fma_f32 v[16:17], v[156:157], v[148:149], v[16:17] op_sel_hi:[1,0,1]
	v_xor_b32_e32 v148, 0x80000000, v63
	v_mov_b32_e32 v149, v62
	s_wait_loadcnt 0x7
	v_pk_fma_f32 v[22:23], v[60:61], v[36:37], v[22:23] op_sel_hi:[1,0,1]
	v_pk_fma_f32 v[150:151], v[52:53], v[36:37], v[150:151] op_sel_hi:[1,0,1]
	;; [unrolled: 1-line block ×4, first 2 shown]
	s_delay_alu instid0(VALU_DEP_4) | instskip(NEXT) | instid1(VALU_DEP_4)
	v_pk_fma_f32 v[22:23], v[60:61], v[36:37], v[22:23] op_sel:[1,1,0] op_sel_hi:[0,1,1] neg_lo:[1,0,0]
	v_pk_fma_f32 v[52:53], v[52:53], v[36:37], v[150:151] op_sel:[1,1,0] op_sel_hi:[0,1,1] neg_lo:[1,0,0]
	s_delay_alu instid0(VALU_DEP_4) | instskip(NEXT) | instid1(VALU_DEP_4)
	v_pk_fma_f32 v[92:93], v[92:93], v[36:37], v[152:153] op_sel:[1,1,0] op_sel_hi:[0,1,1] neg_lo:[1,0,0]
	v_pk_fma_f32 v[16:17], v[84:85], v[36:37], v[16:17] op_sel:[1,1,0] op_sel_hi:[0,1,1] neg_lo:[1,0,0]
	v_xor_b32_e32 v60, 0x80000000, v55
	v_pk_fma_f32 v[22:23], v[62:63], v[38:39], v[22:23] op_sel_hi:[1,0,1]
	v_mov_b32_e32 v61, v54
	v_xor_b32_e32 v62, 0x80000000, v95
	v_mov_b32_e32 v63, v94
	v_pk_fma_f32 v[52:53], v[54:55], v[38:39], v[52:53] op_sel_hi:[1,0,1]
	v_xor_b32_e32 v54, 0x80000000, v87
	v_mov_b32_e32 v55, v86
	v_pk_fma_f32 v[92:93], v[94:95], v[38:39], v[92:93] op_sel_hi:[1,0,1]
	v_pk_fma_f32 v[16:17], v[86:87], v[38:39], v[16:17] op_sel_hi:[1,0,1]
	v_dual_mov_b32 v85, v110 :: v_dual_mov_b32 v38, v39
	v_xor_b32_e32 v150, 0x80000000, v59
	v_dual_mov_b32 v151, v58 :: v_dual_mov_b32 v95, v50
	v_xor_b32_e32 v94, 0x80000000, v51
	s_delay_alu instid0(VALU_DEP_4)
	v_pk_fma_f32 v[22:23], v[148:149], v[38:39], v[22:23] op_sel_hi:[1,0,1]
	v_pk_fma_f32 v[52:53], v[60:61], v[38:39], v[52:53] op_sel_hi:[1,0,1]
	;; [unrolled: 1-line block ×4, first 2 shown]
	v_xor_b32_e32 v152, 0x80000000, v91
	s_wait_loadcnt 0x6
	v_pk_fma_f32 v[22:23], v[56:57], v[76:77], v[22:23] op_sel_hi:[1,0,1]
	v_pk_fma_f32 v[52:53], v[48:49], v[76:77], v[52:53] op_sel_hi:[1,0,1]
	;; [unrolled: 1-line block ×4, first 2 shown]
	v_dual_mov_b32 v153, v90 :: v_dual_mov_b32 v37, v82
	v_pk_fma_f32 v[22:23], v[56:57], v[76:77], v[22:23] op_sel:[1,1,0] op_sel_hi:[0,1,1] neg_lo:[1,0,0]
	v_pk_fma_f32 v[48:49], v[48:49], v[76:77], v[52:53] op_sel:[1,1,0] op_sel_hi:[0,1,1] neg_lo:[1,0,0]
	;; [unrolled: 1-line block ×4, first 2 shown]
	v_xor_b32_e32 v36, 0x80000000, v83
	v_pk_fma_f32 v[22:23], v[58:59], v[78:79], v[22:23] op_sel_hi:[1,0,1]
	v_pk_fma_f32 v[48:49], v[50:51], v[78:79], v[48:49] op_sel_hi:[1,0,1]
	v_dual_mov_b32 v51, v130 :: v_dual_mov_b32 v62, v79
	v_pk_fma_f32 v[52:53], v[90:91], v[78:79], v[52:53] op_sel_hi:[1,0,1]
	v_pk_fma_f32 v[16:17], v[82:83], v[78:79], v[16:17] op_sel_hi:[1,0,1]
	v_xor_b32_e32 v84, 0x80000000, v111
	v_xor_b32_e32 v86, 0x80000000, v103
	v_pk_fma_f32 v[22:23], v[150:151], v[62:63], v[22:23] op_sel_hi:[1,0,1]
	v_pk_fma_f32 v[48:49], v[94:95], v[62:63], v[48:49] op_sel_hi:[1,0,1]
	v_pk_fma_f32 v[52:53], v[152:153], v[62:63], v[52:53] op_sel_hi:[1,0,1]
	v_pk_fma_f32 v[16:17], v[36:37], v[62:63], v[16:17] op_sel_hi:[1,0,1]
	v_dual_mov_b32 v87, v102 :: v_dual_mov_b32 v149, v126
	s_wait_loadcnt 0x5
	v_pk_fma_f32 v[22:23], v[108:109], v[40:41], v[22:23] op_sel_hi:[1,0,1]
	v_pk_fma_f32 v[36:37], v[100:101], v[40:41], v[48:49] op_sel_hi:[1,0,1]
	v_pk_fma_f32 v[48:49], v[124:125], v[40:41], v[52:53] op_sel_hi:[1,0,1]
	v_pk_fma_f32 v[16:17], v[116:117], v[40:41], v[16:17] op_sel_hi:[1,0,1]
	v_xor_b32_e32 v148, 0x80000000, v127
	v_pk_fma_f32 v[22:23], v[108:109], v[40:41], v[22:23] op_sel:[1,1,0] op_sel_hi:[0,1,1] neg_lo:[1,0,0]
	v_pk_fma_f32 v[36:37], v[100:101], v[40:41], v[36:37] op_sel:[1,1,0] op_sel_hi:[0,1,1] neg_lo:[1,0,0]
	;; [unrolled: 1-line block ×4, first 2 shown]
	v_xor_b32_e32 v60, 0x80000000, v119
	v_dual_mov_b32 v61, v118 :: v_dual_mov_b32 v93, v106
	v_dual_mov_b32 v77, v122 :: v_dual_mov_b32 v40, v43
	v_pk_fma_f32 v[22:23], v[110:111], v[42:43], v[22:23] op_sel_hi:[1,0,1]
	v_pk_fma_f32 v[36:37], v[102:103], v[42:43], v[36:37] op_sel_hi:[1,0,1]
	;; [unrolled: 1-line block ×4, first 2 shown]
	v_xor_b32_e32 v92, 0x80000000, v107
	v_pk_fma_f32 v[22:23], v[84:85], v[40:41], v[22:23] op_sel_hi:[1,0,1]
	v_pk_fma_f32 v[36:37], v[86:87], v[40:41], v[36:37] op_sel_hi:[1,0,1]
	;; [unrolled: 1-line block ×4, first 2 shown]
	v_xor_b32_e32 v56, 0x80000000, v99
	s_wait_loadcnt 0x3
	v_pk_fma_f32 v[22:23], v[104:105], v[72:73], v[22:23] op_sel_hi:[1,0,1]
	v_pk_fma_f32 v[36:37], v[96:97], v[72:73], v[36:37] op_sel_hi:[1,0,1]
	;; [unrolled: 1-line block ×4, first 2 shown]
	v_dual_mov_b32 v57, v98 :: v_dual_mov_b32 v59, v134
	v_pk_fma_f32 v[22:23], v[104:105], v[72:73], v[22:23] op_sel:[1,1,0] op_sel_hi:[0,1,1] neg_lo:[1,0,0]
	v_pk_fma_f32 v[36:37], v[96:97], v[72:73], v[36:37] op_sel:[1,1,0] op_sel_hi:[0,1,1] neg_lo:[1,0,0]
	;; [unrolled: 1-line block ×4, first 2 shown]
	v_xor_b32_e32 v76, 0x80000000, v123
	v_dual_mov_b32 v53, v46 :: v_dual_mov_b32 v41, v114
	v_xor_b32_e32 v40, 0x80000000, v115
	v_mov_b32_e32 v48, v75
	v_pk_fma_f32 v[22:23], v[106:107], v[74:75], v[22:23] op_sel_hi:[1,0,1]
	v_pk_fma_f32 v[36:37], v[98:99], v[74:75], v[36:37] op_sel_hi:[1,0,1]
	;; [unrolled: 1-line block ×4, first 2 shown]
	v_xor_b32_e32 v38, 0x80000000, v21
	v_dual_mov_b32 v39, v20 :: v_dual_mov_b32 v55, v34
	v_xor_b32_e32 v58, 0x80000000, v135
	s_delay_alu instid0(VALU_DEP_4)
	v_pk_fma_f32 v[16:17], v[40:41], v[48:49], v[16:17] op_sel_hi:[1,0,1]
	v_mov_b32_e32 v41, v70
	v_pk_fma_f32 v[22:23], v[92:93], v[48:49], v[22:23] op_sel_hi:[1,0,1]
	v_pk_fma_f32 v[36:37], v[56:57], v[48:49], v[36:37] op_sel_hi:[1,0,1]
	;; [unrolled: 1-line block ×3, first 2 shown]
	s_wait_loadcnt 0x1
	v_pk_fma_f32 v[16:17], v[68:69], v[64:65], v[16:17] op_sel_hi:[1,0,1]
	v_xor_b32_e32 v52, 0x80000000, v47
	v_pk_fma_f32 v[22:23], v[18:19], v[64:65], v[22:23] op_sel_hi:[1,0,1]
	v_pk_fma_f32 v[36:37], v[132:133], v[64:65], v[36:37] op_sel_hi:[1,0,1]
	;; [unrolled: 1-line block ×3, first 2 shown]
	v_pk_fma_f32 v[16:17], v[68:69], v[64:65], v[16:17] op_sel:[1,1,0] op_sel_hi:[0,1,1] neg_lo:[1,0,0]
	v_xor_b32_e32 v40, 0x80000000, v71
	v_pk_fma_f32 v[18:19], v[18:19], v[64:65], v[22:23] op_sel:[1,1,0] op_sel_hi:[0,1,1] neg_lo:[1,0,0]
	v_pk_fma_f32 v[22:23], v[132:133], v[64:65], v[36:37] op_sel:[1,1,0] op_sel_hi:[0,1,1] neg_lo:[1,0,0]
	v_pk_fma_f32 v[36:37], v[44:45], v[64:65], v[42:43] op_sel:[1,1,0] op_sel_hi:[0,1,1] neg_lo:[1,0,0]
	v_dual_mov_b32 v42, v67 :: v_dual_mov_b32 v61, v138
	s_delay_alu instid0(VALU_DEP_4) | instskip(NEXT) | instid1(VALU_DEP_4)
	v_pk_fma_f32 v[18:19], v[20:21], v[66:67], v[18:19] op_sel_hi:[1,0,1]
	v_pk_fma_f32 v[20:21], v[134:135], v[66:67], v[22:23] op_sel_hi:[1,0,1]
	s_delay_alu instid0(VALU_DEP_4)
	v_pk_fma_f32 v[22:23], v[46:47], v[66:67], v[36:37] op_sel_hi:[1,0,1]
	v_pk_fma_f32 v[16:17], v[70:71], v[66:67], v[16:17] op_sel_hi:[1,0,1]
	v_xor_b32_e32 v54, 0x80000000, v35
	v_pk_fma_f32 v[18:19], v[38:39], v[42:43], v[18:19] op_sel_hi:[1,0,1]
	v_pk_fma_f32 v[20:21], v[58:59], v[42:43], v[20:21] op_sel_hi:[1,0,1]
	;; [unrolled: 1-line block ×4, first 2 shown]
	v_xor_b32_e32 v50, 0x80000000, v131
	s_wait_loadcnt 0x0
	v_pk_fma_f32 v[18:19], v[32:33], v[144:145], v[18:19] op_sel_hi:[1,0,1]
	v_pk_fma_f32 v[20:21], v[128:129], v[144:145], v[20:21] op_sel_hi:[1,0,1]
	;; [unrolled: 1-line block ×4, first 2 shown]
	v_xor_b32_e32 v60, 0x80000000, v139
	v_pk_fma_f32 v[18:19], v[32:33], v[144:145], v[18:19] op_sel:[1,1,0] op_sel_hi:[0,1,1] neg_lo:[1,0,0]
	v_pk_fma_f32 v[20:21], v[128:129], v[144:145], v[20:21] op_sel:[1,1,0] op_sel_hi:[0,1,1] neg_lo:[1,0,0]
	v_pk_fma_f32 v[22:23], v[136:137], v[144:145], v[22:23] op_sel:[1,1,0] op_sel_hi:[0,1,1] neg_lo:[1,0,0]
	v_pk_fma_f32 v[16:17], v[140:141], v[144:145], v[16:17] op_sel:[1,1,0] op_sel_hi:[0,1,1] neg_lo:[1,0,0]
	v_xor_b32_e32 v36, 0x80000000, v143
	v_dual_mov_b32 v37, v142 :: v_dual_mov_b32 v32, v147
	v_pk_fma_f32 v[18:19], v[34:35], v[146:147], v[18:19] op_sel_hi:[1,0,1]
	v_pk_fma_f32 v[20:21], v[130:131], v[146:147], v[20:21] op_sel_hi:[1,0,1]
	;; [unrolled: 1-line block ×4, first 2 shown]
	s_delay_alu instid0(VALU_DEP_4) | instskip(NEXT) | instid1(VALU_DEP_4)
	v_pk_fma_f32 v[22:23], v[54:55], v[32:33], v[18:19] op_sel_hi:[1,0,1]
	v_pk_fma_f32 v[18:19], v[50:51], v[32:33], v[20:21] op_sel_hi:[1,0,1]
	s_delay_alu instid0(VALU_DEP_4) | instskip(NEXT) | instid1(VALU_DEP_4)
	v_pk_fma_f32 v[20:21], v[60:61], v[32:33], v[34:35] op_sel_hi:[1,0,1]
	v_pk_fma_f32 v[16:17], v[36:37], v[32:33], v[16:17] op_sel_hi:[1,0,1]
	s_and_not1_b32 exec_lo, exec_lo, s10
	s_cbranch_execnz .LBB54_19
; %bb.20:
	s_or_b32 exec_lo, exec_lo, s10
.LBB54_21:
	s_delay_alu instid0(SALU_CYCLE_1)
	s_or_b32 exec_lo, exec_lo, s7
.LBB54_22:
	s_delay_alu instid0(SALU_CYCLE_1)
	s_or_b32 exec_lo, exec_lo, s6
	s_cbranch_execz .LBB54_24
	s_branch .LBB54_35
.LBB54_23:
                                        ; implicit-def: $vgpr23
                                        ; implicit-def: $vgpr17
                                        ; implicit-def: $vgpr21
                                        ; implicit-def: $vgpr19
.LBB54_24:
	v_dual_mov_b32 v23, 0 :: v_dual_mov_b32 v22, 0
	v_dual_mov_b32 v17, 0 :: v_dual_mov_b32 v16, 0
	v_dual_mov_b32 v21, 0 :: v_dual_mov_b32 v20, 0
	v_dual_mov_b32 v19, 0 :: v_dual_mov_b32 v18, 0
	s_and_saveexec_b32 s6, s3
	s_cbranch_execz .LBB54_34
; %bb.25:
	v_dual_mov_b32 v17, v1 :: v_dual_bitop2_b32 v16, 64, v0 bitop3:0x54
	v_sub_nc_u64_e32 v[18:19], v[8:9], v[0:1]
	v_not_b32_e32 v21, v25
	v_not_b32_e32 v20, v24
	s_delay_alu instid0(VALU_DEP_4) | instskip(NEXT) | instid1(VALU_DEP_2)
	v_sub_nc_u64_e32 v[16:17], v[16:17], v[8:9]
	v_add_nc_u64_e32 v[18:19], v[18:19], v[20:21]
	s_delay_alu instid0(VALU_DEP_2) | instskip(NEXT) | instid1(VALU_DEP_1)
	v_add_nc_u64_e32 v[16:17], v[16:17], v[24:25]
	v_max_i64 v[16:17], v[16:17], v[12:13]
	s_delay_alu instid0(VALU_DEP_1) | instskip(SKIP_1) | instid1(VALU_DEP_1)
	v_add_nc_u64_e32 v[24:25], v[18:19], v[16:17]
	v_mov_b32_e32 v19, 0
	v_dual_mov_b32 v21, v19 :: v_dual_mov_b32 v20, v19
	s_delay_alu instid0(VALU_DEP_3) | instskip(SKIP_2) | instid1(VALU_DEP_3)
	v_and_b32_e32 v18, 0xc0, v24
	v_dual_mov_b32 v17, v19 :: v_dual_mov_b32 v16, v19
	v_dual_mov_b32 v22, v19 :: v_dual_mov_b32 v23, v19
	v_cmp_ne_u64_e32 vcc_lo, 0xc0, v[18:19]
	v_mov_b32_e32 v18, v19
	s_and_saveexec_b32 s3, vcc_lo
	s_cbranch_execz .LBB54_29
; %bb.26:
	v_dual_lshrrev_b32 v1, 6, v24 :: v_dual_mov_b32 v19, 0
	v_lshl_add_u64 v[26:27], v[10:11], 3, s[8:9]
	s_mov_b32 s7, 0
	s_delay_alu instid0(VALU_DEP_2) | instskip(SKIP_1) | instid1(VALU_DEP_2)
	v_dual_mov_b32 v20, v19 :: v_dual_add_nc_u32 v1, 1, v1
	v_dual_mov_b32 v16, v19 :: v_dual_mov_b32 v17, v19
	v_dual_mov_b32 v22, v19 :: v_dual_bitop2_b32 v18, 3, v1 bitop3:0x40
	v_dual_mov_b32 v21, v19 :: v_dual_mov_b32 v23, v19
	s_delay_alu instid0(VALU_DEP_2)
	v_sub_nc_u64_e32 v[28:29], 0, v[18:19]
	v_mov_b32_e32 v18, v19
.LBB54_27:                              ; =>This Inner Loop Header: Depth=1
	global_load_b64 v[30:31], v[26:27], off
	v_add_nc_u64_e32 v[28:29], 1, v[28:29]
	v_add_nc_u64_e32 v[10:11], 64, v[10:11]
	s_wait_xcnt 0x0
	v_add_nc_u64_e32 v[26:27], 0x200, v[26:27]
	s_delay_alu instid0(VALU_DEP_3)
	v_cmp_eq_u64_e32 vcc_lo, 0, v[28:29]
	s_or_b32 s7, vcc_lo, s7
	s_wait_loadcnt 0x0
	v_sub_nc_u64_e32 v[34:35], v[30:31], v[8:9]
	global_load_b128 v[30:33], v[14:15], off
	v_lshlrev_b64_e32 v[46:47], 5, v[34:35]
	s_clause 0x2
	global_load_b128 v[34:37], v[14:15], off offset:32
	global_load_b128 v[38:41], v[14:15], off offset:96
	;; [unrolled: 1-line block ×3, first 2 shown]
	v_add_nc_u64_e32 v[70:71], s[4:5], v[46:47]
	s_clause 0x1
	global_load_b128 v[46:49], v[14:15], off offset:16
	global_load_b128 v[50:53], v[14:15], off offset:48
	s_clause 0x1
	global_load_b128 v[54:57], v[70:71], off
	global_load_b128 v[58:61], v[70:71], off offset:16
	s_clause 0x1
	global_load_b128 v[62:65], v[14:15], off offset:80
	global_load_b128 v[66:69], v[14:15], off offset:112
	s_wait_xcnt 0x0
	v_add_nc_u64_e32 v[14:15], 0x2000, v[14:15]
	s_wait_loadcnt 0x9
	v_xor_b32_e32 v70, 0x80000000, v33
	s_wait_loadcnt 0x8
	v_dual_mov_b32 v71, v32 :: v_dual_mov_b32 v73, v36
	v_xor_b32_e32 v72, 0x80000000, v37
	s_wait_loadcnt 0x6
	v_xor_b32_e32 v74, 0x80000000, v45
	v_dual_mov_b32 v75, v44 :: v_dual_mov_b32 v77, v40
	v_xor_b32_e32 v76, 0x80000000, v41
	s_wait_loadcnt 0x5
	v_xor_b32_e32 v78, 0x80000000, v49
	s_wait_loadcnt 0x4
	v_dual_mov_b32 v79, v48 :: v_dual_mov_b32 v81, v52
	s_wait_loadcnt 0x3
	v_pk_fma_f32 v[22:23], v[30:31], v[54:55], v[22:23] op_sel_hi:[1,0,1]
	v_pk_fma_f32 v[18:19], v[32:33], v[54:55], v[18:19] op_sel_hi:[1,0,1]
	;; [unrolled: 1-line block ×4, first 2 shown]
	v_xor_b32_e32 v80, 0x80000000, v53
	v_pk_fma_f32 v[22:23], v[30:31], v[54:55], v[22:23] op_sel:[1,1,0] op_sel_hi:[0,1,1] neg_lo:[1,0,0]
	v_pk_fma_f32 v[18:19], v[70:71], v[54:55], v[18:19] op_sel:[0,1,0]
	v_pk_fma_f32 v[20:21], v[46:47], v[54:55], v[20:21] op_sel:[1,1,0] op_sel_hi:[0,1,1] neg_lo:[1,0,0]
	v_pk_fma_f32 v[16:17], v[78:79], v[54:55], v[16:17] op_sel:[0,1,0]
	s_wait_loadcnt 0x1
	v_dual_mov_b32 v30, v57 :: v_dual_mov_b32 v33, v64
	v_pk_fma_f32 v[22:23], v[34:35], v[56:57], v[22:23] op_sel_hi:[1,0,1]
	v_pk_fma_f32 v[18:19], v[36:37], v[56:57], v[18:19] op_sel_hi:[1,0,1]
	v_pk_fma_f32 v[20:21], v[50:51], v[56:57], v[20:21] op_sel_hi:[1,0,1]
	v_pk_fma_f32 v[16:17], v[52:53], v[56:57], v[16:17] op_sel_hi:[1,0,1]
	v_xor_b32_e32 v32, 0x80000000, v65
	v_pk_fma_f32 v[22:23], v[34:35], v[30:31], v[22:23] op_sel:[1,0,0] op_sel_hi:[0,0,1] neg_lo:[1,0,0]
	v_pk_fma_f32 v[18:19], v[72:73], v[30:31], v[18:19] op_sel_hi:[1,0,1]
	v_pk_fma_f32 v[20:21], v[50:51], v[30:31], v[20:21] op_sel:[1,0,0] op_sel_hi:[0,0,1] neg_lo:[1,0,0]
	v_pk_fma_f32 v[16:17], v[80:81], v[30:31], v[16:17] op_sel_hi:[1,0,1]
	s_wait_loadcnt 0x0
	v_xor_b32_e32 v30, 0x80000000, v69
	v_pk_fma_f32 v[22:23], v[42:43], v[58:59], v[22:23] op_sel_hi:[1,0,1]
	v_pk_fma_f32 v[18:19], v[44:45], v[58:59], v[18:19] op_sel_hi:[1,0,1]
	;; [unrolled: 1-line block ×4, first 2 shown]
	v_mov_b32_e32 v31, v68
	v_pk_fma_f32 v[22:23], v[42:43], v[58:59], v[22:23] op_sel:[1,1,0] op_sel_hi:[0,1,1] neg_lo:[1,0,0]
	v_pk_fma_f32 v[18:19], v[74:75], v[58:59], v[18:19] op_sel:[0,1,0]
	v_pk_fma_f32 v[20:21], v[62:63], v[58:59], v[20:21] op_sel:[1,1,0] op_sel_hi:[0,1,1] neg_lo:[1,0,0]
	v_pk_fma_f32 v[16:17], v[32:33], v[58:59], v[16:17] op_sel:[0,1,0]
	v_mov_b32_e32 v32, v61
	v_pk_fma_f32 v[22:23], v[38:39], v[60:61], v[22:23] op_sel_hi:[1,0,1]
	v_pk_fma_f32 v[18:19], v[40:41], v[60:61], v[18:19] op_sel_hi:[1,0,1]
	;; [unrolled: 1-line block ×4, first 2 shown]
	s_delay_alu instid0(VALU_DEP_4) | instskip(NEXT) | instid1(VALU_DEP_4)
	v_pk_fma_f32 v[22:23], v[38:39], v[32:33], v[22:23] op_sel:[1,0,0] op_sel_hi:[0,0,1] neg_lo:[1,0,0]
	v_pk_fma_f32 v[18:19], v[76:77], v[32:33], v[18:19] op_sel_hi:[1,0,1]
	s_delay_alu instid0(VALU_DEP_4) | instskip(NEXT) | instid1(VALU_DEP_4)
	v_pk_fma_f32 v[20:21], v[66:67], v[32:33], v[20:21] op_sel:[1,0,0] op_sel_hi:[0,0,1] neg_lo:[1,0,0]
	v_pk_fma_f32 v[16:17], v[30:31], v[32:33], v[16:17] op_sel_hi:[1,0,1]
	s_and_not1_b32 exec_lo, exec_lo, s7
	s_cbranch_execnz .LBB54_27
; %bb.28:
	s_or_b32 exec_lo, exec_lo, s7
.LBB54_29:
	s_delay_alu instid0(SALU_CYCLE_1) | instskip(NEXT) | instid1(SALU_CYCLE_1)
	s_or_b32 exec_lo, exec_lo, s3
	s_mov_b32 s3, exec_lo
	v_cmpx_lt_u64_e32 0xbf, v[24:25]
	s_cbranch_execz .LBB54_33
; %bb.30:
	v_lshl_add_u64 v[24:25], v[10:11], 3, s[8:9]
	s_mov_b32 s7, 0
	s_delay_alu instid0(VALU_DEP_1)
	v_add_nc_u64_e32 v[24:25], 0x400, v[24:25]
.LBB54_31:                              ; =>This Inner Loop Header: Depth=1
	global_load_b64 v[114:115], v[24:25], off offset:-1024
	s_clause 0xd
	global_load_b128 v[26:29], v[14:15], off
	global_load_b128 v[30:33], v[14:15], off offset:16
	global_load_b128 v[34:37], v[14:15], off offset:48
	;; [unrolled: 1-line block ×13, first 2 shown]
	s_clause 0x2
	global_load_b64 v[122:123], v[24:25], off offset:-512
	global_load_b64 v[124:125], v[24:25], off
	global_load_b64 v[126:127], v[24:25], off offset:512
	s_clause 0x7
	global_load_b128 v[82:85], v[14:15], off offset:8272
	global_load_b128 v[86:89], v[14:15], off offset:8256
	global_load_b128 v[90:93], v[14:15], off offset:16432
	global_load_b128 v[94:97], v[14:15], off offset:16416
	global_load_b128 v[98:101], v[14:15], off offset:16400
	global_load_b128 v[102:105], v[14:15], off offset:16384
	global_load_b128 v[106:109], v[14:15], off offset:16496
	global_load_b128 v[110:113], v[14:15], off offset:16480
	v_add_nc_u64_e32 v[10:11], 0x100, v[10:11]
	s_wait_xcnt 0x8
	v_add_nc_u64_e32 v[24:25], 0x800, v[24:25]
	s_delay_alu instid0(VALU_DEP_2)
	v_cmp_ge_i64_e32 vcc_lo, v[10:11], v[12:13]
	s_or_b32 s7, vcc_lo, s7
	s_wait_loadcnt 0x19
	v_sub_nc_u64_e32 v[114:115], v[114:115], v[8:9]
	s_wait_loadcnt 0x18
	v_xor_b32_e32 v128, 0x80000000, v29
	v_mov_b32_e32 v129, v28
	s_delay_alu instid0(VALU_DEP_3) | instskip(NEXT) | instid1(VALU_DEP_1)
	v_lshlrev_b64_e32 v[114:115], 5, v[114:115]
	v_add_nc_u64_e32 v[130:131], s[4:5], v[114:115]
	s_wait_loadcnt 0xa
	v_sub_nc_u64_e32 v[122:123], v[122:123], v[8:9]
	s_wait_loadcnt 0x9
	v_sub_nc_u64_e32 v[124:125], v[124:125], v[8:9]
	;; [unrolled: 2-line block ×3, first 2 shown]
	s_clause 0x1
	global_load_b128 v[114:117], v[130:131], off
	global_load_b128 v[118:121], v[130:131], off offset:16
	v_lshlrev_b64_e32 v[122:123], 5, v[122:123]
	v_lshlrev_b64_e32 v[124:125], 5, v[124:125]
	s_delay_alu instid0(VALU_DEP_2) | instskip(NEXT) | instid1(VALU_DEP_2)
	v_add_nc_u64_e32 v[122:123], s[4:5], v[122:123]
	v_add_nc_u64_e32 v[124:125], s[4:5], v[124:125]
	s_wait_loadcnt 0x1
	v_pk_fma_f32 v[22:23], v[26:27], v[114:115], v[22:23] op_sel_hi:[1,0,1]
	s_wait_xcnt 0x0
	v_pk_fma_f32 v[130:131], v[28:29], v[114:115], v[18:19] op_sel_hi:[1,0,1]
	v_pk_fma_f32 v[18:19], v[30:31], v[114:115], v[20:21] op_sel_hi:[1,0,1]
	;; [unrolled: 1-line block ×3, first 2 shown]
	v_pk_fma_f32 v[132:133], v[26:27], v[114:115], v[22:23] op_sel:[1,1,0] op_sel_hi:[0,1,1] neg_lo:[1,0,0]
	v_xor_b32_e32 v22, 0x80000000, v33
	v_mov_b32_e32 v23, v32
	v_pk_fma_f32 v[30:31], v[30:31], v[114:115], v[18:19] op_sel:[1,1,0] op_sel_hi:[0,1,1] neg_lo:[1,0,0]
	v_pk_fma_f32 v[32:33], v[128:129], v[114:115], v[130:131] op_sel:[0,1,0]
	v_pk_fma_f32 v[128:129], v[38:39], v[116:117], v[132:133] op_sel_hi:[1,0,1]
	v_xor_b32_e32 v132, 0x80000000, v41
	v_pk_fma_f32 v[114:115], v[22:23], v[114:115], v[20:21] op_sel:[0,1,0]
	v_pk_fma_f32 v[30:31], v[34:35], v[116:117], v[30:31] op_sel_hi:[1,0,1]
	v_pk_fma_f32 v[130:131], v[40:41], v[116:117], v[32:33] op_sel_hi:[1,0,1]
	v_mov_b32_e32 v133, v40
	v_xor_b32_e32 v40, 0x80000000, v37
	v_pk_fma_f32 v[114:115], v[36:37], v[116:117], v[114:115] op_sel_hi:[1,0,1]
	v_dual_mov_b32 v116, v117 :: v_dual_mov_b32 v41, v36
	s_clause 0x2
	global_load_b128 v[26:29], v[14:15], off offset:16464
	global_load_b128 v[16:19], v[14:15], off offset:16448
	;; [unrolled: 1-line block ×3, first 2 shown]
	v_pk_fma_f32 v[38:39], v[38:39], v[116:117], v[128:129] op_sel:[1,0,0] op_sel_hi:[0,0,1] neg_lo:[1,0,0]
	v_pk_fma_f32 v[130:131], v[132:133], v[116:117], v[130:131] op_sel_hi:[1,0,1]
	v_pk_fma_f32 v[128:129], v[34:35], v[116:117], v[30:31] op_sel:[1,0,0] op_sel_hi:[0,0,1] neg_lo:[1,0,0]
	v_pk_fma_f32 v[114:115], v[40:41], v[116:117], v[114:115] op_sel_hi:[1,0,1]
	v_xor_b32_e32 v116, 0x80000000, v57
	v_mov_b32_e32 v117, v56
	s_wait_loadcnt 0x3
	v_pk_fma_f32 v[38:39], v[54:55], v[118:119], v[38:39] op_sel_hi:[1,0,1]
	v_pk_fma_f32 v[56:57], v[56:57], v[118:119], v[130:131] op_sel_hi:[1,0,1]
	v_xor_b32_e32 v130, 0x80000000, v53
	v_mov_b32_e32 v131, v52
	v_pk_fma_f32 v[114:115], v[52:53], v[118:119], v[114:115] op_sel_hi:[1,0,1]
	v_pk_fma_f32 v[54:55], v[54:55], v[118:119], v[38:39] op_sel:[1,1,0] op_sel_hi:[0,1,1] neg_lo:[1,0,0]
	v_pk_fma_f32 v[56:57], v[116:117], v[118:119], v[56:57] op_sel:[0,1,0]
	v_mov_b32_e32 v117, v48
	v_pk_fma_f32 v[128:129], v[50:51], v[118:119], v[128:129] op_sel_hi:[1,0,1]
	v_pk_fma_f32 v[114:115], v[130:131], v[118:119], v[114:115] op_sel:[0,1,0]
	v_pk_fma_f32 v[130:131], v[46:47], v[120:121], v[54:55] op_sel_hi:[1,0,1]
	v_pk_fma_f32 v[132:133], v[48:49], v[120:121], v[56:57] op_sel_hi:[1,0,1]
	global_load_b128 v[54:57], v[122:123], off
	v_pk_fma_f32 v[128:129], v[50:51], v[118:119], v[128:129] op_sel:[1,1,0] op_sel_hi:[0,1,1] neg_lo:[1,0,0]
	v_mov_b32_e32 v118, v121
	v_xor_b32_e32 v116, 0x80000000, v49
	v_pk_fma_f32 v[114:115], v[44:45], v[120:121], v[114:115] op_sel_hi:[1,0,1]
	global_load_b128 v[34:37], v[14:15], off offset:24576
	v_pk_fma_f32 v[128:129], v[42:43], v[120:121], v[128:129] op_sel_hi:[1,0,1]
	v_pk_fma_f32 v[120:121], v[46:47], v[118:119], v[130:131] op_sel:[1,0,0] op_sel_hi:[0,0,1] neg_lo:[1,0,0]
	global_load_b128 v[46:49], v[122:123], off offset:16
	s_wait_xcnt 0x0
	v_xor_b32_e32 v122, 0x80000000, v45
	v_mov_b32_e32 v123, v44
	v_pk_fma_f32 v[128:129], v[42:43], v[118:119], v[128:129] op_sel:[1,0,0] op_sel_hi:[0,0,1] neg_lo:[1,0,0]
	v_pk_fma_f32 v[130:131], v[116:117], v[118:119], v[132:133] op_sel_hi:[1,0,1]
	v_mov_b32_e32 v133, v72
	global_load_b128 v[42:45], v[14:15], off offset:24592
	v_pk_fma_f32 v[118:119], v[122:123], v[118:119], v[114:115] op_sel_hi:[1,0,1]
	global_load_b128 v[114:117], v[124:125], off
	v_xor_b32_e32 v132, 0x80000000, v73
	s_clause 0x2
	global_load_b128 v[30:33], v[14:15], off offset:24608
	global_load_b128 v[50:53], v[14:15], off offset:24640
	;; [unrolled: 1-line block ×3, first 2 shown]
	s_wait_loadcnt 0x7
	v_pk_fma_f32 v[120:121], v[70:71], v[54:55], v[120:121] op_sel_hi:[1,0,1]
	v_pk_fma_f32 v[118:119], v[68:69], v[54:55], v[118:119] op_sel_hi:[1,0,1]
	;; [unrolled: 1-line block ×3, first 2 shown]
	v_xor_b32_e32 v130, 0x80000000, v65
	v_mov_b32_e32 v131, v64
	v_pk_fma_f32 v[122:123], v[70:71], v[54:55], v[120:121] op_sel:[1,1,0] op_sel_hi:[0,1,1] neg_lo:[1,0,0]
	v_lshlrev_b64_e32 v[70:71], 5, v[126:127]
	v_pk_fma_f32 v[126:127], v[66:67], v[54:55], v[128:129] op_sel_hi:[1,0,1]
	v_xor_b32_e32 v120, 0x80000000, v69
	v_mov_b32_e32 v121, v68
	v_pk_fma_f32 v[128:129], v[132:133], v[54:55], v[72:73] op_sel:[0,1,0]
	v_pk_fma_f32 v[122:123], v[62:63], v[56:57], v[122:123] op_sel_hi:[1,0,1]
	v_pk_fma_f32 v[126:127], v[66:67], v[54:55], v[126:127] op_sel:[1,1,0] op_sel_hi:[0,1,1] neg_lo:[1,0,0]
	global_load_b128 v[66:69], v[124:125], off offset:16
	s_wait_xcnt 0x0
	v_add_nc_u64_e32 v[124:125], s[4:5], v[70:71]
	v_pk_fma_f32 v[54:55], v[120:121], v[54:55], v[118:119] op_sel:[0,1,0]
	v_pk_fma_f32 v[64:65], v[64:65], v[56:57], v[128:129] op_sel_hi:[1,0,1]
	v_mov_b32_e32 v128, v57
	s_clause 0x1
	global_load_b128 v[70:73], v[124:125], off offset:16
	global_load_b128 v[118:121], v[124:125], off
	s_wait_xcnt 0x0
	v_pk_fma_f32 v[124:125], v[58:59], v[56:57], v[126:127] op_sel_hi:[1,0,1]
	v_pk_fma_f32 v[126:127], v[60:61], v[56:57], v[54:55] op_sel_hi:[1,0,1]
	global_load_b128 v[54:57], v[14:15], off offset:24656
	v_pk_fma_f32 v[62:63], v[62:63], v[128:129], v[122:123] op_sel:[1,0,0] op_sel_hi:[0,0,1] neg_lo:[1,0,0]
	v_xor_b32_e32 v122, 0x80000000, v61
	v_mov_b32_e32 v123, v60
	v_pk_fma_f32 v[124:125], v[58:59], v[128:129], v[124:125] op_sel:[1,0,0] op_sel_hi:[0,0,1] neg_lo:[1,0,0]
	global_load_b128 v[58:61], v[14:15], off offset:24688
	v_pk_fma_f32 v[64:65], v[130:131], v[128:129], v[64:65] op_sel_hi:[1,0,1]
	v_mov_b32_e32 v131, v88
	v_pk_fma_f32 v[122:123], v[122:123], v[128:129], v[126:127] op_sel_hi:[1,0,1]
	v_xor_b32_e32 v130, 0x80000000, v89
	v_xor_b32_e32 v126, 0x80000000, v85
	v_dual_mov_b32 v127, v84 :: v_dual_mov_b32 v129, v80
	s_wait_loadcnt 0xa
	v_pk_fma_f32 v[62:63], v[86:87], v[46:47], v[62:63] op_sel_hi:[1,0,1]
	v_pk_fma_f32 v[64:65], v[88:89], v[46:47], v[64:65] op_sel_hi:[1,0,1]
	;; [unrolled: 1-line block ×4, first 2 shown]
	v_xor_b32_e32 v128, 0x80000000, v81
	v_pk_fma_f32 v[62:63], v[86:87], v[46:47], v[62:63] op_sel:[1,1,0] op_sel_hi:[0,1,1] neg_lo:[1,0,0]
	v_pk_fma_f32 v[64:65], v[130:131], v[46:47], v[64:65] op_sel:[0,1,0]
	v_pk_fma_f32 v[82:83], v[82:83], v[46:47], v[124:125] op_sel:[1,1,0] op_sel_hi:[0,1,1] neg_lo:[1,0,0]
	v_pk_fma_f32 v[46:47], v[126:127], v[46:47], v[84:85] op_sel:[0,1,0]
	v_xor_b32_e32 v86, 0x80000000, v77
	v_dual_mov_b32 v87, v76 :: v_dual_mov_b32 v89, v104
	v_mov_b32_e32 v85, v92
	v_pk_fma_f32 v[62:63], v[78:79], v[48:49], v[62:63] op_sel_hi:[1,0,1]
	v_pk_fma_f32 v[64:65], v[80:81], v[48:49], v[64:65] op_sel_hi:[1,0,1]
	v_pk_fma_f32 v[80:81], v[74:75], v[48:49], v[82:83] op_sel_hi:[1,0,1]
	v_pk_fma_f32 v[46:47], v[76:77], v[48:49], v[46:47] op_sel_hi:[1,0,1]
	v_mov_b32_e32 v48, v49
	v_xor_b32_e32 v88, 0x80000000, v105
	v_xor_b32_e32 v122, 0x80000000, v101
	v_dual_mov_b32 v123, v100 :: v_dual_mov_b32 v125, v96
	s_delay_alu instid0(VALU_DEP_4)
	v_pk_fma_f32 v[62:63], v[78:79], v[48:49], v[62:63] op_sel:[1,0,0] op_sel_hi:[0,0,1] neg_lo:[1,0,0]
	v_pk_fma_f32 v[74:75], v[74:75], v[48:49], v[80:81] op_sel:[1,0,0] op_sel_hi:[0,0,1] neg_lo:[1,0,0]
	v_pk_fma_f32 v[64:65], v[128:129], v[48:49], v[64:65] op_sel_hi:[1,0,1]
	v_pk_fma_f32 v[46:47], v[86:87], v[48:49], v[46:47] op_sel_hi:[1,0,1]
	v_xor_b32_e32 v124, 0x80000000, v97
	s_wait_loadcnt 0x8
	v_pk_fma_f32 v[48:49], v[102:103], v[114:115], v[62:63] op_sel_hi:[1,0,1]
	v_xor_b32_e32 v84, 0x80000000, v93
	v_pk_fma_f32 v[62:63], v[104:105], v[114:115], v[64:65] op_sel_hi:[1,0,1]
	v_pk_fma_f32 v[64:65], v[98:99], v[114:115], v[74:75] op_sel_hi:[1,0,1]
	;; [unrolled: 1-line block ×3, first 2 shown]
	v_pk_fma_f32 v[48:49], v[102:103], v[114:115], v[48:49] op_sel:[1,1,0] op_sel_hi:[0,1,1] neg_lo:[1,0,0]
	v_dual_mov_b32 v77, v28 :: v_dual_mov_b32 v86, v117
	v_pk_fma_f32 v[62:63], v[88:89], v[114:115], v[62:63] op_sel:[0,1,0]
	v_pk_fma_f32 v[64:65], v[98:99], v[114:115], v[64:65] op_sel:[1,1,0] op_sel_hi:[0,1,1] neg_lo:[1,0,0]
	v_pk_fma_f32 v[46:47], v[122:123], v[114:115], v[46:47] op_sel:[0,1,0]
	v_pk_fma_f32 v[48:49], v[94:95], v[116:117], v[48:49] op_sel_hi:[1,0,1]
	v_xor_b32_e32 v130, 0x80000000, v19
	v_pk_fma_f32 v[62:63], v[96:97], v[116:117], v[62:63] op_sel_hi:[1,0,1]
	v_pk_fma_f32 v[64:65], v[90:91], v[116:117], v[64:65] op_sel_hi:[1,0,1]
	;; [unrolled: 1-line block ×3, first 2 shown]
	v_pk_fma_f32 v[48:49], v[94:95], v[86:87], v[48:49] op_sel:[1,0,0] op_sel_hi:[0,0,1] neg_lo:[1,0,0]
	v_xor_b32_e32 v76, 0x80000000, v29
	v_pk_fma_f32 v[62:63], v[124:125], v[86:87], v[62:63] op_sel_hi:[1,0,1]
	v_pk_fma_f32 v[64:65], v[90:91], v[86:87], v[64:65] op_sel:[1,0,0] op_sel_hi:[0,0,1] neg_lo:[1,0,0]
	v_pk_fma_f32 v[46:47], v[84:85], v[86:87], v[46:47] op_sel_hi:[1,0,1]
	v_dual_mov_b32 v131, v18 :: v_dual_mov_b32 v79, v112
	v_xor_b32_e32 v78, 0x80000000, v113
	v_xor_b32_e32 v74, 0x80000000, v109
	v_dual_mov_b32 v75, v108 :: v_dual_mov_b32 v85, v44
	v_xor_b32_e32 v82, 0x80000000, v37
	s_wait_loadcnt 0x7
	v_dual_mov_b32 v83, v36 :: v_dual_mov_b32 v81, v32
	v_xor_b32_e32 v84, 0x80000000, v45
	v_xor_b32_e32 v80, 0x80000000, v33
	s_wait_loadcnt 0x6
	v_xor_b32_e32 v126, 0x80000000, v53
	s_wait_loadcnt 0x5
	v_dual_mov_b32 v127, v52 :: v_dual_mov_b32 v129, v40
	v_xor_b32_e32 v128, 0x80000000, v41
	s_wait_xcnt 0x0
	v_add_nc_u64_e32 v[14:15], 0x8000, v[14:15]
	s_wait_loadcnt 0x4
	v_pk_fma_f32 v[48:49], v[16:17], v[66:67], v[48:49] op_sel_hi:[1,0,1]
	v_pk_fma_f32 v[18:19], v[18:19], v[66:67], v[62:63] op_sel_hi:[1,0,1]
	;; [unrolled: 1-line block ×4, first 2 shown]
	v_mov_b32_e32 v46, v69
	v_pk_fma_f32 v[16:17], v[16:17], v[66:67], v[48:49] op_sel:[1,1,0] op_sel_hi:[0,1,1] neg_lo:[1,0,0]
	v_pk_fma_f32 v[18:19], v[130:131], v[66:67], v[18:19] op_sel:[0,1,0]
	v_pk_fma_f32 v[26:27], v[26:27], v[66:67], v[62:63] op_sel:[1,1,0] op_sel_hi:[0,1,1] neg_lo:[1,0,0]
	v_pk_fma_f32 v[28:29], v[76:77], v[66:67], v[28:29] op_sel:[0,1,0]
	v_mov_b32_e32 v49, v22
	v_pk_fma_f32 v[16:17], v[110:111], v[68:69], v[16:17] op_sel_hi:[1,0,1]
	v_pk_fma_f32 v[18:19], v[112:113], v[68:69], v[18:19] op_sel_hi:[1,0,1]
	;; [unrolled: 1-line block ×4, first 2 shown]
	v_xor_b32_e32 v48, 0x80000000, v23
	v_pk_fma_f32 v[16:17], v[110:111], v[46:47], v[16:17] op_sel:[1,0,0] op_sel_hi:[0,0,1] neg_lo:[1,0,0]
	v_pk_fma_f32 v[18:19], v[78:79], v[46:47], v[18:19] op_sel_hi:[1,0,1]
	v_pk_fma_f32 v[26:27], v[106:107], v[46:47], v[26:27] op_sel:[1,0,0] op_sel_hi:[0,0,1] neg_lo:[1,0,0]
	v_pk_fma_f32 v[28:29], v[74:75], v[46:47], v[28:29] op_sel_hi:[1,0,1]
	s_wait_loadcnt 0x2
	v_pk_fma_f32 v[16:17], v[34:35], v[118:119], v[16:17] op_sel_hi:[1,0,1]
	v_pk_fma_f32 v[18:19], v[36:37], v[118:119], v[18:19] op_sel_hi:[1,0,1]
	;; [unrolled: 1-line block ×4, first 2 shown]
	s_wait_loadcnt 0x1
	v_mov_b32_e32 v37, v56
	v_pk_fma_f32 v[16:17], v[34:35], v[118:119], v[16:17] op_sel:[1,1,0] op_sel_hi:[0,1,1] neg_lo:[1,0,0]
	v_pk_fma_f32 v[18:19], v[82:83], v[118:119], v[18:19] op_sel:[0,1,0]
	v_pk_fma_f32 v[26:27], v[42:43], v[118:119], v[26:27] op_sel:[1,1,0] op_sel_hi:[0,1,1] neg_lo:[1,0,0]
	v_pk_fma_f32 v[28:29], v[84:85], v[118:119], v[28:29] op_sel:[0,1,0]
	v_mov_b32_e32 v34, v121
	v_pk_fma_f32 v[16:17], v[30:31], v[120:121], v[16:17] op_sel_hi:[1,0,1]
	v_pk_fma_f32 v[18:19], v[32:33], v[120:121], v[18:19] op_sel_hi:[1,0,1]
	;; [unrolled: 1-line block ×4, first 2 shown]
	v_xor_b32_e32 v36, 0x80000000, v57
	v_pk_fma_f32 v[16:17], v[30:31], v[34:35], v[16:17] op_sel:[1,0,0] op_sel_hi:[0,0,1] neg_lo:[1,0,0]
	v_pk_fma_f32 v[18:19], v[80:81], v[34:35], v[18:19] op_sel_hi:[1,0,1]
	v_pk_fma_f32 v[20:21], v[20:21], v[34:35], v[26:27] op_sel:[1,0,0] op_sel_hi:[0,0,1] neg_lo:[1,0,0]
	v_pk_fma_f32 v[22:23], v[48:49], v[34:35], v[22:23] op_sel_hi:[1,0,1]
	s_wait_loadcnt 0x0
	v_xor_b32_e32 v26, 0x80000000, v61
	v_pk_fma_f32 v[16:17], v[50:51], v[70:71], v[16:17] op_sel_hi:[1,0,1]
	v_pk_fma_f32 v[18:19], v[52:53], v[70:71], v[18:19] op_sel_hi:[1,0,1]
	;; [unrolled: 1-line block ×4, first 2 shown]
	v_dual_mov_b32 v27, v60 :: v_dual_mov_b32 v28, v73
	v_pk_fma_f32 v[16:17], v[50:51], v[70:71], v[16:17] op_sel:[1,1,0] op_sel_hi:[0,1,1] neg_lo:[1,0,0]
	v_pk_fma_f32 v[18:19], v[126:127], v[70:71], v[18:19] op_sel:[0,1,0]
	v_pk_fma_f32 v[20:21], v[54:55], v[70:71], v[20:21] op_sel:[1,1,0] op_sel_hi:[0,1,1] neg_lo:[1,0,0]
	v_pk_fma_f32 v[22:23], v[36:37], v[70:71], v[22:23] op_sel:[0,1,0]
	s_delay_alu instid0(VALU_DEP_4) | instskip(NEXT) | instid1(VALU_DEP_4)
	v_pk_fma_f32 v[16:17], v[38:39], v[72:73], v[16:17] op_sel_hi:[1,0,1]
	v_pk_fma_f32 v[18:19], v[40:41], v[72:73], v[18:19] op_sel_hi:[1,0,1]
	s_delay_alu instid0(VALU_DEP_4) | instskip(NEXT) | instid1(VALU_DEP_4)
	v_pk_fma_f32 v[20:21], v[58:59], v[72:73], v[20:21] op_sel_hi:[1,0,1]
	v_pk_fma_f32 v[30:31], v[60:61], v[72:73], v[22:23] op_sel_hi:[1,0,1]
	s_delay_alu instid0(VALU_DEP_4) | instskip(NEXT) | instid1(VALU_DEP_4)
	v_pk_fma_f32 v[22:23], v[38:39], v[28:29], v[16:17] op_sel:[1,0,0] op_sel_hi:[0,0,1] neg_lo:[1,0,0]
	v_pk_fma_f32 v[18:19], v[128:129], v[28:29], v[18:19] op_sel_hi:[1,0,1]
	s_delay_alu instid0(VALU_DEP_4) | instskip(NEXT) | instid1(VALU_DEP_4)
	v_pk_fma_f32 v[20:21], v[58:59], v[28:29], v[20:21] op_sel:[1,0,0] op_sel_hi:[0,0,1] neg_lo:[1,0,0]
	v_pk_fma_f32 v[16:17], v[26:27], v[28:29], v[30:31] op_sel_hi:[1,0,1]
	s_and_not1_b32 exec_lo, exec_lo, s7
	s_cbranch_execnz .LBB54_31
; %bb.32:
	s_or_b32 exec_lo, exec_lo, s7
.LBB54_33:
	s_delay_alu instid0(SALU_CYCLE_1)
	s_or_b32 exec_lo, exec_lo, s3
.LBB54_34:
	s_delay_alu instid0(SALU_CYCLE_1)
	s_or_b32 exec_lo, exec_lo, s6
.LBB54_35:
	v_mbcnt_lo_u32_b32 v1, -1, 0
	s_delay_alu instid0(VALU_DEP_1) | instskip(SKIP_1) | instid1(VALU_DEP_1)
	v_xor_b32_e32 v24, 16, v1
	v_or_b32_e32 v8, 32, v1
	v_cmp_gt_i32_e32 vcc_lo, 32, v8
	v_cndmask_b32_e32 v8, v1, v8, vcc_lo
	s_delay_alu instid0(VALU_DEP_1)
	v_lshlrev_b32_e32 v8, 2, v8
	ds_bpermute_b32 v10, v8, v23
	s_wait_dscnt 0x0
	v_add_f32_e32 v10, v23, v10
	ds_bpermute_b32 v11, v8, v18
	ds_bpermute_b32 v9, v8, v22
	;; [unrolled: 1-line block ×7, first 2 shown]
	s_wait_dscnt 0x6
	v_add_f32_e32 v11, v18, v11
	v_cmp_gt_i32_e32 vcc_lo, 32, v24
	s_wait_dscnt 0x3
	v_dual_add_f32 v9, v22, v9 :: v_dual_add_f32 v15, v16, v15
	s_wait_dscnt 0x1
	v_dual_add_f32 v12, v19, v12 :: v_dual_add_f32 v14, v21, v14
	v_cndmask_b32_e32 v24, v1, v24, vcc_lo
	s_wait_dscnt 0x0
	v_dual_add_f32 v8, v17, v8 :: v_dual_add_f32 v13, v20, v13
	s_delay_alu instid0(VALU_DEP_2)
	v_lshlrev_b32_e32 v24, 2, v24
	ds_bpermute_b32 v16, v24, v9
	ds_bpermute_b32 v17, v24, v10
	;; [unrolled: 1-line block ×8, first 2 shown]
	s_wait_dscnt 0x7
	v_dual_add_f32 v9, v9, v16 :: v_dual_bitop2_b32 v24, 8, v1 bitop3:0x14
	s_delay_alu instid0(VALU_DEP_1)
	v_cmp_gt_i32_e32 vcc_lo, 32, v24
	s_wait_dscnt 0x4
	v_dual_add_f32 v10, v10, v17 :: v_dual_add_f32 v12, v12, v19
	s_wait_dscnt 0x2
	v_dual_add_f32 v13, v13, v20 :: v_dual_add_f32 v14, v14, v21
	s_wait_dscnt 0x1
	v_dual_add_f32 v15, v15, v22 :: v_dual_cndmask_b32 v24, v1, v24
	s_wait_dscnt 0x0
	v_dual_add_f32 v11, v11, v18 :: v_dual_add_f32 v8, v8, v23
	s_delay_alu instid0(VALU_DEP_2)
	v_lshlrev_b32_e32 v24, 2, v24
	ds_bpermute_b32 v16, v24, v9
	ds_bpermute_b32 v17, v24, v10
	;; [unrolled: 1-line block ×8, first 2 shown]
	v_xor_b32_e32 v24, 4, v1
	s_delay_alu instid0(VALU_DEP_1) | instskip(SKIP_4) | instid1(VALU_DEP_2)
	v_cmp_gt_i32_e32 vcc_lo, 32, v24
	v_cndmask_b32_e32 v24, v1, v24, vcc_lo
	s_wait_dscnt 0x6
	v_dual_add_f32 v9, v9, v16 :: v_dual_add_f32 v10, v10, v17
	s_wait_dscnt 0x5
	v_dual_add_f32 v11, v11, v18 :: v_dual_lshlrev_b32 v24, 2, v24
	s_wait_dscnt 0x3
	v_dual_add_f32 v12, v12, v19 :: v_dual_add_f32 v13, v13, v20
	s_wait_dscnt 0x1
	v_dual_add_f32 v14, v14, v21 :: v_dual_add_f32 v15, v15, v22
	s_wait_dscnt 0x0
	v_add_f32_e32 v8, v8, v23
	ds_bpermute_b32 v16, v24, v9
	ds_bpermute_b32 v17, v24, v10
	;; [unrolled: 1-line block ×8, first 2 shown]
	s_wait_dscnt 0x7
	v_dual_add_f32 v9, v9, v16 :: v_dual_bitop2_b32 v24, 2, v1 bitop3:0x14
	s_delay_alu instid0(VALU_DEP_1)
	v_cmp_gt_i32_e32 vcc_lo, 32, v24
	s_wait_dscnt 0x5
	v_dual_add_f32 v10, v10, v17 :: v_dual_add_f32 v11, v11, v18
	s_wait_dscnt 0x3
	v_dual_add_f32 v12, v12, v19 :: v_dual_add_f32 v13, v13, v20
	s_wait_dscnt 0x2
	v_dual_cndmask_b32 v24, v1, v24, vcc_lo :: v_dual_add_f32 v14, v14, v21
	s_wait_dscnt 0x0
	v_dual_add_f32 v15, v15, v22 :: v_dual_add_f32 v16, v8, v23
	s_delay_alu instid0(VALU_DEP_2)
	v_lshlrev_b32_e32 v24, 2, v24
	ds_bpermute_b32 v8, v24, v9
	ds_bpermute_b32 v17, v24, v10
	;; [unrolled: 1-line block ×8, first 2 shown]
	v_xor_b32_e32 v24, 1, v1
	s_delay_alu instid0(VALU_DEP_1)
	v_cmp_gt_i32_e32 vcc_lo, 32, v24
	v_cndmask_b32_e32 v1, v1, v24, vcc_lo
	v_cmp_eq_u32_e32 vcc_lo, 63, v0
	s_wait_dscnt 0x6
	v_dual_add_f32 v8, v9, v8 :: v_dual_add_f32 v9, v10, v17
	s_wait_dscnt 0x5
	v_dual_add_f32 v10, v11, v18 :: v_dual_lshlrev_b32 v24, 2, v1
	s_wait_dscnt 0x3
	v_dual_add_f32 v11, v12, v19 :: v_dual_add_f32 v12, v13, v20
	s_wait_dscnt 0x1
	v_dual_add_f32 v13, v14, v21 :: v_dual_add_f32 v15, v15, v22
	s_wait_dscnt 0x0
	v_add_f32_e32 v1, v16, v23
	ds_bpermute_b32 v14, v24, v8
	ds_bpermute_b32 v17, v24, v9
	;; [unrolled: 1-line block ×8, first 2 shown]
	s_and_b32 exec_lo, exec_lo, vcc_lo
	s_cbranch_execz .LBB54_6
; %bb.36:
	s_load_b64 s[0:1], s[0:1], 0x58
	s_wait_dscnt 0x6
	v_dual_add_f32 v0, v8, v14 :: v_dual_add_f32 v20, v9, v17
	s_wait_dscnt 0x4
	v_dual_add_f32 v8, v10, v18 :: v_dual_add_f32 v18, v11, v19
	;; [unrolled: 2-line block ×3, first 2 shown]
	s_wait_dscnt 0x1
	v_add_f32_e32 v12, v15, v23
	v_cmp_eq_f32_e32 vcc_lo, 0, v4
	v_lshlrev_b64_e32 v[22:23], 5, v[6:7]
	s_wait_dscnt 0x0
	v_add_f32_e32 v6, v1, v16
	v_xor_b32_e32 v16, 0x80000000, v3
	s_xor_b32 s2, s2, -1
	s_delay_alu instid0(SALU_CYCLE_1) | instskip(NEXT) | instid1(SALU_CYCLE_1)
	s_and_b32 s2, vcc_lo, s2
	s_and_saveexec_b32 s3, s2
	s_delay_alu instid0(SALU_CYCLE_1)
	s_xor_b32 s2, exec_lo, s3
	s_cbranch_execz .LBB54_38
; %bb.37:
	v_mov_b32_e32 v17, v2
	s_delay_alu instid0(VALU_DEP_1)
	v_pk_mul_f32 v[4:5], v[20:21], v[16:17] op_sel_hi:[0,1]
	v_pk_mul_f32 v[18:19], v[18:19], v[16:17] op_sel_hi:[0,1]
	;; [unrolled: 1-line block ×4, first 2 shown]
	s_wait_kmcnt 0x0
	v_add_nc_u64_e32 v[20:21], s[0:1], v[22:23]
	v_pk_fma_f32 v[4:5], v[2:3], v[0:1], v[4:5] op_sel_hi:[1,0,1]
	v_pk_fma_f32 v[6:7], v[2:3], v[8:9], v[18:19] op_sel_hi:[1,0,1]
	v_pk_fma_f32 v[0:1], v[2:3], v[10:11], v[14:15] op_sel_hi:[1,0,1]
	v_pk_fma_f32 v[2:3], v[2:3], v[12:13], v[16:17] op_sel_hi:[1,0,1]
                                        ; implicit-def: $vgpr8
                                        ; implicit-def: $vgpr18
                                        ; implicit-def: $vgpr10
                                        ; implicit-def: $vgpr14
                                        ; implicit-def: $vgpr12
                                        ; implicit-def: $vgpr16
                                        ; implicit-def: $vgpr22_vgpr23
	s_clause 0x1
	global_store_b128 v[20:21], v[4:7], off
	global_store_b128 v[20:21], v[0:3], off offset:16
                                        ; implicit-def: $vgpr0
                                        ; implicit-def: $vgpr20
                                        ; implicit-def: $vgpr6
                                        ; implicit-def: $vgpr2_vgpr3
                                        ; implicit-def: $vgpr4_vgpr5
.LBB54_38:
	s_wait_xcnt 0x0
	s_and_not1_saveexec_b32 s2, s2
	s_cbranch_execz .LBB54_6
; %bb.39:
	s_wait_kmcnt 0x0
	v_add_nc_u64_e32 v[30:31], s[0:1], v[22:23]
	v_dual_mov_b32 v17, v2 :: v_dual_mov_b32 v33, v4
	v_xor_b32_e32 v32, 0x80000000, v5
	s_clause 0x1
	global_load_b128 v[22:25], v[30:31], off
	global_load_b128 v[26:29], v[30:31], off offset:16
	v_pk_mul_f32 v[20:21], v[20:21], v[16:17] op_sel_hi:[0,1]
	v_pk_mul_f32 v[18:19], v[18:19], v[16:17] op_sel_hi:[0,1]
	;; [unrolled: 1-line block ×4, first 2 shown]
	s_delay_alu instid0(VALU_DEP_4) | instskip(NEXT) | instid1(VALU_DEP_4)
	v_pk_fma_f32 v[0:1], v[2:3], v[0:1], v[20:21] op_sel_hi:[1,0,1]
	v_pk_fma_f32 v[8:9], v[2:3], v[8:9], v[18:19] op_sel_hi:[1,0,1]
	s_delay_alu instid0(VALU_DEP_4) | instskip(NEXT) | instid1(VALU_DEP_4)
	v_pk_fma_f32 v[10:11], v[2:3], v[10:11], v[14:15] op_sel_hi:[1,0,1]
	v_pk_fma_f32 v[2:3], v[2:3], v[12:13], v[6:7] op_sel_hi:[1,0,1]
	s_wait_loadcnt 0x1
	v_pk_fma_f32 v[0:1], v[4:5], v[22:23], v[0:1] op_sel_hi:[1,0,1]
	v_pk_fma_f32 v[6:7], v[4:5], v[24:25], v[8:9] op_sel_hi:[1,0,1]
	s_wait_loadcnt 0x0
	v_dual_mov_b32 v8, v25 :: v_dual_mov_b32 v14, v29
	v_pk_fma_f32 v[10:11], v[4:5], v[26:27], v[10:11] op_sel_hi:[1,0,1]
	v_pk_fma_f32 v[12:13], v[4:5], v[28:29], v[2:3] op_sel_hi:[1,0,1]
	v_pk_fma_f32 v[0:1], v[32:33], v[22:23], v[0:1] op_sel:[0,1,0]
	s_delay_alu instid0(VALU_DEP_4) | instskip(NEXT) | instid1(VALU_DEP_4)
	v_pk_fma_f32 v[2:3], v[32:33], v[8:9], v[6:7] op_sel_hi:[1,0,1]
	v_pk_fma_f32 v[4:5], v[32:33], v[26:27], v[10:11] op_sel:[0,1,0]
	s_delay_alu instid0(VALU_DEP_4)
	v_pk_fma_f32 v[6:7], v[32:33], v[14:15], v[12:13] op_sel_hi:[1,0,1]
	s_clause 0x1
	global_store_b128 v[30:31], v[0:3], off
	global_store_b128 v[30:31], v[4:7], off offset:16
	s_sendmsg sendmsg(MSG_DEALLOC_VGPRS)
	s_endpgm
	.section	.rodata,"a",@progbits
	.p2align	6, 0x0
	.amdhsa_kernel _ZN9rocsparseL18bsrxmvn_4x4_kernelILj128ELj64E21rocsparse_complex_numIfEllS2_S2_S2_EEvT3_20rocsparse_direction_NS_24const_host_device_scalarIT1_EES3_PKS3_PKT2_SC_S9_PKT4_PKT5_S7_PT6_21rocsparse_index_base_b
		.amdhsa_group_segment_fixed_size 0
		.amdhsa_private_segment_fixed_size 0
		.amdhsa_kernarg_size 104
		.amdhsa_user_sgpr_count 2
		.amdhsa_user_sgpr_dispatch_ptr 0
		.amdhsa_user_sgpr_queue_ptr 0
		.amdhsa_user_sgpr_kernarg_segment_ptr 1
		.amdhsa_user_sgpr_dispatch_id 0
		.amdhsa_user_sgpr_kernarg_preload_length 0
		.amdhsa_user_sgpr_kernarg_preload_offset 0
		.amdhsa_user_sgpr_private_segment_size 0
		.amdhsa_wavefront_size32 1
		.amdhsa_uses_dynamic_stack 0
		.amdhsa_enable_private_segment 0
		.amdhsa_system_sgpr_workgroup_id_x 1
		.amdhsa_system_sgpr_workgroup_id_y 0
		.amdhsa_system_sgpr_workgroup_id_z 0
		.amdhsa_system_sgpr_workgroup_info 0
		.amdhsa_system_vgpr_workitem_id 0
		.amdhsa_next_free_vgpr 160
		.amdhsa_next_free_sgpr 14
		.amdhsa_named_barrier_count 0
		.amdhsa_reserve_vcc 1
		.amdhsa_float_round_mode_32 0
		.amdhsa_float_round_mode_16_64 0
		.amdhsa_float_denorm_mode_32 3
		.amdhsa_float_denorm_mode_16_64 3
		.amdhsa_fp16_overflow 0
		.amdhsa_memory_ordered 1
		.amdhsa_forward_progress 1
		.amdhsa_inst_pref_size 65
		.amdhsa_round_robin_scheduling 0
		.amdhsa_exception_fp_ieee_invalid_op 0
		.amdhsa_exception_fp_denorm_src 0
		.amdhsa_exception_fp_ieee_div_zero 0
		.amdhsa_exception_fp_ieee_overflow 0
		.amdhsa_exception_fp_ieee_underflow 0
		.amdhsa_exception_fp_ieee_inexact 0
		.amdhsa_exception_int_div_zero 0
	.end_amdhsa_kernel
	.section	.text._ZN9rocsparseL18bsrxmvn_4x4_kernelILj128ELj64E21rocsparse_complex_numIfEllS2_S2_S2_EEvT3_20rocsparse_direction_NS_24const_host_device_scalarIT1_EES3_PKS3_PKT2_SC_S9_PKT4_PKT5_S7_PT6_21rocsparse_index_base_b,"axG",@progbits,_ZN9rocsparseL18bsrxmvn_4x4_kernelILj128ELj64E21rocsparse_complex_numIfEllS2_S2_S2_EEvT3_20rocsparse_direction_NS_24const_host_device_scalarIT1_EES3_PKS3_PKT2_SC_S9_PKT4_PKT5_S7_PT6_21rocsparse_index_base_b,comdat
.Lfunc_end54:
	.size	_ZN9rocsparseL18bsrxmvn_4x4_kernelILj128ELj64E21rocsparse_complex_numIfEllS2_S2_S2_EEvT3_20rocsparse_direction_NS_24const_host_device_scalarIT1_EES3_PKS3_PKT2_SC_S9_PKT4_PKT5_S7_PT6_21rocsparse_index_base_b, .Lfunc_end54-_ZN9rocsparseL18bsrxmvn_4x4_kernelILj128ELj64E21rocsparse_complex_numIfEllS2_S2_S2_EEvT3_20rocsparse_direction_NS_24const_host_device_scalarIT1_EES3_PKS3_PKT2_SC_S9_PKT4_PKT5_S7_PT6_21rocsparse_index_base_b
                                        ; -- End function
	.set _ZN9rocsparseL18bsrxmvn_4x4_kernelILj128ELj64E21rocsparse_complex_numIfEllS2_S2_S2_EEvT3_20rocsparse_direction_NS_24const_host_device_scalarIT1_EES3_PKS3_PKT2_SC_S9_PKT4_PKT5_S7_PT6_21rocsparse_index_base_b.num_vgpr, 160
	.set _ZN9rocsparseL18bsrxmvn_4x4_kernelILj128ELj64E21rocsparse_complex_numIfEllS2_S2_S2_EEvT3_20rocsparse_direction_NS_24const_host_device_scalarIT1_EES3_PKS3_PKT2_SC_S9_PKT4_PKT5_S7_PT6_21rocsparse_index_base_b.num_agpr, 0
	.set _ZN9rocsparseL18bsrxmvn_4x4_kernelILj128ELj64E21rocsparse_complex_numIfEllS2_S2_S2_EEvT3_20rocsparse_direction_NS_24const_host_device_scalarIT1_EES3_PKS3_PKT2_SC_S9_PKT4_PKT5_S7_PT6_21rocsparse_index_base_b.numbered_sgpr, 14
	.set _ZN9rocsparseL18bsrxmvn_4x4_kernelILj128ELj64E21rocsparse_complex_numIfEllS2_S2_S2_EEvT3_20rocsparse_direction_NS_24const_host_device_scalarIT1_EES3_PKS3_PKT2_SC_S9_PKT4_PKT5_S7_PT6_21rocsparse_index_base_b.num_named_barrier, 0
	.set _ZN9rocsparseL18bsrxmvn_4x4_kernelILj128ELj64E21rocsparse_complex_numIfEllS2_S2_S2_EEvT3_20rocsparse_direction_NS_24const_host_device_scalarIT1_EES3_PKS3_PKT2_SC_S9_PKT4_PKT5_S7_PT6_21rocsparse_index_base_b.private_seg_size, 0
	.set _ZN9rocsparseL18bsrxmvn_4x4_kernelILj128ELj64E21rocsparse_complex_numIfEllS2_S2_S2_EEvT3_20rocsparse_direction_NS_24const_host_device_scalarIT1_EES3_PKS3_PKT2_SC_S9_PKT4_PKT5_S7_PT6_21rocsparse_index_base_b.uses_vcc, 1
	.set _ZN9rocsparseL18bsrxmvn_4x4_kernelILj128ELj64E21rocsparse_complex_numIfEllS2_S2_S2_EEvT3_20rocsparse_direction_NS_24const_host_device_scalarIT1_EES3_PKS3_PKT2_SC_S9_PKT4_PKT5_S7_PT6_21rocsparse_index_base_b.uses_flat_scratch, 1
	.set _ZN9rocsparseL18bsrxmvn_4x4_kernelILj128ELj64E21rocsparse_complex_numIfEllS2_S2_S2_EEvT3_20rocsparse_direction_NS_24const_host_device_scalarIT1_EES3_PKS3_PKT2_SC_S9_PKT4_PKT5_S7_PT6_21rocsparse_index_base_b.has_dyn_sized_stack, 0
	.set _ZN9rocsparseL18bsrxmvn_4x4_kernelILj128ELj64E21rocsparse_complex_numIfEllS2_S2_S2_EEvT3_20rocsparse_direction_NS_24const_host_device_scalarIT1_EES3_PKS3_PKT2_SC_S9_PKT4_PKT5_S7_PT6_21rocsparse_index_base_b.has_recursion, 0
	.set _ZN9rocsparseL18bsrxmvn_4x4_kernelILj128ELj64E21rocsparse_complex_numIfEllS2_S2_S2_EEvT3_20rocsparse_direction_NS_24const_host_device_scalarIT1_EES3_PKS3_PKT2_SC_S9_PKT4_PKT5_S7_PT6_21rocsparse_index_base_b.has_indirect_call, 0
	.section	.AMDGPU.csdata,"",@progbits
; Kernel info:
; codeLenInByte = 8272
; TotalNumSgprs: 16
; NumVgprs: 160
; ScratchSize: 0
; MemoryBound: 0
; FloatMode: 240
; IeeeMode: 1
; LDSByteSize: 0 bytes/workgroup (compile time only)
; SGPRBlocks: 0
; VGPRBlocks: 9
; NumSGPRsForWavesPerEU: 16
; NumVGPRsForWavesPerEU: 160
; NamedBarCnt: 0
; Occupancy: 6
; WaveLimiterHint : 1
; COMPUTE_PGM_RSRC2:SCRATCH_EN: 0
; COMPUTE_PGM_RSRC2:USER_SGPR: 2
; COMPUTE_PGM_RSRC2:TRAP_HANDLER: 0
; COMPUTE_PGM_RSRC2:TGID_X_EN: 1
; COMPUTE_PGM_RSRC2:TGID_Y_EN: 0
; COMPUTE_PGM_RSRC2:TGID_Z_EN: 0
; COMPUTE_PGM_RSRC2:TIDIG_COMP_CNT: 0
	.section	.text._ZN9rocsparseL18bsrxmvn_4x4_kernelILj128ELj4E21rocsparse_complex_numIdEllS2_S2_S2_EEvT3_20rocsparse_direction_NS_24const_host_device_scalarIT1_EES3_PKS3_PKT2_SC_S9_PKT4_PKT5_S7_PT6_21rocsparse_index_base_b,"axG",@progbits,_ZN9rocsparseL18bsrxmvn_4x4_kernelILj128ELj4E21rocsparse_complex_numIdEllS2_S2_S2_EEvT3_20rocsparse_direction_NS_24const_host_device_scalarIT1_EES3_PKS3_PKT2_SC_S9_PKT4_PKT5_S7_PT6_21rocsparse_index_base_b,comdat
	.globl	_ZN9rocsparseL18bsrxmvn_4x4_kernelILj128ELj4E21rocsparse_complex_numIdEllS2_S2_S2_EEvT3_20rocsparse_direction_NS_24const_host_device_scalarIT1_EES3_PKS3_PKT2_SC_S9_PKT4_PKT5_S7_PT6_21rocsparse_index_base_b ; -- Begin function _ZN9rocsparseL18bsrxmvn_4x4_kernelILj128ELj4E21rocsparse_complex_numIdEllS2_S2_S2_EEvT3_20rocsparse_direction_NS_24const_host_device_scalarIT1_EES3_PKS3_PKT2_SC_S9_PKT4_PKT5_S7_PT6_21rocsparse_index_base_b
	.p2align	8
	.type	_ZN9rocsparseL18bsrxmvn_4x4_kernelILj128ELj4E21rocsparse_complex_numIdEllS2_S2_S2_EEvT3_20rocsparse_direction_NS_24const_host_device_scalarIT1_EES3_PKS3_PKT2_SC_S9_PKT4_PKT5_S7_PT6_21rocsparse_index_base_b,@function
_ZN9rocsparseL18bsrxmvn_4x4_kernelILj128ELj4E21rocsparse_complex_numIdEllS2_S2_S2_EEvT3_20rocsparse_direction_NS_24const_host_device_scalarIT1_EES3_PKS3_PKT2_SC_S9_PKT4_PKT5_S7_PT6_21rocsparse_index_base_b: ; @_ZN9rocsparseL18bsrxmvn_4x4_kernelILj128ELj4E21rocsparse_complex_numIdEllS2_S2_S2_EEvT3_20rocsparse_direction_NS_24const_host_device_scalarIT1_EES3_PKS3_PKT2_SC_S9_PKT4_PKT5_S7_PT6_21rocsparse_index_base_b
; %bb.0:
	s_clause 0x1
	s_load_b64 s[4:5], s[0:1], 0x70
	s_load_b64 s[2:3], s[0:1], 0x10
	v_mov_b32_e32 v1, 0
	s_add_nc_u64 s[6:7], s[0:1], 16
	s_load_b64 s[8:9], s[0:1], 0x58
	s_wait_kmcnt 0x0
	s_bitcmp1_b32 s5, 0
	s_cselect_b32 s3, s7, s3
	s_cselect_b32 s2, s6, s2
	flat_load_b128 v[6:9], v1, s[2:3]
	s_wait_xcnt 0x0
	s_add_nc_u64 s[2:3], s[0:1], 0x58
	s_delay_alu instid0(SALU_CYCLE_1)
	s_cselect_b32 s3, s3, s9
	s_cselect_b32 s2, s2, s8
	flat_load_b128 v[2:5], v1, s[2:3]
	s_wait_loadcnt_dscnt 0x101
	v_cmp_eq_f64_e32 vcc_lo, 0, v[6:7]
	s_wait_xcnt 0x0
	v_cmp_eq_f64_e64 s2, 0, v[8:9]
	s_and_b32 s5, vcc_lo, s2
	s_mov_b32 s2, -1
	s_and_saveexec_b32 s3, s5
	s_cbranch_execz .LBB55_2
; %bb.1:
	s_wait_loadcnt_dscnt 0x0
	v_cmp_neq_f64_e32 vcc_lo, 1.0, v[2:3]
	v_cmp_neq_f64_e64 s2, 0, v[4:5]
	s_or_b32 s2, vcc_lo, s2
	s_delay_alu instid0(SALU_CYCLE_1)
	s_or_not1_b32 s2, s2, exec_lo
.LBB55_2:
	s_or_b32 exec_lo, exec_lo, s3
	s_and_saveexec_b32 s3, s2
	s_cbranch_execz .LBB55_8
; %bb.3:
	s_load_b64 s[2:3], s[0:1], 0x28
	s_bfe_u32 s5, ttmp6, 0x4000c
	s_and_b32 s6, ttmp6, 15
	s_add_co_i32 s5, s5, 1
	s_getreg_b32 s7, hwreg(HW_REG_IB_STS2, 6, 4)
	s_mul_i32 s5, ttmp9, s5
	v_dual_lshrrev_b32 v1, 2, v0 :: v_dual_mov_b32 v13, 0
	s_add_co_i32 s6, s6, s5
	s_cmp_eq_u32 s7, 0
	s_cselect_b32 s5, ttmp9, s6
	s_mov_b32 s6, 0
	v_lshl_or_b32 v12, s5, 5, v1
	s_wait_kmcnt 0x0
	s_cmp_lg_u64 s[2:3], 0
	s_cbranch_scc0 .LBB55_9
; %bb.4:
	s_load_b64 s[6:7], s[0:1], 0x20
                                        ; implicit-def: $vgpr26_vgpr27
                                        ; implicit-def: $vgpr10_vgpr11
	s_wait_kmcnt 0x0
	v_cmp_gt_i64_e32 vcc_lo, s[6:7], v[12:13]
	s_mov_b32 s7, 0
	s_mov_b32 s6, 0
	s_and_saveexec_b32 s5, vcc_lo
	s_delay_alu instid0(SALU_CYCLE_1)
	s_xor_b32 s8, exec_lo, s5
	s_cbranch_execz .LBB55_6
; %bb.5:
	v_lshl_add_u64 v[10:11], v[12:13], 3, s[2:3]
	s_mov_b32 s5, 0
	s_mov_b32 s6, exec_lo
	global_load_b64 v[10:11], v[10:11], off
	s_wait_loadcnt 0x0
	v_sub_nc_u64_e64 v[26:27], v[10:11], s[4:5]
	v_mov_b64_e32 v[10:11], s[4:5]
.LBB55_6:
	s_or_b32 exec_lo, exec_lo, s8
	s_delay_alu instid0(SALU_CYCLE_1)
	s_and_b32 vcc_lo, exec_lo, s7
	s_cbranch_vccnz .LBB55_10
.LBB55_7:
	s_and_b32 exec_lo, exec_lo, s6
	s_cbranch_execnz .LBB55_13
.LBB55_8:
	s_sendmsg sendmsg(MSG_DEALLOC_VGPRS)
	s_endpgm
.LBB55_9:
                                        ; implicit-def: $vgpr26_vgpr27
                                        ; implicit-def: $vgpr10_vgpr11
	s_cbranch_execz .LBB55_7
.LBB55_10:
	s_load_b64 s[2:3], s[0:1], 0x0
	s_wait_kmcnt 0x0
	v_cmp_gt_i64_e32 vcc_lo, s[2:3], v[12:13]
	s_and_saveexec_b32 s2, vcc_lo
; %bb.11:
	s_mov_b32 s5, 0
	s_or_b32 s6, s6, exec_lo
; %bb.12:
	s_or_b32 exec_lo, exec_lo, s2
	v_mov_b64_e32 v[10:11], s[4:5]
	v_mov_b64_e32 v[26:27], v[12:13]
	s_and_b32 exec_lo, exec_lo, s6
	s_cbranch_execz .LBB55_8
.LBB55_13:
	s_load_b256 s[4:11], s[0:1], 0x30
	s_delay_alu instid0(VALU_DEP_1) | instskip(SKIP_3) | instid1(VALU_DEP_2)
	v_lshlrev_b64_e32 v[12:13], 3, v[26:27]
	v_dual_mov_b32 v1, 0 :: v_dual_bitop2_b32 v0, 3, v0 bitop3:0x40
	s_load_b32 s3, s[0:1], 0x8
	s_wait_kmcnt 0x0
	v_add_nc_u64_e32 v[14:15], s[4:5], v[12:13]
	v_add_nc_u64_e32 v[12:13], s[6:7], v[12:13]
	s_cmp_eq_u64 s[6:7], 0
	s_load_b64 s[4:5], s[0:1], 0x50
	s_cselect_b32 vcc_lo, -1, 0
	s_cmp_eq_u32 s3, 1
	global_load_b64 v[36:37], v[14:15], off
	s_wait_xcnt 0x0
	v_add_nc_u64_e32 v[14:15], 8, v[14:15]
	s_delay_alu instid0(VALU_DEP_1) | instskip(SKIP_3) | instid1(VALU_DEP_1)
	v_dual_cndmask_b32 v13, v13, v15 :: v_dual_cndmask_b32 v12, v12, v14
	global_load_b64 v[12:13], v[12:13], off
	s_wait_loadcnt 0x1
	v_sub_nc_u64_e32 v[14:15], v[36:37], v[10:11]
	v_add_nc_u64_e32 v[14:15], v[14:15], v[0:1]
	s_wait_loadcnt 0x0
	v_sub_nc_u64_e32 v[16:17], v[12:13], v[10:11]
	s_delay_alu instid0(VALU_DEP_2) | instskip(NEXT) | instid1(VALU_DEP_2)
	v_lshlrev_b64_e32 v[18:19], 8, v[14:15]
	v_cmp_lt_i64_e64 s2, v[14:15], v[16:17]
	s_delay_alu instid0(VALU_DEP_2)
	v_add_nc_u64_e32 v[18:19], s[10:11], v[18:19]
	s_cbranch_scc1 .LBB55_25
; %bb.14:
	v_mov_b64_e32 v[12:13], 0
	v_mov_b64_e32 v[34:35], 0
	;; [unrolled: 1-line block ×8, first 2 shown]
	s_and_saveexec_b32 s3, s2
	s_cbranch_execz .LBB55_24
; %bb.15:
	v_dual_mov_b32 v13, v1 :: v_dual_bitop2_b32 v12, 4, v0 bitop3:0x54
	v_sub_nc_u64_e32 v[20:21], v[10:11], v[0:1]
	v_not_b32_e32 v23, v37
	v_not_b32_e32 v22, v36
	v_mov_b64_e32 v[32:33], 0
	v_sub_nc_u64_e32 v[12:13], v[12:13], v[10:11]
	v_mov_b64_e32 v[24:25], 0
	v_mov_b64_e32 v[30:31], 0
	v_add_nc_u64_e32 v[20:21], v[20:21], v[22:23]
	v_mov_b64_e32 v[22:23], 0
	v_mov_b64_e32 v[28:29], 0
	;; [unrolled: 1-line block ×3, first 2 shown]
	v_add_nc_u64_e32 v[12:13], v[12:13], v[36:37]
	v_mov_b64_e32 v[38:39], v[18:19]
	v_mov_b64_e32 v[40:41], v[14:15]
	s_mov_b32 s6, exec_lo
	s_delay_alu instid0(VALU_DEP_3) | instskip(NEXT) | instid1(VALU_DEP_1)
	v_max_i64 v[12:13], v[12:13], v[16:17]
	v_add_nc_u64_e32 v[42:43], v[20:21], v[12:13]
	v_mov_b64_e32 v[20:21], 0
	v_mov_b64_e32 v[12:13], 0
	s_delay_alu instid0(VALU_DEP_3) | instskip(NEXT) | instid1(VALU_DEP_1)
	v_dual_mov_b32 v47, 0 :: v_dual_bitop2_b32 v46, 12, v42 bitop3:0x40
	v_cmpx_ne_u64_e32 12, v[46:47]
	s_cbranch_execz .LBB55_19
; %bb.16:
	v_lshrrev_b32_e32 v12, 2, v42
	v_mov_b64_e32 v[34:35], 0
	v_mov_b64_e32 v[28:29], 0
	v_mov_b64_e32 v[30:31], 0
	v_mov_b64_e32 v[24:25], 0
	v_add_nc_u32_e32 v20, 1, v12
	v_mov_b64_e32 v[12:13], 0
	v_mov_b64_e32 v[32:33], 0
	;; [unrolled: 1-line block ×4, first 2 shown]
	v_and_b32_e32 v46, 3, v20
	v_mov_b64_e32 v[20:21], 0
	v_mov_b64_e32 v[38:39], v[18:19]
	v_lshl_add_u64 v[44:45], v[14:15], 3, s[8:9]
	s_mov_b32 s7, 0
	v_sub_nc_u64_e32 v[46:47], 0, v[46:47]
.LBB55_17:                              ; =>This Inner Loop Header: Depth=1
	global_load_b64 v[76:77], v[44:45], off
	s_clause 0x6
	global_load_b128 v[48:51], v[38:39], off offset:16
	global_load_b128 v[52:55], v[38:39], off
	global_load_b128 v[56:59], v[38:39], off offset:80
	global_load_b128 v[60:63], v[38:39], off offset:64
	;; [unrolled: 1-line block ×5, first 2 shown]
	v_add_nc_u64_e32 v[46:47], 1, v[46:47]
	v_add_nc_u64_e32 v[40:41], 4, v[40:41]
	s_wait_xcnt 0x7
	v_add_nc_u64_e32 v[44:45], 32, v[44:45]
	s_delay_alu instid0(VALU_DEP_3) | instskip(SKIP_3) | instid1(VALU_DEP_1)
	v_cmp_eq_u64_e32 vcc_lo, 0, v[46:47]
	s_or_b32 s7, vcc_lo, s7
	s_wait_loadcnt 0x7
	v_sub_nc_u64_e32 v[76:77], v[76:77], v[10:11]
	v_lshlrev_b64_e32 v[76:77], 6, v[76:77]
	s_wait_kmcnt 0x0
	s_delay_alu instid0(VALU_DEP_1)
	v_add_nc_u64_e32 v[128:129], s[4:5], v[76:77]
	global_load_b128 v[76:79], v[128:129], off
	global_load_b128 v[80:83], v[38:39], off offset:208
	global_load_b128 v[84:87], v[128:129], off offset:16
	s_clause 0x6
	global_load_b128 v[88:91], v[38:39], off offset:48
	global_load_b128 v[92:95], v[38:39], off offset:32
	;; [unrolled: 1-line block ×10, first 2 shown]
	s_wait_xcnt 0x1
	v_add_nc_u64_e32 v[38:39], 0x400, v[38:39]
	s_wait_loadcnt 0xc
	v_fmac_f64_e32 v[34:35], v[52:53], v[76:77]
	v_fmac_f64_e32 v[12:13], v[54:55], v[76:77]
	v_fmac_f64_e32 v[32:33], v[60:61], v[76:77]
	v_fmac_f64_e32 v[22:23], v[62:63], v[76:77]
	v_fmac_f64_e32 v[30:31], v[68:69], v[76:77]
	v_fmac_f64_e32 v[24:25], v[70:71], v[76:77]
	v_fmac_f64_e32 v[28:29], v[72:73], v[76:77]
	v_fmac_f64_e32 v[20:21], v[74:75], v[76:77]
	v_fma_f64 v[34:35], -v[54:55], v[78:79], v[34:35]
	v_fmac_f64_e32 v[12:13], v[52:53], v[78:79]
	v_fma_f64 v[32:33], -v[62:63], v[78:79], v[32:33]
	v_fmac_f64_e32 v[22:23], v[60:61], v[78:79]
	v_fma_f64 v[30:31], -v[70:71], v[78:79], v[30:31]
	v_fmac_f64_e32 v[24:25], v[68:69], v[78:79]
	v_fma_f64 v[28:29], -v[74:75], v[78:79], v[28:29]
	v_fmac_f64_e32 v[20:21], v[72:73], v[78:79]
	s_wait_loadcnt 0xa
	v_fmac_f64_e32 v[34:35], v[48:49], v[84:85]
	v_fmac_f64_e32 v[12:13], v[50:51], v[84:85]
	v_fmac_f64_e32 v[32:33], v[56:57], v[84:85]
	v_fmac_f64_e32 v[22:23], v[58:59], v[84:85]
	v_fmac_f64_e32 v[30:31], v[64:65], v[84:85]
	v_fmac_f64_e32 v[24:25], v[66:67], v[84:85]
	v_fmac_f64_e32 v[28:29], v[80:81], v[84:85]
	v_fmac_f64_e32 v[20:21], v[82:83], v[84:85]
	v_fma_f64 v[34:35], -v[50:51], v[86:87], v[34:35]
	v_fmac_f64_e32 v[12:13], v[48:49], v[86:87]
	v_fma_f64 v[32:33], -v[58:59], v[86:87], v[32:33]
	v_fmac_f64_e32 v[22:23], v[56:57], v[86:87]
	v_fma_f64 v[30:31], -v[66:67], v[86:87], v[30:31]
	v_fmac_f64_e32 v[24:25], v[64:65], v[86:87]
	v_fma_f64 v[28:29], -v[82:83], v[86:87], v[28:29]
	v_fmac_f64_e32 v[20:21], v[80:81], v[86:87]
	s_wait_loadcnt 0x2
	v_fmac_f64_e32 v[34:35], v[92:93], v[116:117]
	v_fmac_f64_e32 v[12:13], v[94:95], v[116:117]
	v_fmac_f64_e32 v[32:33], v[100:101], v[116:117]
	v_fmac_f64_e32 v[22:23], v[102:103], v[116:117]
	v_fmac_f64_e32 v[30:31], v[108:109], v[116:117]
	v_fmac_f64_e32 v[24:25], v[110:111], v[116:117]
	v_fmac_f64_e32 v[28:29], v[112:113], v[116:117]
	v_fmac_f64_e32 v[20:21], v[114:115], v[116:117]
	v_fma_f64 v[34:35], -v[94:95], v[118:119], v[34:35]
	v_fmac_f64_e32 v[12:13], v[92:93], v[118:119]
	v_fma_f64 v[32:33], -v[102:103], v[118:119], v[32:33]
	v_fmac_f64_e32 v[22:23], v[100:101], v[118:119]
	v_fma_f64 v[30:31], -v[110:111], v[118:119], v[30:31]
	v_fmac_f64_e32 v[24:25], v[108:109], v[118:119]
	v_fma_f64 v[28:29], -v[114:115], v[118:119], v[28:29]
	v_fmac_f64_e32 v[20:21], v[112:113], v[118:119]
	s_wait_loadcnt 0x0
	v_fmac_f64_e32 v[34:35], v[88:89], v[124:125]
	v_fmac_f64_e32 v[12:13], v[90:91], v[124:125]
	v_fmac_f64_e32 v[32:33], v[96:97], v[124:125]
	v_fmac_f64_e32 v[22:23], v[98:99], v[124:125]
	v_fmac_f64_e32 v[30:31], v[104:105], v[124:125]
	v_fmac_f64_e32 v[24:25], v[106:107], v[124:125]
	v_fmac_f64_e32 v[28:29], v[120:121], v[124:125]
	v_fmac_f64_e32 v[20:21], v[122:123], v[124:125]
	v_fma_f64 v[34:35], -v[90:91], v[126:127], v[34:35]
	v_fmac_f64_e32 v[12:13], v[88:89], v[126:127]
	v_fma_f64 v[32:33], -v[98:99], v[126:127], v[32:33]
	v_fmac_f64_e32 v[22:23], v[96:97], v[126:127]
	v_fma_f64 v[30:31], -v[106:107], v[126:127], v[30:31]
	v_fmac_f64_e32 v[24:25], v[104:105], v[126:127]
	v_fma_f64 v[28:29], -v[122:123], v[126:127], v[28:29]
	v_fmac_f64_e32 v[20:21], v[120:121], v[126:127]
	s_and_not1_b32 exec_lo, exec_lo, s7
	s_cbranch_execnz .LBB55_17
; %bb.18:
	s_or_b32 exec_lo, exec_lo, s7
.LBB55_19:
	s_delay_alu instid0(SALU_CYCLE_1) | instskip(NEXT) | instid1(SALU_CYCLE_1)
	s_or_b32 exec_lo, exec_lo, s6
	s_mov_b32 s6, exec_lo
	v_cmpx_lt_u64_e32 11, v[42:43]
	s_cbranch_execz .LBB55_23
; %bb.20:
	v_lshl_add_u64 v[42:43], v[40:41], 3, s[8:9]
	s_mov_b32 s7, 0
	s_delay_alu instid0(VALU_DEP_1)
	v_add_nc_u64_e32 v[42:43], 64, v[42:43]
.LBB55_21:                              ; =>This Inner Loop Header: Depth=1
	global_load_b64 v[156:157], v[42:43], off offset:-64
	s_clause 0x13
	global_load_b128 v[44:47], v[38:39], off offset:48
	global_load_b128 v[48:51], v[38:39], off offset:32
	;; [unrolled: 1-line block ×3, first 2 shown]
	global_load_b128 v[56:59], v[38:39], off
	global_load_b128 v[60:63], v[38:39], off offset:112
	global_load_b128 v[64:67], v[38:39], off offset:96
	;; [unrolled: 1-line block ×16, first 2 shown]
	s_clause 0x2
	global_load_b64 v[164:165], v[42:43], off offset:-32
	global_load_b64 v[166:167], v[42:43], off
	global_load_b64 v[168:169], v[42:43], off offset:32
	s_clause 0x7
	global_load_b128 v[124:127], v[38:39], off offset:1136
	global_load_b128 v[128:131], v[38:39], off offset:1120
	global_load_b128 v[132:135], v[38:39], off offset:1104
	global_load_b128 v[136:139], v[38:39], off offset:1088
	global_load_b128 v[140:143], v[38:39], off offset:1200
	global_load_b128 v[144:147], v[38:39], off offset:1184
	global_load_b128 v[148:151], v[38:39], off offset:1168
	global_load_b128 v[152:155], v[38:39], off offset:1152
	v_add_nc_u64_e32 v[40:41], 16, v[40:41]
	s_wait_xcnt 0x8
	v_add_nc_u64_e32 v[42:43], 0x80, v[42:43]
	s_delay_alu instid0(VALU_DEP_2) | instskip(SKIP_3) | instid1(VALU_DEP_1)
	v_cmp_ge_i64_e32 vcc_lo, v[40:41], v[16:17]
	s_or_b32 s7, vcc_lo, s7
	s_wait_loadcnt 0x1f
	v_sub_nc_u64_e32 v[156:157], v[156:157], v[10:11]
	v_lshlrev_b64_e32 v[156:157], 6, v[156:157]
	s_wait_kmcnt 0x0
	s_delay_alu instid0(VALU_DEP_1)
	v_add_nc_u64_e32 v[170:171], s[4:5], v[156:157]
	s_clause 0x1
	global_load_b128 v[156:159], v[170:171], off
	global_load_b128 v[160:163], v[170:171], off offset:16
	s_wait_loadcnt 0xc
	v_sub_nc_u64_e32 v[164:165], v[164:165], v[10:11]
	s_delay_alu instid0(VALU_DEP_1) | instskip(NEXT) | instid1(VALU_DEP_1)
	v_lshlrev_b64_e32 v[164:165], 6, v[164:165]
	v_add_nc_u64_e32 v[164:165], s[4:5], v[164:165]
	s_wait_loadcnt 0x1
	v_fmac_f64_e32 v[34:35], v[56:57], v[156:157]
	v_fmac_f64_e32 v[12:13], v[58:59], v[156:157]
	;; [unrolled: 1-line block ×8, first 2 shown]
	v_fma_f64 v[172:173], -v[58:59], v[158:159], v[34:35]
	v_fmac_f64_e32 v[12:13], v[56:57], v[158:159]
	v_fma_f64 v[174:175], -v[74:75], v[158:159], v[32:33]
	v_fmac_f64_e32 v[22:23], v[72:73], v[158:159]
	;; [unrolled: 2-line block ×4, first 2 shown]
	s_clause 0x4
	global_load_b128 v[56:59], v[38:39], off offset:1264
	global_load_b128 v[32:35], v[38:39], off offset:1248
	;; [unrolled: 1-line block ×5, first 2 shown]
	s_wait_loadcnt 0x5
	v_fmac_f64_e32 v[172:173], v[52:53], v[160:161]
	v_fmac_f64_e32 v[12:13], v[54:55], v[160:161]
	;; [unrolled: 1-line block ×8, first 2 shown]
	v_fma_f64 v[172:173], -v[54:55], v[162:163], v[172:173]
	v_fmac_f64_e32 v[12:13], v[52:53], v[162:163]
	global_load_b128 v[52:55], v[38:39], off offset:2080
	v_fma_f64 v[174:175], -v[70:71], v[162:163], v[174:175]
	v_fmac_f64_e32 v[22:23], v[68:69], v[162:163]
	global_load_b128 v[68:71], v[38:39], off offset:2064
	;; [unrolled: 3-line block ×4, first 2 shown]
	s_clause 0x1
	global_load_b128 v[104:107], v[170:171], off offset:32
	global_load_b128 v[156:159], v[170:171], off offset:48
	s_wait_loadcnt 0x1
	v_fmac_f64_e32 v[172:173], v[48:49], v[104:105]
	v_fmac_f64_e32 v[12:13], v[50:51], v[104:105]
	;; [unrolled: 1-line block ×8, first 2 shown]
	v_fma_f64 v[162:163], -v[50:51], v[106:107], v[172:173]
	v_fmac_f64_e32 v[12:13], v[48:49], v[106:107]
	s_wait_xcnt 0x0
	v_fma_f64 v[170:171], -v[66:67], v[106:107], v[174:175]
	v_fmac_f64_e32 v[22:23], v[64:65], v[106:107]
	v_fma_f64 v[172:173], -v[82:83], v[106:107], v[176:177]
	v_fmac_f64_e32 v[24:25], v[80:81], v[106:107]
	;; [unrolled: 2-line block ×3, first 2 shown]
	s_clause 0x4
	global_load_b128 v[48:51], v[38:39], off offset:2144
	global_load_b128 v[64:67], v[38:39], off offset:2128
	;; [unrolled: 1-line block ×5, first 2 shown]
	s_wait_loadcnt 0x5
	v_fmac_f64_e32 v[162:163], v[44:45], v[156:157]
	v_fmac_f64_e32 v[12:13], v[46:47], v[156:157]
	;; [unrolled: 1-line block ×8, first 2 shown]
	v_fma_f64 v[162:163], -v[46:47], v[158:159], v[162:163]
	v_fmac_f64_e32 v[12:13], v[44:45], v[158:159]
	global_load_b128 v[44:47], v[38:39], off offset:2192
	v_fma_f64 v[170:171], -v[62:63], v[158:159], v[170:171]
	v_fmac_f64_e32 v[22:23], v[60:61], v[158:159]
	global_load_b128 v[60:63], v[38:39], off offset:2176
	;; [unrolled: 3-line block ×3, first 2 shown]
	v_fma_f64 v[160:161], -v[94:95], v[158:159], v[160:161]
	v_fmac_f64_e32 v[20:21], v[92:93], v[158:159]
	s_clause 0x1
	global_load_b128 v[92:95], v[164:165], off
	global_load_b128 v[156:159], v[164:165], off offset:16
	s_wait_loadcnt 0x1
	v_fmac_f64_e32 v[170:171], v[136:137], v[92:93]
	v_fmac_f64_e32 v[22:23], v[138:139], v[92:93]
	;; [unrolled: 1-line block ×8, first 2 shown]
	v_fma_f64 v[170:171], -v[138:139], v[94:95], v[170:171]
	v_fmac_f64_e32 v[22:23], v[136:137], v[94:95]
	v_fma_f64 v[162:163], -v[122:123], v[94:95], v[162:163]
	v_fmac_f64_e32 v[12:13], v[120:121], v[94:95]
	s_clause 0x1
	global_load_b128 v[120:123], v[38:39], off offset:2272
	global_load_b128 v[136:139], v[38:39], off offset:2256
	v_fma_f64 v[172:173], -v[154:155], v[94:95], v[172:173]
	v_fmac_f64_e32 v[24:25], v[152:153], v[94:95]
	global_load_b128 v[152:155], v[38:39], off offset:2240
	v_fma_f64 v[160:161], -v[30:31], v[94:95], v[160:161]
	v_fmac_f64_e32 v[20:21], v[28:29], v[94:95]
	s_clause 0x1
	global_load_b128 v[28:31], v[38:39], off offset:3088
	global_load_b128 v[92:95], v[38:39], off offset:3072
	s_wait_loadcnt 0x5
	v_fmac_f64_e32 v[170:171], v[132:133], v[156:157]
	v_fmac_f64_e32 v[22:23], v[134:135], v[156:157]
	;; [unrolled: 1-line block ×8, first 2 shown]
	v_sub_nc_u64_e32 v[156:157], v[166:167], v[10:11]
	s_delay_alu instid0(VALU_DEP_1)
	v_lshlrev_b64_e32 v[156:157], 6, v[156:157]
	v_fma_f64 v[170:171], -v[134:135], v[158:159], v[170:171]
	v_fmac_f64_e32 v[22:23], v[132:133], v[158:159]
	global_load_b128 v[132:135], v[164:165], off offset:32
	v_fma_f64 v[162:163], -v[118:119], v[158:159], v[162:163]
	v_fmac_f64_e32 v[12:13], v[116:117], v[158:159]
	global_load_b128 v[116:119], v[38:39], off offset:3152
	;; [unrolled: 3-line block ×3, first 2 shown]
	s_wait_xcnt 0x0
	v_add_nc_u64_e32 v[164:165], s[4:5], v[156:157]
	v_fma_f64 v[160:161], -v[74:75], v[158:159], v[160:161]
	v_fmac_f64_e32 v[20:21], v[72:73], v[158:159]
	global_load_b128 v[72:75], v[38:39], off offset:3136
	global_load_b128 v[156:159], v[164:165], off
	s_wait_loadcnt 0x4
	v_fmac_f64_e32 v[162:163], v[112:113], v[132:133]
	v_fmac_f64_e32 v[12:13], v[114:115], v[132:133]
	;; [unrolled: 1-line block ×8, first 2 shown]
	v_fma_f64 v[162:163], -v[114:115], v[134:135], v[162:163]
	v_fmac_f64_e32 v[12:13], v[112:113], v[134:135]
	global_load_b128 v[112:115], v[164:165], off offset:16
	v_fma_f64 v[166:167], -v[130:131], v[134:135], v[170:171]
	v_fma_f64 v[170:171], -v[146:147], v[134:135], v[172:173]
	v_fmac_f64_e32 v[24:25], v[144:145], v[134:135]
	global_load_b128 v[144:147], v[164:165], off offset:32
	v_fmac_f64_e32 v[22:23], v[128:129], v[134:135]
	global_load_b128 v[128:131], v[38:39], off offset:3216
	v_fma_f64 v[172:173], -v[34:35], v[134:135], v[160:161]
	v_fmac_f64_e32 v[20:21], v[32:33], v[134:135]
	s_clause 0x1
	global_load_b128 v[32:35], v[38:39], off offset:3200
	global_load_b128 v[132:135], v[38:39], off offset:3280
	s_wait_loadcnt 0x7
	v_fmac_f64_e32 v[162:163], v[108:109], v[148:149]
	v_fmac_f64_e32 v[12:13], v[110:111], v[148:149]
	;; [unrolled: 1-line block ×8, first 2 shown]
	v_fma_f64 v[174:175], -v[110:111], v[150:151], v[162:163]
	v_fmac_f64_e32 v[12:13], v[108:109], v[150:151]
	global_load_b128 v[108:111], v[38:39], off offset:3264
	global_load_b128 v[160:163], v[164:165], off offset:48
	s_wait_xcnt 0x0
	v_sub_nc_u64_e32 v[164:165], v[168:169], v[10:11]
	v_fma_f64 v[166:167], -v[126:127], v[150:151], v[166:167]
	v_fma_f64 v[168:169], -v[142:143], v[150:151], v[170:171]
	v_fmac_f64_e32 v[24:25], v[140:141], v[150:151]
	v_fmac_f64_e32 v[22:23], v[124:125], v[150:151]
	global_load_b128 v[140:143], v[38:39], off offset:3120
	v_fma_f64 v[170:171], -v[58:59], v[150:151], v[172:173]
	v_lshlrev_b64_e32 v[164:165], 6, v[164:165]
	v_fmac_f64_e32 v[20:21], v[56:57], v[150:151]
	s_delay_alu instid0(VALU_DEP_2)
	v_add_nc_u64_e32 v[164:165], s[4:5], v[164:165]
	global_load_b128 v[124:127], v[164:165], off
	global_load_b128 v[56:59], v[38:39], off offset:3104
	global_load_b128 v[148:151], v[164:165], off offset:16
	s_wait_loadcnt 0xb
	v_fmac_f64_e32 v[174:175], v[84:85], v[156:157]
	v_fmac_f64_e32 v[12:13], v[86:87], v[156:157]
	;; [unrolled: 1-line block ×8, first 2 shown]
	v_fma_f64 v[172:173], -v[86:87], v[158:159], v[174:175]
	v_fmac_f64_e32 v[12:13], v[84:85], v[158:159]
	global_load_b128 v[84:87], v[38:39], off offset:3184
	v_fma_f64 v[166:167], -v[82:83], v[158:159], v[166:167]
	v_fma_f64 v[168:169], -v[62:63], v[158:159], v[168:169]
	v_fmac_f64_e32 v[24:25], v[60:61], v[158:159]
	v_fmac_f64_e32 v[22:23], v[80:81], v[158:159]
	global_load_b128 v[80:83], v[38:39], off offset:3168
	v_fma_f64 v[170:171], -v[154:155], v[158:159], v[170:171]
	global_load_b128 v[60:63], v[38:39], off offset:3248
	v_fmac_f64_e32 v[20:21], v[152:153], v[158:159]
	s_clause 0x1
	global_load_b128 v[152:155], v[38:39], off offset:3232
	global_load_b128 v[156:159], v[38:39], off offset:3296
	s_wait_loadcnt 0xf
	v_fmac_f64_e32 v[172:173], v[68:69], v[112:113]
	v_fmac_f64_e32 v[12:13], v[70:71], v[112:113]
	;; [unrolled: 1-line block ×8, first 2 shown]
	v_fma_f64 v[172:173], -v[70:71], v[114:115], v[172:173]
	v_fmac_f64_e32 v[12:13], v[68:69], v[114:115]
	global_load_b128 v[68:71], v[164:165], off offset:32
	v_fma_f64 v[112:113], -v[66:67], v[114:115], v[166:167]
	v_fmac_f64_e32 v[22:23], v[64:65], v[114:115]
	v_fma_f64 v[166:167], -v[46:47], v[114:115], v[168:169]
	v_fmac_f64_e32 v[24:25], v[44:45], v[114:115]
	;; [unrolled: 2-line block ×3, first 2 shown]
	global_load_b128 v[44:47], v[38:39], off offset:3312
	global_load_b128 v[64:67], v[164:165], off offset:48
	s_wait_xcnt 0x1
	v_add_nc_u64_e32 v[38:39], 0x1000, v[38:39]
	s_wait_loadcnt 0x11
	v_fmac_f64_e32 v[172:173], v[52:53], v[144:145]
	v_fmac_f64_e32 v[12:13], v[54:55], v[144:145]
	v_fmac_f64_e32 v[112:113], v[48:49], v[144:145]
	v_fmac_f64_e32 v[22:23], v[50:51], v[144:145]
	v_fmac_f64_e32 v[166:167], v[104:105], v[144:145]
	v_fmac_f64_e32 v[24:25], v[106:107], v[144:145]
	v_fmac_f64_e32 v[138:139], v[120:121], v[144:145]
	v_fmac_f64_e32 v[20:21], v[122:123], v[144:145]
	v_fma_f64 v[54:55], -v[54:55], v[146:147], v[172:173]
	v_fmac_f64_e32 v[12:13], v[52:53], v[146:147]
	v_fma_f64 v[50:51], -v[50:51], v[146:147], v[112:113]
	v_fmac_f64_e32 v[22:23], v[48:49], v[146:147]
	v_fma_f64 v[48:49], -v[106:107], v[146:147], v[166:167]
	v_fmac_f64_e32 v[24:25], v[104:105], v[146:147]
	v_fma_f64 v[52:53], -v[122:123], v[146:147], v[138:139]
	v_fmac_f64_e32 v[20:21], v[120:121], v[146:147]
	s_wait_loadcnt 0xc
	v_fmac_f64_e32 v[54:55], v[88:89], v[160:161]
	v_fmac_f64_e32 v[12:13], v[90:91], v[160:161]
	v_fmac_f64_e32 v[50:51], v[100:101], v[160:161]
	v_fmac_f64_e32 v[22:23], v[102:103], v[160:161]
	v_fmac_f64_e32 v[48:49], v[96:97], v[160:161]
	v_fmac_f64_e32 v[24:25], v[98:99], v[160:161]
	v_fmac_f64_e32 v[52:53], v[76:77], v[160:161]
	v_fmac_f64_e32 v[20:21], v[78:79], v[160:161]
	v_fma_f64 v[54:55], -v[90:91], v[162:163], v[54:55]
	v_fmac_f64_e32 v[12:13], v[88:89], v[162:163]
	v_fma_f64 v[50:51], -v[102:103], v[162:163], v[50:51]
	v_fmac_f64_e32 v[22:23], v[100:101], v[162:163]
	v_fma_f64 v[48:49], -v[98:99], v[162:163], v[48:49]
	v_fmac_f64_e32 v[24:25], v[96:97], v[162:163]
	v_fma_f64 v[52:53], -v[78:79], v[162:163], v[52:53]
	v_fmac_f64_e32 v[20:21], v[76:77], v[162:163]
	;; [unrolled: 17-line block ×6, first 2 shown]
	s_and_not1_b32 exec_lo, exec_lo, s7
	s_cbranch_execnz .LBB55_21
; %bb.22:
	s_or_b32 exec_lo, exec_lo, s7
.LBB55_23:
	s_delay_alu instid0(SALU_CYCLE_1)
	s_or_b32 exec_lo, exec_lo, s6
.LBB55_24:
	s_delay_alu instid0(SALU_CYCLE_1)
	s_or_b32 exec_lo, exec_lo, s3
	s_cbranch_execz .LBB55_26
	s_branch .LBB55_37
.LBB55_25:
                                        ; implicit-def: $vgpr12_vgpr13
                                        ; implicit-def: $vgpr34_vgpr35
                                        ; implicit-def: $vgpr28_vgpr29
                                        ; implicit-def: $vgpr20_vgpr21
                                        ; implicit-def: $vgpr30_vgpr31
                                        ; implicit-def: $vgpr24_vgpr25
                                        ; implicit-def: $vgpr32_vgpr33
                                        ; implicit-def: $vgpr22_vgpr23
.LBB55_26:
	v_mov_b64_e32 v[12:13], 0
	v_mov_b64_e32 v[34:35], 0
	v_mov_b64_e32 v[28:29], 0
	v_mov_b64_e32 v[20:21], 0
	v_mov_b64_e32 v[30:31], 0
	v_mov_b64_e32 v[24:25], 0
	v_mov_b64_e32 v[32:33], 0
	v_mov_b64_e32 v[22:23], 0
	s_and_saveexec_b32 s3, s2
	s_cbranch_execz .LBB55_36
; %bb.27:
	v_dual_mov_b32 v13, v1 :: v_dual_bitop2_b32 v12, 4, v0 bitop3:0x54
	v_sub_nc_u64_e32 v[20:21], v[10:11], v[0:1]
	v_not_b32_e32 v23, v37
	v_not_b32_e32 v22, v36
	v_mov_b64_e32 v[32:33], 0
	v_sub_nc_u64_e32 v[12:13], v[12:13], v[10:11]
	v_mov_b64_e32 v[24:25], 0
	v_mov_b64_e32 v[30:31], 0
	v_add_nc_u64_e32 v[20:21], v[20:21], v[22:23]
	v_mov_b64_e32 v[22:23], 0
	v_mov_b64_e32 v[28:29], 0
	;; [unrolled: 1-line block ×3, first 2 shown]
	v_add_nc_u64_e32 v[12:13], v[12:13], v[36:37]
	s_mov_b32 s2, exec_lo
	s_delay_alu instid0(VALU_DEP_1) | instskip(NEXT) | instid1(VALU_DEP_1)
	v_max_i64 v[12:13], v[12:13], v[16:17]
	v_add_nc_u64_e32 v[36:37], v[20:21], v[12:13]
	v_mov_b64_e32 v[20:21], 0
	v_mov_b64_e32 v[12:13], 0
	s_delay_alu instid0(VALU_DEP_3) | instskip(NEXT) | instid1(VALU_DEP_1)
	v_dual_mov_b32 v39, 0 :: v_dual_bitop2_b32 v38, 12, v36 bitop3:0x40
	v_cmpx_ne_u64_e32 12, v[38:39]
	s_cbranch_execz .LBB55_31
; %bb.28:
	v_lshrrev_b32_e32 v1, 2, v36
	v_mov_b64_e32 v[12:13], 0
	v_mov_b64_e32 v[34:35], 0
	;; [unrolled: 1-line block ×4, first 2 shown]
	v_add_nc_u32_e32 v1, 1, v1
	v_mov_b64_e32 v[30:31], 0
	v_mov_b64_e32 v[24:25], 0
	;; [unrolled: 1-line block ×4, first 2 shown]
	v_and_b32_e32 v38, 3, v1
	v_lshl_add_u64 v[40:41], v[14:15], 3, s[8:9]
	s_mov_b32 s6, 0
	s_delay_alu instid0(VALU_DEP_2)
	v_sub_nc_u64_e32 v[38:39], 0, v[38:39]
.LBB55_29:                              ; =>This Inner Loop Header: Depth=1
	global_load_b64 v[58:59], v[40:41], off
	s_clause 0x3
	global_load_b128 v[42:45], v[18:19], off offset:48
	global_load_b128 v[46:49], v[18:19], off offset:32
	;; [unrolled: 1-line block ×3, first 2 shown]
	global_load_b128 v[54:57], v[18:19], off
	v_add_nc_u64_e32 v[38:39], 1, v[38:39]
	v_add_nc_u64_e32 v[14:15], 4, v[14:15]
	s_wait_xcnt 0x4
	v_add_nc_u64_e32 v[40:41], 32, v[40:41]
	s_delay_alu instid0(VALU_DEP_3) | instskip(SKIP_3) | instid1(VALU_DEP_1)
	v_cmp_eq_u64_e32 vcc_lo, 0, v[38:39]
	s_or_b32 s6, vcc_lo, s6
	s_wait_loadcnt 0x4
	v_sub_nc_u64_e32 v[58:59], v[58:59], v[10:11]
	v_lshlrev_b64_e32 v[58:59], 6, v[58:59]
	s_wait_kmcnt 0x0
	s_delay_alu instid0(VALU_DEP_1)
	v_add_nc_u64_e32 v[118:119], s[4:5], v[58:59]
	global_load_b128 v[58:61], v[118:119], off
	s_clause 0x3
	global_load_b128 v[62:65], v[18:19], off offset:112
	global_load_b128 v[66:69], v[18:19], off offset:96
	;; [unrolled: 1-line block ×5, first 2 shown]
	s_clause 0x3
	global_load_b128 v[82:85], v[18:19], off offset:176
	global_load_b128 v[86:89], v[18:19], off offset:160
	;; [unrolled: 1-line block ×4, first 2 shown]
	s_clause 0x1
	global_load_b128 v[98:101], v[118:119], off offset:32
	global_load_b128 v[102:105], v[118:119], off offset:48
	s_clause 0x3
	global_load_b128 v[106:109], v[18:19], off offset:192
	global_load_b128 v[110:113], v[18:19], off offset:208
	;; [unrolled: 1-line block ×3, first 2 shown]
	; meta instruction
	global_load_b128 v[118:121], v[18:19], off offset:240
	s_wait_xcnt 0x0
	v_add_nc_u64_e32 v[18:19], 0x400, v[18:19]
	s_wait_loadcnt 0xf
	v_fmac_f64_e32 v[34:35], v[54:55], v[58:59]
	v_fmac_f64_e32 v[12:13], v[56:57], v[58:59]
	v_fmac_f64_e32 v[32:33], v[50:51], v[58:59]
	v_fmac_f64_e32 v[22:23], v[52:53], v[58:59]
	v_fmac_f64_e32 v[30:31], v[46:47], v[58:59]
	v_fmac_f64_e32 v[24:25], v[48:49], v[58:59]
	v_fmac_f64_e32 v[28:29], v[42:43], v[58:59]
	v_fmac_f64_e32 v[20:21], v[44:45], v[58:59]
	v_fma_f64 v[34:35], -v[56:57], v[60:61], v[34:35]
	v_fmac_f64_e32 v[12:13], v[54:55], v[60:61]
	v_fma_f64 v[32:33], -v[52:53], v[60:61], v[32:33]
	v_fmac_f64_e32 v[22:23], v[50:51], v[60:61]
	v_fma_f64 v[30:31], -v[48:49], v[60:61], v[30:31]
	v_fmac_f64_e32 v[24:25], v[46:47], v[60:61]
	v_fma_f64 v[28:29], -v[44:45], v[60:61], v[28:29]
	v_fmac_f64_e32 v[20:21], v[42:43], v[60:61]
	s_wait_loadcnt 0xa
	v_fmac_f64_e32 v[34:35], v[74:75], v[78:79]
	v_fmac_f64_e32 v[12:13], v[76:77], v[78:79]
	v_fmac_f64_e32 v[32:33], v[70:71], v[78:79]
	v_fmac_f64_e32 v[22:23], v[72:73], v[78:79]
	v_fmac_f64_e32 v[30:31], v[66:67], v[78:79]
	v_fmac_f64_e32 v[24:25], v[68:69], v[78:79]
	v_fmac_f64_e32 v[28:29], v[62:63], v[78:79]
	v_fmac_f64_e32 v[20:21], v[64:65], v[78:79]
	v_fma_f64 v[34:35], -v[76:77], v[80:81], v[34:35]
	v_fmac_f64_e32 v[12:13], v[74:75], v[80:81]
	v_fma_f64 v[32:33], -v[72:73], v[80:81], v[32:33]
	v_fmac_f64_e32 v[22:23], v[70:71], v[80:81]
	v_fma_f64 v[30:31], -v[68:69], v[80:81], v[30:31]
	v_fmac_f64_e32 v[24:25], v[66:67], v[80:81]
	v_fma_f64 v[28:29], -v[64:65], v[80:81], v[28:29]
	v_fmac_f64_e32 v[20:21], v[62:63], v[80:81]
	;; [unrolled: 17-line block ×3, first 2 shown]
	s_wait_loadcnt 0x3
	v_fmac_f64_e32 v[34:35], v[106:107], v[102:103]
	v_fmac_f64_e32 v[12:13], v[108:109], v[102:103]
	s_wait_loadcnt 0x2
	v_fmac_f64_e32 v[32:33], v[110:111], v[102:103]
	v_fmac_f64_e32 v[22:23], v[112:113], v[102:103]
	s_wait_loadcnt 0x1
	v_fmac_f64_e32 v[30:31], v[114:115], v[102:103]
	v_fmac_f64_e32 v[24:25], v[116:117], v[102:103]
	s_wait_loadcnt 0x0
	v_fmac_f64_e32 v[28:29], v[118:119], v[102:103]
	v_fmac_f64_e32 v[20:21], v[120:121], v[102:103]
	v_fma_f64 v[34:35], -v[108:109], v[104:105], v[34:35]
	v_fmac_f64_e32 v[12:13], v[106:107], v[104:105]
	v_fma_f64 v[32:33], -v[112:113], v[104:105], v[32:33]
	v_fmac_f64_e32 v[22:23], v[110:111], v[104:105]
	;; [unrolled: 2-line block ×4, first 2 shown]
	s_and_not1_b32 exec_lo, exec_lo, s6
	s_cbranch_execnz .LBB55_29
; %bb.30:
	s_or_b32 exec_lo, exec_lo, s6
.LBB55_31:
	s_delay_alu instid0(SALU_CYCLE_1) | instskip(NEXT) | instid1(SALU_CYCLE_1)
	s_or_b32 exec_lo, exec_lo, s2
	s_mov_b32 s2, exec_lo
	v_cmpx_lt_u64_e32 11, v[36:37]
	s_cbranch_execz .LBB55_35
; %bb.32:
	v_lshl_add_u64 v[36:37], v[14:15], 3, s[8:9]
	s_mov_b32 s6, 0
	s_delay_alu instid0(VALU_DEP_1)
	v_add_nc_u64_e32 v[36:37], 64, v[36:37]
.LBB55_33:                              ; =>This Inner Loop Header: Depth=1
	global_load_b64 v[134:135], v[36:37], off offset:-64
	s_clause 0xf
	global_load_b128 v[38:41], v[18:19], off offset:48
	global_load_b128 v[42:45], v[18:19], off offset:32
	;; [unrolled: 1-line block ×3, first 2 shown]
	global_load_b128 v[50:53], v[18:19], off
	global_load_b128 v[54:57], v[18:19], off offset:112
	global_load_b128 v[58:61], v[18:19], off offset:96
	;; [unrolled: 1-line block ×12, first 2 shown]
	s_clause 0x2
	global_load_b64 v[142:143], v[36:37], off offset:-32
	global_load_b64 v[144:145], v[36:37], off
	global_load_b64 v[146:147], v[36:37], off offset:32
	s_clause 0x7
	global_load_b128 v[102:105], v[18:19], off offset:1072
	global_load_b128 v[106:109], v[18:19], off offset:1056
	;; [unrolled: 1-line block ×8, first 2 shown]
	v_add_nc_u64_e32 v[14:15], 16, v[14:15]
	s_wait_xcnt 0x8
	v_add_nc_u64_e32 v[36:37], 0x80, v[36:37]
	s_delay_alu instid0(VALU_DEP_2) | instskip(SKIP_3) | instid1(VALU_DEP_1)
	v_cmp_ge_i64_e32 vcc_lo, v[14:15], v[16:17]
	s_or_b32 s6, vcc_lo, s6
	s_wait_loadcnt 0x1b
	v_sub_nc_u64_e32 v[134:135], v[134:135], v[10:11]
	v_lshlrev_b64_e32 v[134:135], 6, v[134:135]
	s_wait_kmcnt 0x0
	s_delay_alu instid0(VALU_DEP_1)
	v_add_nc_u64_e32 v[148:149], s[4:5], v[134:135]
	s_clause 0x1
	global_load_b128 v[134:137], v[148:149], off
	global_load_b128 v[138:141], v[148:149], off offset:16
	s_wait_loadcnt 0xc
	v_sub_nc_u64_e32 v[142:143], v[142:143], v[10:11]
	s_wait_loadcnt 0xb
	v_sub_nc_u64_e32 v[144:145], v[144:145], v[10:11]
	;; [unrolled: 2-line block ×3, first 2 shown]
	s_delay_alu instid0(VALU_DEP_3) | instskip(NEXT) | instid1(VALU_DEP_3)
	v_lshlrev_b64_e32 v[142:143], 6, v[142:143]
	v_lshlrev_b64_e32 v[144:145], 6, v[144:145]
	s_delay_alu instid0(VALU_DEP_2) | instskip(NEXT) | instid1(VALU_DEP_2)
	v_add_nc_u64_e32 v[142:143], s[4:5], v[142:143]
	v_add_nc_u64_e32 v[144:145], s[4:5], v[144:145]
	s_wait_loadcnt 0x1
	v_fmac_f64_e32 v[34:35], v[50:51], v[134:135]
	v_fmac_f64_e32 v[12:13], v[52:53], v[134:135]
	;; [unrolled: 1-line block ×8, first 2 shown]
	v_fma_f64 v[150:151], -v[52:53], v[136:137], v[34:35]
	v_fmac_f64_e32 v[12:13], v[50:51], v[136:137]
	v_fma_f64 v[152:153], -v[48:49], v[136:137], v[32:33]
	v_fmac_f64_e32 v[22:23], v[46:47], v[136:137]
	;; [unrolled: 2-line block ×4, first 2 shown]
	s_clause 0x5
	global_load_b128 v[50:53], v[18:19], off offset:1200
	global_load_b128 v[32:35], v[18:19], off offset:1184
	;; [unrolled: 1-line block ×6, first 2 shown]
	s_wait_loadcnt 0x6
	v_fmac_f64_e32 v[150:151], v[66:67], v[138:139]
	v_fmac_f64_e32 v[12:13], v[68:69], v[138:139]
	;; [unrolled: 1-line block ×8, first 2 shown]
	v_fma_f64 v[150:151], -v[68:69], v[140:141], v[150:151]
	v_fmac_f64_e32 v[12:13], v[66:67], v[140:141]
	v_fma_f64 v[152:153], -v[64:65], v[140:141], v[152:153]
	v_fmac_f64_e32 v[22:23], v[62:63], v[140:141]
	global_load_b128 v[62:65], v[18:19], off offset:1232
	v_fma_f64 v[154:155], -v[60:61], v[140:141], v[154:155]
	v_fmac_f64_e32 v[24:25], v[58:59], v[140:141]
	global_load_b128 v[58:61], v[18:19], off offset:1216
	;; [unrolled: 3-line block ×3, first 2 shown]
	s_clause 0x1
	global_load_b128 v[66:69], v[148:149], off offset:32
	global_load_b128 v[134:137], v[148:149], off offset:48
	s_wait_loadcnt 0x1
	v_fmac_f64_e32 v[150:151], v[82:83], v[66:67]
	v_fmac_f64_e32 v[12:13], v[84:85], v[66:67]
	;; [unrolled: 1-line block ×8, first 2 shown]
	v_fma_f64 v[140:141], -v[84:85], v[68:69], v[150:151]
	v_fmac_f64_e32 v[12:13], v[82:83], v[68:69]
	s_wait_xcnt 0x0
	v_fma_f64 v[148:149], -v[80:81], v[68:69], v[152:153]
	v_fmac_f64_e32 v[22:23], v[78:79], v[68:69]
	v_fma_f64 v[150:151], -v[76:77], v[68:69], v[154:155]
	v_fmac_f64_e32 v[24:25], v[74:75], v[68:69]
	;; [unrolled: 2-line block ×3, first 2 shown]
	s_clause 0x4
	global_load_b128 v[82:85], v[18:19], off offset:2080
	global_load_b128 v[78:81], v[18:19], off offset:2064
	;; [unrolled: 1-line block ×5, first 2 shown]
	s_wait_loadcnt 0x5
	v_fmac_f64_e32 v[140:141], v[98:99], v[134:135]
	v_fmac_f64_e32 v[12:13], v[100:101], v[134:135]
	;; [unrolled: 1-line block ×8, first 2 shown]
	v_fma_f64 v[140:141], -v[100:101], v[136:137], v[140:141]
	v_fmac_f64_e32 v[12:13], v[98:99], v[136:137]
	global_load_b128 v[98:101], v[18:19], off offset:2128
	v_fma_f64 v[148:149], -v[96:97], v[136:137], v[148:149]
	v_fmac_f64_e32 v[22:23], v[94:95], v[136:137]
	global_load_b128 v[94:97], v[18:19], off offset:2112
	;; [unrolled: 3-line block ×3, first 2 shown]
	v_fma_f64 v[138:139], -v[88:89], v[136:137], v[138:139]
	v_fmac_f64_e32 v[20:21], v[86:87], v[136:137]
	s_clause 0x1
	global_load_b128 v[86:89], v[142:143], off
	global_load_b128 v[134:137], v[142:143], off offset:16
	s_wait_loadcnt 0x1
	v_fmac_f64_e32 v[140:141], v[114:115], v[86:87]
	v_fmac_f64_e32 v[12:13], v[116:117], v[86:87]
	;; [unrolled: 1-line block ×8, first 2 shown]
	v_fma_f64 v[140:141], -v[116:117], v[88:89], v[140:141]
	v_fmac_f64_e32 v[12:13], v[114:115], v[88:89]
	v_fma_f64 v[148:149], -v[112:113], v[88:89], v[148:149]
	v_fmac_f64_e32 v[22:23], v[110:111], v[88:89]
	;; [unrolled: 2-line block ×4, first 2 shown]
	s_clause 0x4
	global_load_b128 v[114:117], v[18:19], off offset:2208
	global_load_b128 v[110:113], v[18:19], off offset:2192
	;; [unrolled: 1-line block ×5, first 2 shown]
	s_wait_loadcnt 0x5
	v_fmac_f64_e32 v[140:141], v[130:131], v[134:135]
	v_fmac_f64_e32 v[12:13], v[132:133], v[134:135]
	v_fmac_f64_e32 v[148:149], v[126:127], v[134:135]
	v_fmac_f64_e32 v[22:23], v[128:129], v[134:135]
	v_fmac_f64_e32 v[150:151], v[122:123], v[134:135]
	v_fmac_f64_e32 v[24:25], v[124:125], v[134:135]
	v_fmac_f64_e32 v[138:139], v[118:119], v[134:135]
	v_fmac_f64_e32 v[20:21], v[120:121], v[134:135]
	v_fma_f64 v[140:141], -v[132:133], v[136:137], v[140:141]
	v_fmac_f64_e32 v[12:13], v[130:131], v[136:137]
	global_load_b128 v[130:133], v[18:19], off offset:2256
	v_fma_f64 v[148:149], -v[128:129], v[136:137], v[148:149]
	v_fmac_f64_e32 v[22:23], v[126:127], v[136:137]
	global_load_b128 v[126:129], v[18:19], off offset:2240
	;; [unrolled: 3-line block ×3, first 2 shown]
	v_fma_f64 v[138:139], -v[120:121], v[136:137], v[138:139]
	v_fmac_f64_e32 v[20:21], v[118:119], v[136:137]
	s_clause 0x1
	global_load_b128 v[118:121], v[142:143], off offset:32
	global_load_b128 v[134:137], v[142:143], off offset:48
	s_wait_loadcnt 0x1
	v_fmac_f64_e32 v[140:141], v[28:29], v[118:119]
	v_fmac_f64_e32 v[12:13], v[30:31], v[118:119]
	;; [unrolled: 1-line block ×8, first 2 shown]
	v_fma_f64 v[140:141], -v[30:31], v[120:121], v[140:141]
	v_fmac_f64_e32 v[12:13], v[28:29], v[120:121]
	s_wait_xcnt 0x0
	v_fma_f64 v[142:143], -v[44:45], v[120:121], v[148:149]
	v_fmac_f64_e32 v[22:23], v[42:43], v[120:121]
	v_fma_f64 v[148:149], -v[34:35], v[120:121], v[150:151]
	v_fmac_f64_e32 v[24:25], v[32:33], v[120:121]
	;; [unrolled: 2-line block ×3, first 2 shown]
	s_clause 0x4
	global_load_b128 v[28:31], v[18:19], off offset:3104
	global_load_b128 v[42:45], v[18:19], off offset:3088
	;; [unrolled: 1-line block ×5, first 2 shown]
	s_wait_loadcnt 0x5
	v_fmac_f64_e32 v[140:141], v[58:59], v[134:135]
	v_fmac_f64_e32 v[12:13], v[60:61], v[134:135]
	;; [unrolled: 1-line block ×8, first 2 shown]
	v_fma_f64 v[140:141], -v[60:61], v[136:137], v[140:141]
	v_fmac_f64_e32 v[12:13], v[58:59], v[136:137]
	global_load_b128 v[58:61], v[18:19], off offset:3152
	v_fma_f64 v[142:143], -v[64:65], v[136:137], v[142:143]
	v_fmac_f64_e32 v[22:23], v[62:63], v[136:137]
	global_load_b128 v[62:65], v[18:19], off offset:3136
	v_fma_f64 v[148:149], -v[48:49], v[136:137], v[148:149]
	v_fmac_f64_e32 v[24:25], v[46:47], v[136:137]
	global_load_b128 v[46:49], v[18:19], off offset:3248
	v_fma_f64 v[150:151], -v[40:41], v[136:137], v[138:139]
	v_fmac_f64_e32 v[20:21], v[38:39], v[136:137]
	s_clause 0x1
	global_load_b128 v[38:41], v[144:145], off
	global_load_b128 v[134:137], v[144:145], off offset:16
	s_wait_loadcnt 0x1
	v_fmac_f64_e32 v[140:141], v[74:75], v[38:39]
	v_fmac_f64_e32 v[12:13], v[76:77], v[38:39]
	;; [unrolled: 1-line block ×8, first 2 shown]
	v_fma_f64 v[152:153], -v[76:77], v[40:41], v[140:141]
	v_fmac_f64_e32 v[12:13], v[74:75], v[40:41]
	s_clause 0x1
	global_load_b128 v[74:77], v[144:145], off offset:32
	global_load_b128 v[138:141], v[144:145], off offset:48
	s_wait_xcnt 0x0
	v_lshlrev_b64_e32 v[144:145], 6, v[146:147]
	v_fma_f64 v[142:143], -v[80:81], v[40:41], v[142:143]
	v_fmac_f64_e32 v[22:23], v[78:79], v[40:41]
	global_load_b128 v[78:81], v[18:19], off offset:3232
	v_fma_f64 v[148:149], -v[84:85], v[40:41], v[148:149]
	v_fmac_f64_e32 v[24:25], v[82:83], v[40:41]
	global_load_b128 v[82:85], v[18:19], off offset:3216
	v_add_nc_u64_e32 v[144:145], s[4:5], v[144:145]
	v_fma_f64 v[146:147], -v[56:57], v[40:41], v[150:151]
	v_fmac_f64_e32 v[20:21], v[54:55], v[40:41]
	s_clause 0x1
	global_load_b128 v[38:41], v[144:145], off offset:16
	global_load_b128 v[54:57], v[144:145], off
	s_wait_loadcnt 0x6
	v_fmac_f64_e32 v[152:153], v[94:95], v[134:135]
	v_fmac_f64_e32 v[12:13], v[96:97], v[134:135]
	;; [unrolled: 1-line block ×8, first 2 shown]
	v_fma_f64 v[150:151], -v[96:97], v[136:137], v[152:153]
	v_fmac_f64_e32 v[12:13], v[94:95], v[136:137]
	global_load_b128 v[94:97], v[18:19], off offset:3200
	v_fma_f64 v[142:143], -v[100:101], v[136:137], v[142:143]
	v_fmac_f64_e32 v[22:23], v[98:99], v[136:137]
	global_load_b128 v[98:101], v[18:19], off offset:3280
	;; [unrolled: 3-line block ×3, first 2 shown]
	v_fma_f64 v[146:147], -v[68:69], v[136:137], v[146:147]
	v_fmac_f64_e32 v[20:21], v[66:67], v[136:137]
	s_clause 0x1
	global_load_b128 v[66:69], v[144:145], off offset:48
	global_load_b128 v[134:137], v[144:145], off offset:32
	s_wait_loadcnt 0xa
	v_fmac_f64_e32 v[150:151], v[106:107], v[74:75]
	v_fmac_f64_e32 v[12:13], v[108:109], v[74:75]
	;; [unrolled: 1-line block ×8, first 2 shown]
	s_wait_xcnt 0x0
	v_fma_f64 v[144:145], -v[108:109], v[76:77], v[150:151]
	v_fmac_f64_e32 v[12:13], v[106:107], v[76:77]
	global_load_b128 v[106:109], v[18:19], off offset:3296
	v_fma_f64 v[142:143], -v[112:113], v[76:77], v[142:143]
	v_fmac_f64_e32 v[22:23], v[110:111], v[76:77]
	global_load_b128 v[110:113], v[18:19], off offset:3312
	v_fma_f64 v[74:75], -v[116:117], v[76:77], v[148:149]
	v_fmac_f64_e32 v[24:25], v[114:115], v[76:77]
	v_fma_f64 v[92:93], -v[92:93], v[76:77], v[146:147]
	v_fmac_f64_e32 v[20:21], v[90:91], v[76:77]
	s_wait_xcnt 0x0
	v_add_nc_u64_e32 v[18:19], 0x1000, v[18:19]
	s_wait_loadcnt 0xb
	v_fmac_f64_e32 v[144:145], v[126:127], v[138:139]
	v_fmac_f64_e32 v[12:13], v[128:129], v[138:139]
	;; [unrolled: 1-line block ×8, first 2 shown]
	v_fma_f64 v[76:77], -v[128:129], v[140:141], v[144:145]
	v_fmac_f64_e32 v[12:13], v[126:127], v[140:141]
	v_fma_f64 v[90:91], -v[132:133], v[140:141], v[142:143]
	v_fmac_f64_e32 v[22:23], v[130:131], v[140:141]
	;; [unrolled: 2-line block ×4, first 2 shown]
	s_wait_loadcnt 0x7
	v_fmac_f64_e32 v[76:77], v[32:33], v[54:55]
	v_fmac_f64_e32 v[12:13], v[34:35], v[54:55]
	;; [unrolled: 1-line block ×8, first 2 shown]
	v_fma_f64 v[34:35], -v[34:35], v[56:57], v[76:77]
	v_fmac_f64_e32 v[12:13], v[32:33], v[56:57]
	v_fma_f64 v[32:33], -v[44:45], v[56:57], v[90:91]
	v_fmac_f64_e32 v[22:23], v[42:43], v[56:57]
	;; [unrolled: 2-line block ×4, first 2 shown]
	v_fmac_f64_e32 v[34:35], v[62:63], v[38:39]
	v_fmac_f64_e32 v[12:13], v[64:65], v[38:39]
	v_fmac_f64_e32 v[32:33], v[58:59], v[38:39]
	v_fmac_f64_e32 v[22:23], v[60:61], v[38:39]
	v_fmac_f64_e32 v[30:31], v[118:119], v[38:39]
	v_fmac_f64_e32 v[24:25], v[120:121], v[38:39]
	v_fmac_f64_e32 v[28:29], v[50:51], v[38:39]
	v_fmac_f64_e32 v[20:21], v[52:53], v[38:39]
	v_fma_f64 v[34:35], -v[64:65], v[40:41], v[34:35]
	v_fmac_f64_e32 v[12:13], v[62:63], v[40:41]
	v_fma_f64 v[32:33], -v[60:61], v[40:41], v[32:33]
	v_fmac_f64_e32 v[22:23], v[58:59], v[40:41]
	;; [unrolled: 2-line block ×4, first 2 shown]
	s_wait_loadcnt 0x2
	v_fmac_f64_e32 v[34:35], v[94:95], v[134:135]
	v_fmac_f64_e32 v[12:13], v[96:97], v[134:135]
	;; [unrolled: 1-line block ×8, first 2 shown]
	v_fma_f64 v[34:35], -v[96:97], v[136:137], v[34:35]
	v_fmac_f64_e32 v[12:13], v[94:95], v[136:137]
	v_fma_f64 v[32:33], -v[84:85], v[136:137], v[32:33]
	v_fmac_f64_e32 v[22:23], v[82:83], v[136:137]
	;; [unrolled: 2-line block ×4, first 2 shown]
	v_fmac_f64_e32 v[34:35], v[70:71], v[66:67]
	v_fmac_f64_e32 v[12:13], v[72:73], v[66:67]
	;; [unrolled: 1-line block ×4, first 2 shown]
	s_delay_alu instid0(VALU_DEP_4) | instskip(NEXT) | instid1(VALU_DEP_4)
	v_fma_f64 v[34:35], -v[72:73], v[68:69], v[34:35]
	v_fmac_f64_e32 v[12:13], v[70:71], v[68:69]
	s_wait_loadcnt 0x1
	v_fmac_f64_e32 v[30:31], v[106:107], v[66:67]
	v_fmac_f64_e32 v[24:25], v[108:109], v[66:67]
	v_fma_f64 v[32:33], -v[100:101], v[68:69], v[32:33]
	s_wait_loadcnt 0x0
	v_fmac_f64_e32 v[28:29], v[110:111], v[66:67]
	v_fmac_f64_e32 v[20:21], v[112:113], v[66:67]
	;; [unrolled: 1-line block ×3, first 2 shown]
	v_fma_f64 v[30:31], -v[108:109], v[68:69], v[30:31]
	v_fmac_f64_e32 v[24:25], v[106:107], v[68:69]
	v_fma_f64 v[28:29], -v[112:113], v[68:69], v[28:29]
	v_fmac_f64_e32 v[20:21], v[110:111], v[68:69]
	s_and_not1_b32 exec_lo, exec_lo, s6
	s_cbranch_execnz .LBB55_33
; %bb.34:
	s_or_b32 exec_lo, exec_lo, s6
.LBB55_35:
	s_delay_alu instid0(SALU_CYCLE_1)
	s_or_b32 exec_lo, exec_lo, s2
.LBB55_36:
	s_delay_alu instid0(SALU_CYCLE_1)
	s_or_b32 exec_lo, exec_lo, s3
.LBB55_37:
	v_mbcnt_lo_u32_b32 v1, -1, 0
	s_delay_alu instid0(VALU_DEP_1) | instskip(NEXT) | instid1(VALU_DEP_1)
	v_xor_b32_e32 v10, 2, v1
	v_cmp_gt_i32_e32 vcc_lo, 32, v10
	v_cndmask_b32_e32 v10, v1, v10, vcc_lo
	s_delay_alu instid0(VALU_DEP_1)
	v_lshlrev_b32_e32 v43, 2, v10
	ds_bpermute_b32 v10, v43, v34
	ds_bpermute_b32 v11, v43, v35
	;; [unrolled: 1-line block ×6, first 2 shown]
	s_wait_dscnt 0x4
	v_add_f64_e32 v[10:11], v[34:35], v[10:11]
	s_wait_dscnt 0x2
	v_add_f64_e32 v[34:35], v[12:13], v[14:15]
	;; [unrolled: 2-line block ×3, first 2 shown]
	ds_bpermute_b32 v18, v43, v22
	ds_bpermute_b32 v19, v43, v23
	;; [unrolled: 1-line block ×10, first 2 shown]
	s_wait_dscnt 0x8
	v_add_f64_e32 v[32:33], v[22:23], v[18:19]
	s_wait_dscnt 0x6
	v_add_f64_e32 v[14:15], v[30:31], v[36:37]
	;; [unrolled: 2-line block ×3, first 2 shown]
	s_wait_dscnt 0x0
	v_dual_add_f64 v[18:19], v[20:21], v[42:43] :: v_dual_bitop2_b32 v20, 1, v1 bitop3:0x14
	s_delay_alu instid0(VALU_DEP_1) | instskip(SKIP_3) | instid1(VALU_DEP_3)
	v_cmp_gt_i32_e32 vcc_lo, 32, v20
	v_cndmask_b32_e32 v1, v1, v20, vcc_lo
	v_add_f64_e32 v[22:23], v[24:25], v[38:39]
	v_cmp_eq_u32_e32 vcc_lo, 3, v0
	v_lshlrev_b32_e32 v1, 2, v1
	ds_bpermute_b32 v20, v1, v10
	ds_bpermute_b32 v21, v1, v11
	;; [unrolled: 1-line block ×16, first 2 shown]
	s_and_b32 exec_lo, exec_lo, vcc_lo
	s_cbranch_execz .LBB55_8
; %bb.38:
	s_wait_dscnt 0xc
	v_add_f64_e32 v[0:1], v[34:35], v[42:43]
	s_wait_dscnt 0x8
	v_add_f64_e32 v[32:33], v[32:33], v[40:41]
	;; [unrolled: 2-line block ×3, first 2 shown]
	v_add_f64_e32 v[36:37], v[18:19], v[36:37]
	v_add_f64_e32 v[38:39], v[10:11], v[20:21]
	v_add_f64_e32 v[40:41], v[12:13], v[24:25]
	v_add_f64_e32 v[28:29], v[14:15], v[28:29]
	v_add_f64_e32 v[30:31], v[16:17], v[30:31]
	v_cmp_eq_f64_e32 vcc_lo, 0, v[2:3]
	v_cmp_eq_f64_e64 s2, 0, v[4:5]
	s_load_b64 s[0:1], s[0:1], 0x68
	v_mul_f64_e64 v[22:23], v[0:1], -v[8:9]
	v_mul_f64_e32 v[24:25], v[6:7], v[0:1]
	v_mul_f64_e64 v[18:19], v[32:33], -v[8:9]
	v_mul_f64_e32 v[20:21], v[6:7], v[32:33]
	;; [unrolled: 2-line block ×4, first 2 shown]
	v_lshlrev_b64_e32 v[0:1], 6, v[26:27]
	s_and_b32 s2, vcc_lo, s2
	v_fmac_f64_e32 v[22:23], v[6:7], v[38:39]
	v_fmac_f64_e32 v[24:25], v[8:9], v[38:39]
	;; [unrolled: 1-line block ×8, first 2 shown]
	s_and_saveexec_b32 s3, s2
	s_delay_alu instid0(SALU_CYCLE_1)
	s_xor_b32 s2, exec_lo, s3
	s_cbranch_execz .LBB55_40
; %bb.39:
	s_wait_kmcnt 0x0
	v_add_nc_u64_e32 v[0:1], s[0:1], v[0:1]
                                        ; implicit-def: $vgpr4_vgpr5
	s_clause 0x3
	global_store_b128 v[0:1], v[22:25], off
	global_store_b128 v[0:1], v[18:21], off offset:16
	global_store_b128 v[0:1], v[14:17], off offset:32
	;; [unrolled: 1-line block ×3, first 2 shown]
                                        ; implicit-def: $vgpr22_vgpr23
                                        ; implicit-def: $vgpr0_vgpr1
                                        ; implicit-def: $vgpr18_vgpr19
                                        ; implicit-def: $vgpr14_vgpr15
                                        ; implicit-def: $vgpr10_vgpr11
.LBB55_40:
	s_wait_xcnt 0x0
	s_and_not1_saveexec_b32 s2, s2
	s_cbranch_execz .LBB55_8
; %bb.41:
	s_wait_kmcnt 0x0
	v_add_nc_u64_e32 v[0:1], s[0:1], v[0:1]
	s_clause 0x3
	global_load_b128 v[6:9], v[0:1], off
	global_load_b128 v[26:29], v[0:1], off offset:16
	global_load_b128 v[30:33], v[0:1], off offset:32
	;; [unrolled: 1-line block ×3, first 2 shown]
	s_wait_loadcnt 0x3
	v_fmac_f64_e32 v[22:23], v[2:3], v[6:7]
	v_fmac_f64_e32 v[24:25], v[4:5], v[6:7]
	s_wait_loadcnt 0x2
	v_fmac_f64_e32 v[18:19], v[2:3], v[26:27]
	v_fmac_f64_e32 v[20:21], v[4:5], v[26:27]
	;; [unrolled: 3-line block ×4, first 2 shown]
	v_fma_f64 v[22:23], -v[4:5], v[8:9], v[22:23]
	v_fmac_f64_e32 v[24:25], v[2:3], v[8:9]
	v_fma_f64 v[18:19], -v[4:5], v[28:29], v[18:19]
	v_fmac_f64_e32 v[20:21], v[2:3], v[28:29]
	;; [unrolled: 2-line block ×4, first 2 shown]
	s_clause 0x3
	global_store_b128 v[0:1], v[22:25], off
	global_store_b128 v[0:1], v[18:21], off offset:16
	global_store_b128 v[0:1], v[14:17], off offset:32
	;; [unrolled: 1-line block ×3, first 2 shown]
	s_sendmsg sendmsg(MSG_DEALLOC_VGPRS)
	s_endpgm
	.section	.rodata,"a",@progbits
	.p2align	6, 0x0
	.amdhsa_kernel _ZN9rocsparseL18bsrxmvn_4x4_kernelILj128ELj4E21rocsparse_complex_numIdEllS2_S2_S2_EEvT3_20rocsparse_direction_NS_24const_host_device_scalarIT1_EES3_PKS3_PKT2_SC_S9_PKT4_PKT5_S7_PT6_21rocsparse_index_base_b
		.amdhsa_group_segment_fixed_size 0
		.amdhsa_private_segment_fixed_size 0
		.amdhsa_kernarg_size 120
		.amdhsa_user_sgpr_count 2
		.amdhsa_user_sgpr_dispatch_ptr 0
		.amdhsa_user_sgpr_queue_ptr 0
		.amdhsa_user_sgpr_kernarg_segment_ptr 1
		.amdhsa_user_sgpr_dispatch_id 0
		.amdhsa_user_sgpr_kernarg_preload_length 0
		.amdhsa_user_sgpr_kernarg_preload_offset 0
		.amdhsa_user_sgpr_private_segment_size 0
		.amdhsa_wavefront_size32 1
		.amdhsa_uses_dynamic_stack 0
		.amdhsa_enable_private_segment 0
		.amdhsa_system_sgpr_workgroup_id_x 1
		.amdhsa_system_sgpr_workgroup_id_y 0
		.amdhsa_system_sgpr_workgroup_id_z 0
		.amdhsa_system_sgpr_workgroup_info 0
		.amdhsa_system_vgpr_workitem_id 0
		.amdhsa_next_free_vgpr 178
		.amdhsa_next_free_sgpr 12
		.amdhsa_named_barrier_count 0
		.amdhsa_reserve_vcc 1
		.amdhsa_float_round_mode_32 0
		.amdhsa_float_round_mode_16_64 0
		.amdhsa_float_denorm_mode_32 3
		.amdhsa_float_denorm_mode_16_64 3
		.amdhsa_fp16_overflow 0
		.amdhsa_memory_ordered 1
		.amdhsa_forward_progress 1
		.amdhsa_inst_pref_size 67
		.amdhsa_round_robin_scheduling 0
		.amdhsa_exception_fp_ieee_invalid_op 0
		.amdhsa_exception_fp_denorm_src 0
		.amdhsa_exception_fp_ieee_div_zero 0
		.amdhsa_exception_fp_ieee_overflow 0
		.amdhsa_exception_fp_ieee_underflow 0
		.amdhsa_exception_fp_ieee_inexact 0
		.amdhsa_exception_int_div_zero 0
	.end_amdhsa_kernel
	.section	.text._ZN9rocsparseL18bsrxmvn_4x4_kernelILj128ELj4E21rocsparse_complex_numIdEllS2_S2_S2_EEvT3_20rocsparse_direction_NS_24const_host_device_scalarIT1_EES3_PKS3_PKT2_SC_S9_PKT4_PKT5_S7_PT6_21rocsparse_index_base_b,"axG",@progbits,_ZN9rocsparseL18bsrxmvn_4x4_kernelILj128ELj4E21rocsparse_complex_numIdEllS2_S2_S2_EEvT3_20rocsparse_direction_NS_24const_host_device_scalarIT1_EES3_PKS3_PKT2_SC_S9_PKT4_PKT5_S7_PT6_21rocsparse_index_base_b,comdat
.Lfunc_end55:
	.size	_ZN9rocsparseL18bsrxmvn_4x4_kernelILj128ELj4E21rocsparse_complex_numIdEllS2_S2_S2_EEvT3_20rocsparse_direction_NS_24const_host_device_scalarIT1_EES3_PKS3_PKT2_SC_S9_PKT4_PKT5_S7_PT6_21rocsparse_index_base_b, .Lfunc_end55-_ZN9rocsparseL18bsrxmvn_4x4_kernelILj128ELj4E21rocsparse_complex_numIdEllS2_S2_S2_EEvT3_20rocsparse_direction_NS_24const_host_device_scalarIT1_EES3_PKS3_PKT2_SC_S9_PKT4_PKT5_S7_PT6_21rocsparse_index_base_b
                                        ; -- End function
	.set _ZN9rocsparseL18bsrxmvn_4x4_kernelILj128ELj4E21rocsparse_complex_numIdEllS2_S2_S2_EEvT3_20rocsparse_direction_NS_24const_host_device_scalarIT1_EES3_PKS3_PKT2_SC_S9_PKT4_PKT5_S7_PT6_21rocsparse_index_base_b.num_vgpr, 178
	.set _ZN9rocsparseL18bsrxmvn_4x4_kernelILj128ELj4E21rocsparse_complex_numIdEllS2_S2_S2_EEvT3_20rocsparse_direction_NS_24const_host_device_scalarIT1_EES3_PKS3_PKT2_SC_S9_PKT4_PKT5_S7_PT6_21rocsparse_index_base_b.num_agpr, 0
	.set _ZN9rocsparseL18bsrxmvn_4x4_kernelILj128ELj4E21rocsparse_complex_numIdEllS2_S2_S2_EEvT3_20rocsparse_direction_NS_24const_host_device_scalarIT1_EES3_PKS3_PKT2_SC_S9_PKT4_PKT5_S7_PT6_21rocsparse_index_base_b.numbered_sgpr, 12
	.set _ZN9rocsparseL18bsrxmvn_4x4_kernelILj128ELj4E21rocsparse_complex_numIdEllS2_S2_S2_EEvT3_20rocsparse_direction_NS_24const_host_device_scalarIT1_EES3_PKS3_PKT2_SC_S9_PKT4_PKT5_S7_PT6_21rocsparse_index_base_b.num_named_barrier, 0
	.set _ZN9rocsparseL18bsrxmvn_4x4_kernelILj128ELj4E21rocsparse_complex_numIdEllS2_S2_S2_EEvT3_20rocsparse_direction_NS_24const_host_device_scalarIT1_EES3_PKS3_PKT2_SC_S9_PKT4_PKT5_S7_PT6_21rocsparse_index_base_b.private_seg_size, 0
	.set _ZN9rocsparseL18bsrxmvn_4x4_kernelILj128ELj4E21rocsparse_complex_numIdEllS2_S2_S2_EEvT3_20rocsparse_direction_NS_24const_host_device_scalarIT1_EES3_PKS3_PKT2_SC_S9_PKT4_PKT5_S7_PT6_21rocsparse_index_base_b.uses_vcc, 1
	.set _ZN9rocsparseL18bsrxmvn_4x4_kernelILj128ELj4E21rocsparse_complex_numIdEllS2_S2_S2_EEvT3_20rocsparse_direction_NS_24const_host_device_scalarIT1_EES3_PKS3_PKT2_SC_S9_PKT4_PKT5_S7_PT6_21rocsparse_index_base_b.uses_flat_scratch, 0
	.set _ZN9rocsparseL18bsrxmvn_4x4_kernelILj128ELj4E21rocsparse_complex_numIdEllS2_S2_S2_EEvT3_20rocsparse_direction_NS_24const_host_device_scalarIT1_EES3_PKS3_PKT2_SC_S9_PKT4_PKT5_S7_PT6_21rocsparse_index_base_b.has_dyn_sized_stack, 0
	.set _ZN9rocsparseL18bsrxmvn_4x4_kernelILj128ELj4E21rocsparse_complex_numIdEllS2_S2_S2_EEvT3_20rocsparse_direction_NS_24const_host_device_scalarIT1_EES3_PKS3_PKT2_SC_S9_PKT4_PKT5_S7_PT6_21rocsparse_index_base_b.has_recursion, 0
	.set _ZN9rocsparseL18bsrxmvn_4x4_kernelILj128ELj4E21rocsparse_complex_numIdEllS2_S2_S2_EEvT3_20rocsparse_direction_NS_24const_host_device_scalarIT1_EES3_PKS3_PKT2_SC_S9_PKT4_PKT5_S7_PT6_21rocsparse_index_base_b.has_indirect_call, 0
	.section	.AMDGPU.csdata,"",@progbits
; Kernel info:
; codeLenInByte = 8460
; TotalNumSgprs: 14
; NumVgprs: 178
; ScratchSize: 0
; MemoryBound: 1
; FloatMode: 240
; IeeeMode: 1
; LDSByteSize: 0 bytes/workgroup (compile time only)
; SGPRBlocks: 0
; VGPRBlocks: 11
; NumSGPRsForWavesPerEU: 14
; NumVGPRsForWavesPerEU: 178
; NamedBarCnt: 0
; Occupancy: 5
; WaveLimiterHint : 1
; COMPUTE_PGM_RSRC2:SCRATCH_EN: 0
; COMPUTE_PGM_RSRC2:USER_SGPR: 2
; COMPUTE_PGM_RSRC2:TRAP_HANDLER: 0
; COMPUTE_PGM_RSRC2:TGID_X_EN: 1
; COMPUTE_PGM_RSRC2:TGID_Y_EN: 0
; COMPUTE_PGM_RSRC2:TGID_Z_EN: 0
; COMPUTE_PGM_RSRC2:TIDIG_COMP_CNT: 0
	.section	.text._ZN9rocsparseL18bsrxmvn_4x4_kernelILj128ELj8E21rocsparse_complex_numIdEllS2_S2_S2_EEvT3_20rocsparse_direction_NS_24const_host_device_scalarIT1_EES3_PKS3_PKT2_SC_S9_PKT4_PKT5_S7_PT6_21rocsparse_index_base_b,"axG",@progbits,_ZN9rocsparseL18bsrxmvn_4x4_kernelILj128ELj8E21rocsparse_complex_numIdEllS2_S2_S2_EEvT3_20rocsparse_direction_NS_24const_host_device_scalarIT1_EES3_PKS3_PKT2_SC_S9_PKT4_PKT5_S7_PT6_21rocsparse_index_base_b,comdat
	.globl	_ZN9rocsparseL18bsrxmvn_4x4_kernelILj128ELj8E21rocsparse_complex_numIdEllS2_S2_S2_EEvT3_20rocsparse_direction_NS_24const_host_device_scalarIT1_EES3_PKS3_PKT2_SC_S9_PKT4_PKT5_S7_PT6_21rocsparse_index_base_b ; -- Begin function _ZN9rocsparseL18bsrxmvn_4x4_kernelILj128ELj8E21rocsparse_complex_numIdEllS2_S2_S2_EEvT3_20rocsparse_direction_NS_24const_host_device_scalarIT1_EES3_PKS3_PKT2_SC_S9_PKT4_PKT5_S7_PT6_21rocsparse_index_base_b
	.p2align	8
	.type	_ZN9rocsparseL18bsrxmvn_4x4_kernelILj128ELj8E21rocsparse_complex_numIdEllS2_S2_S2_EEvT3_20rocsparse_direction_NS_24const_host_device_scalarIT1_EES3_PKS3_PKT2_SC_S9_PKT4_PKT5_S7_PT6_21rocsparse_index_base_b,@function
_ZN9rocsparseL18bsrxmvn_4x4_kernelILj128ELj8E21rocsparse_complex_numIdEllS2_S2_S2_EEvT3_20rocsparse_direction_NS_24const_host_device_scalarIT1_EES3_PKS3_PKT2_SC_S9_PKT4_PKT5_S7_PT6_21rocsparse_index_base_b: ; @_ZN9rocsparseL18bsrxmvn_4x4_kernelILj128ELj8E21rocsparse_complex_numIdEllS2_S2_S2_EEvT3_20rocsparse_direction_NS_24const_host_device_scalarIT1_EES3_PKS3_PKT2_SC_S9_PKT4_PKT5_S7_PT6_21rocsparse_index_base_b
; %bb.0:
	s_clause 0x1
	s_load_b64 s[4:5], s[0:1], 0x70
	s_load_b64 s[2:3], s[0:1], 0x10
	v_mov_b32_e32 v1, 0
	s_add_nc_u64 s[6:7], s[0:1], 16
	s_load_b64 s[8:9], s[0:1], 0x58
	s_wait_kmcnt 0x0
	s_bitcmp1_b32 s5, 0
	s_cselect_b32 s3, s7, s3
	s_cselect_b32 s2, s6, s2
	flat_load_b128 v[6:9], v1, s[2:3]
	s_wait_xcnt 0x0
	s_add_nc_u64 s[2:3], s[0:1], 0x58
	s_delay_alu instid0(SALU_CYCLE_1)
	s_cselect_b32 s3, s3, s9
	s_cselect_b32 s2, s2, s8
	flat_load_b128 v[2:5], v1, s[2:3]
	s_wait_loadcnt_dscnt 0x101
	v_cmp_eq_f64_e32 vcc_lo, 0, v[6:7]
	s_wait_xcnt 0x0
	v_cmp_eq_f64_e64 s2, 0, v[8:9]
	s_and_b32 s5, vcc_lo, s2
	s_mov_b32 s2, -1
	s_and_saveexec_b32 s3, s5
	s_cbranch_execz .LBB56_2
; %bb.1:
	s_wait_loadcnt_dscnt 0x0
	v_cmp_neq_f64_e32 vcc_lo, 1.0, v[2:3]
	v_cmp_neq_f64_e64 s2, 0, v[4:5]
	s_or_b32 s2, vcc_lo, s2
	s_delay_alu instid0(SALU_CYCLE_1)
	s_or_not1_b32 s2, s2, exec_lo
.LBB56_2:
	s_or_b32 exec_lo, exec_lo, s3
	s_and_saveexec_b32 s3, s2
	s_cbranch_execz .LBB56_8
; %bb.3:
	s_load_b64 s[2:3], s[0:1], 0x28
	s_bfe_u32 s5, ttmp6, 0x4000c
	s_and_b32 s6, ttmp6, 15
	s_add_co_i32 s5, s5, 1
	s_getreg_b32 s7, hwreg(HW_REG_IB_STS2, 6, 4)
	s_mul_i32 s5, ttmp9, s5
	v_dual_lshrrev_b32 v1, 3, v0 :: v_dual_mov_b32 v13, 0
	s_add_co_i32 s6, s6, s5
	s_cmp_eq_u32 s7, 0
	s_cselect_b32 s5, ttmp9, s6
	s_mov_b32 s6, 0
	v_lshl_or_b32 v12, s5, 4, v1
	s_wait_kmcnt 0x0
	s_cmp_lg_u64 s[2:3], 0
	s_cbranch_scc0 .LBB56_9
; %bb.4:
	s_load_b64 s[6:7], s[0:1], 0x20
                                        ; implicit-def: $vgpr26_vgpr27
                                        ; implicit-def: $vgpr10_vgpr11
	s_wait_kmcnt 0x0
	v_cmp_gt_i64_e32 vcc_lo, s[6:7], v[12:13]
	s_mov_b32 s7, 0
	s_mov_b32 s6, 0
	s_and_saveexec_b32 s5, vcc_lo
	s_delay_alu instid0(SALU_CYCLE_1)
	s_xor_b32 s8, exec_lo, s5
	s_cbranch_execz .LBB56_6
; %bb.5:
	v_lshl_add_u64 v[10:11], v[12:13], 3, s[2:3]
	s_mov_b32 s5, 0
	s_mov_b32 s6, exec_lo
	global_load_b64 v[10:11], v[10:11], off
	s_wait_loadcnt 0x0
	v_sub_nc_u64_e64 v[26:27], v[10:11], s[4:5]
	v_mov_b64_e32 v[10:11], s[4:5]
.LBB56_6:
	s_or_b32 exec_lo, exec_lo, s8
	s_delay_alu instid0(SALU_CYCLE_1)
	s_and_b32 vcc_lo, exec_lo, s7
	s_cbranch_vccnz .LBB56_10
.LBB56_7:
	s_and_b32 exec_lo, exec_lo, s6
	s_cbranch_execnz .LBB56_13
.LBB56_8:
	s_sendmsg sendmsg(MSG_DEALLOC_VGPRS)
	s_endpgm
.LBB56_9:
                                        ; implicit-def: $vgpr26_vgpr27
                                        ; implicit-def: $vgpr10_vgpr11
	s_cbranch_execz .LBB56_7
.LBB56_10:
	s_load_b64 s[2:3], s[0:1], 0x0
	s_wait_kmcnt 0x0
	v_cmp_gt_i64_e32 vcc_lo, s[2:3], v[12:13]
	s_and_saveexec_b32 s2, vcc_lo
; %bb.11:
	s_mov_b32 s5, 0
	s_or_b32 s6, s6, exec_lo
; %bb.12:
	s_or_b32 exec_lo, exec_lo, s2
	v_mov_b64_e32 v[10:11], s[4:5]
	v_mov_b64_e32 v[26:27], v[12:13]
	s_and_b32 exec_lo, exec_lo, s6
	s_cbranch_execz .LBB56_8
.LBB56_13:
	s_load_b256 s[4:11], s[0:1], 0x30
	s_delay_alu instid0(VALU_DEP_1) | instskip(SKIP_3) | instid1(VALU_DEP_2)
	v_lshlrev_b64_e32 v[12:13], 3, v[26:27]
	v_dual_mov_b32 v1, 0 :: v_dual_bitop2_b32 v0, 7, v0 bitop3:0x40
	s_load_b32 s3, s[0:1], 0x8
	s_wait_kmcnt 0x0
	v_add_nc_u64_e32 v[14:15], s[4:5], v[12:13]
	v_add_nc_u64_e32 v[12:13], s[6:7], v[12:13]
	s_cmp_eq_u64 s[6:7], 0
	s_load_b64 s[4:5], s[0:1], 0x50
	s_cselect_b32 vcc_lo, -1, 0
	s_cmp_eq_u32 s3, 1
	global_load_b64 v[36:37], v[14:15], off
	s_wait_xcnt 0x0
	v_add_nc_u64_e32 v[14:15], 8, v[14:15]
	s_delay_alu instid0(VALU_DEP_1) | instskip(SKIP_3) | instid1(VALU_DEP_1)
	v_dual_cndmask_b32 v13, v13, v15 :: v_dual_cndmask_b32 v12, v12, v14
	global_load_b64 v[12:13], v[12:13], off
	s_wait_loadcnt 0x1
	v_sub_nc_u64_e32 v[14:15], v[36:37], v[10:11]
	v_add_nc_u64_e32 v[20:21], v[14:15], v[0:1]
	s_wait_loadcnt 0x0
	v_sub_nc_u64_e32 v[22:23], v[12:13], v[10:11]
	s_delay_alu instid0(VALU_DEP_2) | instskip(NEXT) | instid1(VALU_DEP_2)
	v_lshlrev_b64_e32 v[14:15], 8, v[20:21]
	v_cmp_lt_i64_e64 s2, v[20:21], v[22:23]
	s_delay_alu instid0(VALU_DEP_2)
	v_add_nc_u64_e32 v[24:25], s[10:11], v[14:15]
	s_cbranch_scc1 .LBB56_25
; %bb.14:
	v_mov_b64_e32 v[12:13], 0
	v_mov_b64_e32 v[34:35], 0
	;; [unrolled: 1-line block ×8, first 2 shown]
	s_and_saveexec_b32 s3, s2
	s_cbranch_execz .LBB56_24
; %bb.15:
	v_dual_mov_b32 v13, v1 :: v_dual_bitop2_b32 v12, 8, v0 bitop3:0x54
	v_sub_nc_u64_e32 v[14:15], v[10:11], v[0:1]
	v_not_b32_e32 v17, v37
	v_not_b32_e32 v16, v36
	v_mov_b64_e32 v[32:33], 0
	v_sub_nc_u64_e32 v[12:13], v[12:13], v[10:11]
	v_mov_b64_e32 v[18:19], 0
	v_mov_b64_e32 v[30:31], 0
	v_add_nc_u64_e32 v[14:15], v[14:15], v[16:17]
	v_mov_b64_e32 v[16:17], 0
	v_mov_b64_e32 v[28:29], 0
	;; [unrolled: 1-line block ×3, first 2 shown]
	v_add_nc_u64_e32 v[12:13], v[12:13], v[36:37]
	v_mov_b64_e32 v[38:39], v[24:25]
	v_mov_b64_e32 v[40:41], v[20:21]
	s_mov_b32 s6, exec_lo
	s_delay_alu instid0(VALU_DEP_3) | instskip(NEXT) | instid1(VALU_DEP_1)
	v_max_i64 v[12:13], v[12:13], v[22:23]
	v_add_nc_u64_e32 v[42:43], v[14:15], v[12:13]
	v_mov_b64_e32 v[14:15], 0
	v_mov_b64_e32 v[12:13], 0
	s_delay_alu instid0(VALU_DEP_3) | instskip(NEXT) | instid1(VALU_DEP_1)
	v_dual_mov_b32 v47, 0 :: v_dual_bitop2_b32 v46, 24, v42 bitop3:0x40
	v_cmpx_ne_u64_e32 24, v[46:47]
	s_cbranch_execz .LBB56_19
; %bb.16:
	v_lshrrev_b32_e32 v12, 3, v42
	v_mov_b64_e32 v[34:35], 0
	v_mov_b64_e32 v[28:29], 0
	;; [unrolled: 1-line block ×4, first 2 shown]
	v_add_nc_u32_e32 v14, 1, v12
	v_mov_b64_e32 v[12:13], 0
	v_mov_b64_e32 v[32:33], 0
	;; [unrolled: 1-line block ×4, first 2 shown]
	v_and_b32_e32 v46, 3, v14
	v_mov_b64_e32 v[14:15], 0
	v_mov_b64_e32 v[38:39], v[24:25]
	v_lshl_add_u64 v[44:45], v[20:21], 3, s[8:9]
	s_mov_b32 s7, 0
	v_sub_nc_u64_e32 v[46:47], 0, v[46:47]
.LBB56_17:                              ; =>This Inner Loop Header: Depth=1
	global_load_b64 v[76:77], v[44:45], off
	s_clause 0x6
	global_load_b128 v[48:51], v[38:39], off offset:16
	global_load_b128 v[52:55], v[38:39], off
	global_load_b128 v[56:59], v[38:39], off offset:80
	global_load_b128 v[60:63], v[38:39], off offset:64
	;; [unrolled: 1-line block ×5, first 2 shown]
	v_add_nc_u64_e32 v[46:47], 1, v[46:47]
	v_add_nc_u64_e32 v[40:41], 8, v[40:41]
	s_wait_xcnt 0x7
	v_add_nc_u64_e32 v[44:45], 64, v[44:45]
	s_delay_alu instid0(VALU_DEP_3) | instskip(SKIP_3) | instid1(VALU_DEP_1)
	v_cmp_eq_u64_e32 vcc_lo, 0, v[46:47]
	s_or_b32 s7, vcc_lo, s7
	s_wait_loadcnt 0x7
	v_sub_nc_u64_e32 v[76:77], v[76:77], v[10:11]
	v_lshlrev_b64_e32 v[76:77], 6, v[76:77]
	s_wait_kmcnt 0x0
	s_delay_alu instid0(VALU_DEP_1)
	v_add_nc_u64_e32 v[128:129], s[4:5], v[76:77]
	global_load_b128 v[76:79], v[128:129], off
	global_load_b128 v[80:83], v[38:39], off offset:208
	global_load_b128 v[84:87], v[128:129], off offset:16
	s_clause 0x6
	global_load_b128 v[88:91], v[38:39], off offset:48
	global_load_b128 v[92:95], v[38:39], off offset:32
	;; [unrolled: 1-line block ×10, first 2 shown]
	s_wait_xcnt 0x1
	v_add_nc_u64_e32 v[38:39], 0x800, v[38:39]
	s_wait_loadcnt 0xc
	v_fmac_f64_e32 v[34:35], v[52:53], v[76:77]
	v_fmac_f64_e32 v[12:13], v[54:55], v[76:77]
	v_fmac_f64_e32 v[32:33], v[60:61], v[76:77]
	v_fmac_f64_e32 v[16:17], v[62:63], v[76:77]
	v_fmac_f64_e32 v[30:31], v[68:69], v[76:77]
	v_fmac_f64_e32 v[18:19], v[70:71], v[76:77]
	v_fmac_f64_e32 v[28:29], v[72:73], v[76:77]
	v_fmac_f64_e32 v[14:15], v[74:75], v[76:77]
	v_fma_f64 v[34:35], -v[54:55], v[78:79], v[34:35]
	v_fmac_f64_e32 v[12:13], v[52:53], v[78:79]
	v_fma_f64 v[32:33], -v[62:63], v[78:79], v[32:33]
	v_fmac_f64_e32 v[16:17], v[60:61], v[78:79]
	v_fma_f64 v[30:31], -v[70:71], v[78:79], v[30:31]
	v_fmac_f64_e32 v[18:19], v[68:69], v[78:79]
	v_fma_f64 v[28:29], -v[74:75], v[78:79], v[28:29]
	v_fmac_f64_e32 v[14:15], v[72:73], v[78:79]
	s_wait_loadcnt 0xa
	v_fmac_f64_e32 v[34:35], v[48:49], v[84:85]
	v_fmac_f64_e32 v[12:13], v[50:51], v[84:85]
	v_fmac_f64_e32 v[32:33], v[56:57], v[84:85]
	v_fmac_f64_e32 v[16:17], v[58:59], v[84:85]
	v_fmac_f64_e32 v[30:31], v[64:65], v[84:85]
	v_fmac_f64_e32 v[18:19], v[66:67], v[84:85]
	v_fmac_f64_e32 v[28:29], v[80:81], v[84:85]
	v_fmac_f64_e32 v[14:15], v[82:83], v[84:85]
	v_fma_f64 v[34:35], -v[50:51], v[86:87], v[34:35]
	v_fmac_f64_e32 v[12:13], v[48:49], v[86:87]
	v_fma_f64 v[32:33], -v[58:59], v[86:87], v[32:33]
	v_fmac_f64_e32 v[16:17], v[56:57], v[86:87]
	v_fma_f64 v[30:31], -v[66:67], v[86:87], v[30:31]
	v_fmac_f64_e32 v[18:19], v[64:65], v[86:87]
	v_fma_f64 v[28:29], -v[82:83], v[86:87], v[28:29]
	v_fmac_f64_e32 v[14:15], v[80:81], v[86:87]
	;; [unrolled: 17-line block ×4, first 2 shown]
	s_and_not1_b32 exec_lo, exec_lo, s7
	s_cbranch_execnz .LBB56_17
; %bb.18:
	s_or_b32 exec_lo, exec_lo, s7
.LBB56_19:
	s_delay_alu instid0(SALU_CYCLE_1) | instskip(NEXT) | instid1(SALU_CYCLE_1)
	s_or_b32 exec_lo, exec_lo, s6
	s_mov_b32 s6, exec_lo
	v_cmpx_lt_u64_e32 23, v[42:43]
	s_cbranch_execz .LBB56_23
; %bb.20:
	v_lshl_add_u64 v[42:43], v[40:41], 3, s[8:9]
	s_mov_b32 s7, 0
	s_delay_alu instid0(VALU_DEP_1)
	v_add_nc_u64_e32 v[42:43], 0x80, v[42:43]
.LBB56_21:                              ; =>This Inner Loop Header: Depth=1
	global_load_b64 v[156:157], v[42:43], off offset:-128
	s_clause 0x13
	global_load_b128 v[44:47], v[38:39], off offset:48
	global_load_b128 v[48:51], v[38:39], off offset:32
	global_load_b128 v[52:55], v[38:39], off offset:16
	global_load_b128 v[56:59], v[38:39], off
	global_load_b128 v[60:63], v[38:39], off offset:112
	global_load_b128 v[64:67], v[38:39], off offset:96
	;; [unrolled: 1-line block ×16, first 2 shown]
	s_clause 0x2
	global_load_b64 v[164:165], v[42:43], off offset:-64
	global_load_b64 v[166:167], v[42:43], off
	global_load_b64 v[168:169], v[42:43], off offset:64
	s_clause 0x7
	global_load_b128 v[124:127], v[38:39], off offset:2160
	global_load_b128 v[128:131], v[38:39], off offset:2144
	;; [unrolled: 1-line block ×8, first 2 shown]
	v_add_nc_u64_e32 v[40:41], 32, v[40:41]
	s_wait_xcnt 0x8
	v_add_nc_u64_e32 v[42:43], 0x100, v[42:43]
	s_delay_alu instid0(VALU_DEP_2) | instskip(SKIP_3) | instid1(VALU_DEP_1)
	v_cmp_ge_i64_e32 vcc_lo, v[40:41], v[22:23]
	s_or_b32 s7, vcc_lo, s7
	s_wait_loadcnt 0x1f
	v_sub_nc_u64_e32 v[156:157], v[156:157], v[10:11]
	v_lshlrev_b64_e32 v[156:157], 6, v[156:157]
	s_wait_kmcnt 0x0
	s_delay_alu instid0(VALU_DEP_1)
	v_add_nc_u64_e32 v[170:171], s[4:5], v[156:157]
	s_clause 0x1
	global_load_b128 v[156:159], v[170:171], off
	global_load_b128 v[160:163], v[170:171], off offset:16
	s_wait_loadcnt 0xc
	v_sub_nc_u64_e32 v[164:165], v[164:165], v[10:11]
	s_delay_alu instid0(VALU_DEP_1) | instskip(NEXT) | instid1(VALU_DEP_1)
	v_lshlrev_b64_e32 v[164:165], 6, v[164:165]
	v_add_nc_u64_e32 v[164:165], s[4:5], v[164:165]
	s_wait_loadcnt 0x1
	v_fmac_f64_e32 v[34:35], v[56:57], v[156:157]
	v_fmac_f64_e32 v[12:13], v[58:59], v[156:157]
	;; [unrolled: 1-line block ×8, first 2 shown]
	v_fma_f64 v[172:173], -v[58:59], v[158:159], v[34:35]
	v_fmac_f64_e32 v[12:13], v[56:57], v[158:159]
	v_fma_f64 v[174:175], -v[74:75], v[158:159], v[32:33]
	v_fmac_f64_e32 v[16:17], v[72:73], v[158:159]
	;; [unrolled: 2-line block ×4, first 2 shown]
	s_clause 0x4
	global_load_b128 v[56:59], v[38:39], off offset:2288
	global_load_b128 v[32:35], v[38:39], off offset:2272
	;; [unrolled: 1-line block ×5, first 2 shown]
	s_wait_loadcnt 0x5
	v_fmac_f64_e32 v[172:173], v[52:53], v[160:161]
	v_fmac_f64_e32 v[12:13], v[54:55], v[160:161]
	;; [unrolled: 1-line block ×8, first 2 shown]
	v_fma_f64 v[172:173], -v[54:55], v[162:163], v[172:173]
	v_fmac_f64_e32 v[12:13], v[52:53], v[162:163]
	global_load_b128 v[52:55], v[38:39], off offset:4128
	v_fma_f64 v[174:175], -v[70:71], v[162:163], v[174:175]
	v_fmac_f64_e32 v[16:17], v[68:69], v[162:163]
	global_load_b128 v[68:71], v[38:39], off offset:4112
	;; [unrolled: 3-line block ×4, first 2 shown]
	s_clause 0x1
	global_load_b128 v[104:107], v[170:171], off offset:32
	global_load_b128 v[156:159], v[170:171], off offset:48
	s_wait_loadcnt 0x1
	v_fmac_f64_e32 v[172:173], v[48:49], v[104:105]
	v_fmac_f64_e32 v[12:13], v[50:51], v[104:105]
	;; [unrolled: 1-line block ×8, first 2 shown]
	v_fma_f64 v[162:163], -v[50:51], v[106:107], v[172:173]
	v_fmac_f64_e32 v[12:13], v[48:49], v[106:107]
	s_wait_xcnt 0x0
	v_fma_f64 v[170:171], -v[66:67], v[106:107], v[174:175]
	v_fmac_f64_e32 v[16:17], v[64:65], v[106:107]
	v_fma_f64 v[172:173], -v[82:83], v[106:107], v[176:177]
	v_fmac_f64_e32 v[18:19], v[80:81], v[106:107]
	;; [unrolled: 2-line block ×3, first 2 shown]
	s_clause 0x4
	global_load_b128 v[48:51], v[38:39], off offset:4192
	global_load_b128 v[64:67], v[38:39], off offset:4176
	;; [unrolled: 1-line block ×5, first 2 shown]
	s_wait_loadcnt 0x5
	v_fmac_f64_e32 v[162:163], v[44:45], v[156:157]
	v_fmac_f64_e32 v[12:13], v[46:47], v[156:157]
	;; [unrolled: 1-line block ×8, first 2 shown]
	v_fma_f64 v[162:163], -v[46:47], v[158:159], v[162:163]
	v_fmac_f64_e32 v[12:13], v[44:45], v[158:159]
	global_load_b128 v[44:47], v[38:39], off offset:4240
	v_fma_f64 v[170:171], -v[62:63], v[158:159], v[170:171]
	v_fmac_f64_e32 v[16:17], v[60:61], v[158:159]
	global_load_b128 v[60:63], v[38:39], off offset:4224
	;; [unrolled: 3-line block ×3, first 2 shown]
	v_fma_f64 v[160:161], -v[94:95], v[158:159], v[160:161]
	v_fmac_f64_e32 v[14:15], v[92:93], v[158:159]
	s_clause 0x1
	global_load_b128 v[92:95], v[164:165], off
	global_load_b128 v[156:159], v[164:165], off offset:16
	s_wait_loadcnt 0x1
	v_fmac_f64_e32 v[170:171], v[136:137], v[92:93]
	v_fmac_f64_e32 v[16:17], v[138:139], v[92:93]
	;; [unrolled: 1-line block ×8, first 2 shown]
	v_fma_f64 v[170:171], -v[138:139], v[94:95], v[170:171]
	v_fmac_f64_e32 v[16:17], v[136:137], v[94:95]
	v_fma_f64 v[162:163], -v[122:123], v[94:95], v[162:163]
	v_fmac_f64_e32 v[12:13], v[120:121], v[94:95]
	s_clause 0x1
	global_load_b128 v[120:123], v[38:39], off offset:4320
	global_load_b128 v[136:139], v[38:39], off offset:4304
	v_fma_f64 v[172:173], -v[154:155], v[94:95], v[172:173]
	v_fmac_f64_e32 v[18:19], v[152:153], v[94:95]
	global_load_b128 v[152:155], v[38:39], off offset:4288
	v_fma_f64 v[160:161], -v[30:31], v[94:95], v[160:161]
	v_fmac_f64_e32 v[14:15], v[28:29], v[94:95]
	s_clause 0x1
	global_load_b128 v[28:31], v[38:39], off offset:6160
	global_load_b128 v[92:95], v[38:39], off offset:6144
	s_wait_loadcnt 0x5
	v_fmac_f64_e32 v[170:171], v[132:133], v[156:157]
	v_fmac_f64_e32 v[16:17], v[134:135], v[156:157]
	;; [unrolled: 1-line block ×8, first 2 shown]
	v_sub_nc_u64_e32 v[156:157], v[166:167], v[10:11]
	s_delay_alu instid0(VALU_DEP_1)
	v_lshlrev_b64_e32 v[156:157], 6, v[156:157]
	v_fma_f64 v[170:171], -v[134:135], v[158:159], v[170:171]
	v_fmac_f64_e32 v[16:17], v[132:133], v[158:159]
	global_load_b128 v[132:135], v[164:165], off offset:32
	v_fma_f64 v[162:163], -v[118:119], v[158:159], v[162:163]
	v_fmac_f64_e32 v[12:13], v[116:117], v[158:159]
	global_load_b128 v[116:119], v[38:39], off offset:6224
	;; [unrolled: 3-line block ×3, first 2 shown]
	s_wait_xcnt 0x0
	v_add_nc_u64_e32 v[164:165], s[4:5], v[156:157]
	v_fma_f64 v[160:161], -v[74:75], v[158:159], v[160:161]
	v_fmac_f64_e32 v[14:15], v[72:73], v[158:159]
	global_load_b128 v[72:75], v[38:39], off offset:6208
	global_load_b128 v[156:159], v[164:165], off
	s_wait_loadcnt 0x4
	v_fmac_f64_e32 v[162:163], v[112:113], v[132:133]
	v_fmac_f64_e32 v[12:13], v[114:115], v[132:133]
	;; [unrolled: 1-line block ×8, first 2 shown]
	v_fma_f64 v[162:163], -v[114:115], v[134:135], v[162:163]
	v_fmac_f64_e32 v[12:13], v[112:113], v[134:135]
	global_load_b128 v[112:115], v[164:165], off offset:16
	v_fma_f64 v[166:167], -v[130:131], v[134:135], v[170:171]
	v_fma_f64 v[170:171], -v[146:147], v[134:135], v[172:173]
	v_fmac_f64_e32 v[18:19], v[144:145], v[134:135]
	global_load_b128 v[144:147], v[164:165], off offset:32
	v_fmac_f64_e32 v[16:17], v[128:129], v[134:135]
	global_load_b128 v[128:131], v[38:39], off offset:6288
	v_fma_f64 v[172:173], -v[34:35], v[134:135], v[160:161]
	v_fmac_f64_e32 v[14:15], v[32:33], v[134:135]
	s_clause 0x1
	global_load_b128 v[32:35], v[38:39], off offset:6272
	global_load_b128 v[132:135], v[38:39], off offset:6352
	s_wait_loadcnt 0x7
	v_fmac_f64_e32 v[162:163], v[108:109], v[148:149]
	v_fmac_f64_e32 v[12:13], v[110:111], v[148:149]
	;; [unrolled: 1-line block ×8, first 2 shown]
	v_fma_f64 v[174:175], -v[110:111], v[150:151], v[162:163]
	v_fmac_f64_e32 v[12:13], v[108:109], v[150:151]
	global_load_b128 v[108:111], v[38:39], off offset:6336
	global_load_b128 v[160:163], v[164:165], off offset:48
	s_wait_xcnt 0x0
	v_sub_nc_u64_e32 v[164:165], v[168:169], v[10:11]
	v_fma_f64 v[166:167], -v[126:127], v[150:151], v[166:167]
	v_fma_f64 v[168:169], -v[142:143], v[150:151], v[170:171]
	v_fmac_f64_e32 v[18:19], v[140:141], v[150:151]
	v_fmac_f64_e32 v[16:17], v[124:125], v[150:151]
	global_load_b128 v[140:143], v[38:39], off offset:6192
	v_fma_f64 v[170:171], -v[58:59], v[150:151], v[172:173]
	v_lshlrev_b64_e32 v[164:165], 6, v[164:165]
	v_fmac_f64_e32 v[14:15], v[56:57], v[150:151]
	s_delay_alu instid0(VALU_DEP_2)
	v_add_nc_u64_e32 v[164:165], s[4:5], v[164:165]
	global_load_b128 v[124:127], v[164:165], off
	global_load_b128 v[56:59], v[38:39], off offset:6176
	global_load_b128 v[148:151], v[164:165], off offset:16
	s_wait_loadcnt 0xb
	v_fmac_f64_e32 v[174:175], v[84:85], v[156:157]
	v_fmac_f64_e32 v[12:13], v[86:87], v[156:157]
	;; [unrolled: 1-line block ×8, first 2 shown]
	v_fma_f64 v[172:173], -v[86:87], v[158:159], v[174:175]
	v_fmac_f64_e32 v[12:13], v[84:85], v[158:159]
	global_load_b128 v[84:87], v[38:39], off offset:6256
	v_fma_f64 v[166:167], -v[82:83], v[158:159], v[166:167]
	v_fma_f64 v[168:169], -v[62:63], v[158:159], v[168:169]
	v_fmac_f64_e32 v[18:19], v[60:61], v[158:159]
	v_fmac_f64_e32 v[16:17], v[80:81], v[158:159]
	global_load_b128 v[80:83], v[38:39], off offset:6240
	v_fma_f64 v[170:171], -v[154:155], v[158:159], v[170:171]
	global_load_b128 v[60:63], v[38:39], off offset:6320
	v_fmac_f64_e32 v[14:15], v[152:153], v[158:159]
	s_clause 0x1
	global_load_b128 v[152:155], v[38:39], off offset:6304
	global_load_b128 v[156:159], v[38:39], off offset:6368
	s_wait_loadcnt 0xf
	v_fmac_f64_e32 v[172:173], v[68:69], v[112:113]
	v_fmac_f64_e32 v[12:13], v[70:71], v[112:113]
	;; [unrolled: 1-line block ×8, first 2 shown]
	v_fma_f64 v[172:173], -v[70:71], v[114:115], v[172:173]
	v_fmac_f64_e32 v[12:13], v[68:69], v[114:115]
	global_load_b128 v[68:71], v[164:165], off offset:32
	v_fma_f64 v[112:113], -v[66:67], v[114:115], v[166:167]
	v_fmac_f64_e32 v[16:17], v[64:65], v[114:115]
	v_fma_f64 v[166:167], -v[46:47], v[114:115], v[168:169]
	v_fmac_f64_e32 v[18:19], v[44:45], v[114:115]
	;; [unrolled: 2-line block ×3, first 2 shown]
	global_load_b128 v[44:47], v[38:39], off offset:6384
	global_load_b128 v[64:67], v[164:165], off offset:48
	s_wait_xcnt 0x1
	v_add_nc_u64_e32 v[38:39], 0x2000, v[38:39]
	s_wait_loadcnt 0x11
	v_fmac_f64_e32 v[172:173], v[52:53], v[144:145]
	v_fmac_f64_e32 v[12:13], v[54:55], v[144:145]
	v_fmac_f64_e32 v[112:113], v[48:49], v[144:145]
	v_fmac_f64_e32 v[16:17], v[50:51], v[144:145]
	v_fmac_f64_e32 v[166:167], v[104:105], v[144:145]
	v_fmac_f64_e32 v[18:19], v[106:107], v[144:145]
	v_fmac_f64_e32 v[138:139], v[120:121], v[144:145]
	v_fmac_f64_e32 v[14:15], v[122:123], v[144:145]
	v_fma_f64 v[54:55], -v[54:55], v[146:147], v[172:173]
	v_fmac_f64_e32 v[12:13], v[52:53], v[146:147]
	v_fma_f64 v[50:51], -v[50:51], v[146:147], v[112:113]
	v_fmac_f64_e32 v[16:17], v[48:49], v[146:147]
	v_fma_f64 v[48:49], -v[106:107], v[146:147], v[166:167]
	v_fmac_f64_e32 v[18:19], v[104:105], v[146:147]
	v_fma_f64 v[52:53], -v[122:123], v[146:147], v[138:139]
	v_fmac_f64_e32 v[14:15], v[120:121], v[146:147]
	s_wait_loadcnt 0xc
	v_fmac_f64_e32 v[54:55], v[88:89], v[160:161]
	v_fmac_f64_e32 v[12:13], v[90:91], v[160:161]
	v_fmac_f64_e32 v[50:51], v[100:101], v[160:161]
	v_fmac_f64_e32 v[16:17], v[102:103], v[160:161]
	v_fmac_f64_e32 v[48:49], v[96:97], v[160:161]
	v_fmac_f64_e32 v[18:19], v[98:99], v[160:161]
	v_fmac_f64_e32 v[52:53], v[76:77], v[160:161]
	v_fmac_f64_e32 v[14:15], v[78:79], v[160:161]
	v_fma_f64 v[54:55], -v[90:91], v[162:163], v[54:55]
	v_fmac_f64_e32 v[12:13], v[88:89], v[162:163]
	v_fma_f64 v[50:51], -v[102:103], v[162:163], v[50:51]
	v_fmac_f64_e32 v[16:17], v[100:101], v[162:163]
	v_fma_f64 v[48:49], -v[98:99], v[162:163], v[48:49]
	v_fmac_f64_e32 v[18:19], v[96:97], v[162:163]
	v_fma_f64 v[52:53], -v[78:79], v[162:163], v[52:53]
	v_fmac_f64_e32 v[14:15], v[76:77], v[162:163]
	;; [unrolled: 17-line block ×6, first 2 shown]
	s_and_not1_b32 exec_lo, exec_lo, s7
	s_cbranch_execnz .LBB56_21
; %bb.22:
	s_or_b32 exec_lo, exec_lo, s7
.LBB56_23:
	s_delay_alu instid0(SALU_CYCLE_1)
	s_or_b32 exec_lo, exec_lo, s6
.LBB56_24:
	s_delay_alu instid0(SALU_CYCLE_1)
	s_or_b32 exec_lo, exec_lo, s3
	s_cbranch_execz .LBB56_26
	s_branch .LBB56_37
.LBB56_25:
                                        ; implicit-def: $vgpr12_vgpr13
                                        ; implicit-def: $vgpr34_vgpr35
                                        ; implicit-def: $vgpr28_vgpr29
                                        ; implicit-def: $vgpr14_vgpr15
                                        ; implicit-def: $vgpr30_vgpr31
                                        ; implicit-def: $vgpr18_vgpr19
                                        ; implicit-def: $vgpr32_vgpr33
                                        ; implicit-def: $vgpr16_vgpr17
.LBB56_26:
	v_mov_b64_e32 v[12:13], 0
	v_mov_b64_e32 v[34:35], 0
	;; [unrolled: 1-line block ×8, first 2 shown]
	s_and_saveexec_b32 s3, s2
	s_cbranch_execz .LBB56_36
; %bb.27:
	v_dual_mov_b32 v13, v1 :: v_dual_bitop2_b32 v12, 8, v0 bitop3:0x54
	v_sub_nc_u64_e32 v[14:15], v[10:11], v[0:1]
	v_not_b32_e32 v17, v37
	v_not_b32_e32 v16, v36
	v_mov_b64_e32 v[32:33], 0
	v_sub_nc_u64_e32 v[12:13], v[12:13], v[10:11]
	v_mov_b64_e32 v[18:19], 0
	v_mov_b64_e32 v[30:31], 0
	v_add_nc_u64_e32 v[14:15], v[14:15], v[16:17]
	v_mov_b64_e32 v[16:17], 0
	v_mov_b64_e32 v[28:29], 0
	;; [unrolled: 1-line block ×3, first 2 shown]
	v_add_nc_u64_e32 v[12:13], v[12:13], v[36:37]
	s_mov_b32 s2, exec_lo
	s_delay_alu instid0(VALU_DEP_1) | instskip(NEXT) | instid1(VALU_DEP_1)
	v_max_i64 v[12:13], v[12:13], v[22:23]
	v_add_nc_u64_e32 v[36:37], v[14:15], v[12:13]
	v_mov_b64_e32 v[14:15], 0
	v_mov_b64_e32 v[12:13], 0
	s_delay_alu instid0(VALU_DEP_3) | instskip(NEXT) | instid1(VALU_DEP_1)
	v_dual_mov_b32 v39, 0 :: v_dual_bitop2_b32 v38, 24, v36 bitop3:0x40
	v_cmpx_ne_u64_e32 24, v[38:39]
	s_cbranch_execz .LBB56_31
; %bb.28:
	v_lshrrev_b32_e32 v1, 3, v36
	v_mov_b64_e32 v[12:13], 0
	v_mov_b64_e32 v[34:35], 0
	;; [unrolled: 1-line block ×4, first 2 shown]
	v_add_nc_u32_e32 v1, 1, v1
	v_mov_b64_e32 v[30:31], 0
	v_mov_b64_e32 v[18:19], 0
	;; [unrolled: 1-line block ×4, first 2 shown]
	v_and_b32_e32 v38, 3, v1
	v_lshl_add_u64 v[40:41], v[20:21], 3, s[8:9]
	s_mov_b32 s6, 0
	s_delay_alu instid0(VALU_DEP_2)
	v_sub_nc_u64_e32 v[38:39], 0, v[38:39]
.LBB56_29:                              ; =>This Inner Loop Header: Depth=1
	global_load_b64 v[58:59], v[40:41], off
	s_clause 0x3
	global_load_b128 v[42:45], v[24:25], off offset:48
	global_load_b128 v[46:49], v[24:25], off offset:32
	;; [unrolled: 1-line block ×3, first 2 shown]
	global_load_b128 v[54:57], v[24:25], off
	v_add_nc_u64_e32 v[38:39], 1, v[38:39]
	v_add_nc_u64_e32 v[20:21], 8, v[20:21]
	s_wait_xcnt 0x4
	v_add_nc_u64_e32 v[40:41], 64, v[40:41]
	s_delay_alu instid0(VALU_DEP_3) | instskip(SKIP_3) | instid1(VALU_DEP_1)
	v_cmp_eq_u64_e32 vcc_lo, 0, v[38:39]
	s_or_b32 s6, vcc_lo, s6
	s_wait_loadcnt 0x4
	v_sub_nc_u64_e32 v[58:59], v[58:59], v[10:11]
	v_lshlrev_b64_e32 v[58:59], 6, v[58:59]
	s_wait_kmcnt 0x0
	s_delay_alu instid0(VALU_DEP_1)
	v_add_nc_u64_e32 v[118:119], s[4:5], v[58:59]
	global_load_b128 v[58:61], v[118:119], off
	s_clause 0x3
	global_load_b128 v[62:65], v[24:25], off offset:112
	global_load_b128 v[66:69], v[24:25], off offset:96
	;; [unrolled: 1-line block ×5, first 2 shown]
	s_clause 0x3
	global_load_b128 v[82:85], v[24:25], off offset:176
	global_load_b128 v[86:89], v[24:25], off offset:160
	global_load_b128 v[90:93], v[24:25], off offset:144
	global_load_b128 v[94:97], v[24:25], off offset:128
	s_clause 0x1
	global_load_b128 v[98:101], v[118:119], off offset:32
	global_load_b128 v[102:105], v[118:119], off offset:48
	s_clause 0x3
	global_load_b128 v[106:109], v[24:25], off offset:192
	global_load_b128 v[110:113], v[24:25], off offset:208
	global_load_b128 v[114:117], v[24:25], off offset:224
	; meta instruction
	global_load_b128 v[118:121], v[24:25], off offset:240
	s_wait_xcnt 0x0
	v_add_nc_u64_e32 v[24:25], 0x800, v[24:25]
	s_wait_loadcnt 0xf
	v_fmac_f64_e32 v[34:35], v[54:55], v[58:59]
	v_fmac_f64_e32 v[12:13], v[56:57], v[58:59]
	v_fmac_f64_e32 v[32:33], v[50:51], v[58:59]
	v_fmac_f64_e32 v[16:17], v[52:53], v[58:59]
	v_fmac_f64_e32 v[30:31], v[46:47], v[58:59]
	v_fmac_f64_e32 v[18:19], v[48:49], v[58:59]
	v_fmac_f64_e32 v[28:29], v[42:43], v[58:59]
	v_fmac_f64_e32 v[14:15], v[44:45], v[58:59]
	v_fma_f64 v[34:35], -v[56:57], v[60:61], v[34:35]
	v_fmac_f64_e32 v[12:13], v[54:55], v[60:61]
	v_fma_f64 v[32:33], -v[52:53], v[60:61], v[32:33]
	v_fmac_f64_e32 v[16:17], v[50:51], v[60:61]
	v_fma_f64 v[30:31], -v[48:49], v[60:61], v[30:31]
	v_fmac_f64_e32 v[18:19], v[46:47], v[60:61]
	v_fma_f64 v[28:29], -v[44:45], v[60:61], v[28:29]
	v_fmac_f64_e32 v[14:15], v[42:43], v[60:61]
	s_wait_loadcnt 0xa
	v_fmac_f64_e32 v[34:35], v[74:75], v[78:79]
	v_fmac_f64_e32 v[12:13], v[76:77], v[78:79]
	v_fmac_f64_e32 v[32:33], v[70:71], v[78:79]
	v_fmac_f64_e32 v[16:17], v[72:73], v[78:79]
	v_fmac_f64_e32 v[30:31], v[66:67], v[78:79]
	v_fmac_f64_e32 v[18:19], v[68:69], v[78:79]
	v_fmac_f64_e32 v[28:29], v[62:63], v[78:79]
	v_fmac_f64_e32 v[14:15], v[64:65], v[78:79]
	v_fma_f64 v[34:35], -v[76:77], v[80:81], v[34:35]
	v_fmac_f64_e32 v[12:13], v[74:75], v[80:81]
	v_fma_f64 v[32:33], -v[72:73], v[80:81], v[32:33]
	v_fmac_f64_e32 v[16:17], v[70:71], v[80:81]
	v_fma_f64 v[30:31], -v[68:69], v[80:81], v[30:31]
	v_fmac_f64_e32 v[18:19], v[66:67], v[80:81]
	v_fma_f64 v[28:29], -v[64:65], v[80:81], v[28:29]
	v_fmac_f64_e32 v[14:15], v[62:63], v[80:81]
	;; [unrolled: 17-line block ×3, first 2 shown]
	s_wait_loadcnt 0x3
	v_fmac_f64_e32 v[34:35], v[106:107], v[102:103]
	v_fmac_f64_e32 v[12:13], v[108:109], v[102:103]
	s_wait_loadcnt 0x2
	v_fmac_f64_e32 v[32:33], v[110:111], v[102:103]
	v_fmac_f64_e32 v[16:17], v[112:113], v[102:103]
	;; [unrolled: 3-line block ×4, first 2 shown]
	v_fma_f64 v[34:35], -v[108:109], v[104:105], v[34:35]
	v_fmac_f64_e32 v[12:13], v[106:107], v[104:105]
	v_fma_f64 v[32:33], -v[112:113], v[104:105], v[32:33]
	v_fmac_f64_e32 v[16:17], v[110:111], v[104:105]
	;; [unrolled: 2-line block ×4, first 2 shown]
	s_and_not1_b32 exec_lo, exec_lo, s6
	s_cbranch_execnz .LBB56_29
; %bb.30:
	s_or_b32 exec_lo, exec_lo, s6
.LBB56_31:
	s_delay_alu instid0(SALU_CYCLE_1) | instskip(NEXT) | instid1(SALU_CYCLE_1)
	s_or_b32 exec_lo, exec_lo, s2
	s_mov_b32 s2, exec_lo
	v_cmpx_lt_u64_e32 23, v[36:37]
	s_cbranch_execz .LBB56_35
; %bb.32:
	v_lshl_add_u64 v[36:37], v[20:21], 3, s[8:9]
	s_mov_b32 s6, 0
	s_delay_alu instid0(VALU_DEP_1)
	v_add_nc_u64_e32 v[36:37], 0x80, v[36:37]
.LBB56_33:                              ; =>This Inner Loop Header: Depth=1
	global_load_b64 v[134:135], v[36:37], off offset:-128
	s_clause 0xf
	global_load_b128 v[38:41], v[24:25], off offset:48
	global_load_b128 v[42:45], v[24:25], off offset:32
	;; [unrolled: 1-line block ×3, first 2 shown]
	global_load_b128 v[50:53], v[24:25], off
	global_load_b128 v[54:57], v[24:25], off offset:112
	global_load_b128 v[58:61], v[24:25], off offset:96
	;; [unrolled: 1-line block ×12, first 2 shown]
	s_clause 0x2
	global_load_b64 v[142:143], v[36:37], off offset:-64
	global_load_b64 v[144:145], v[36:37], off
	global_load_b64 v[146:147], v[36:37], off offset:64
	s_clause 0x7
	global_load_b128 v[102:105], v[24:25], off offset:2096
	global_load_b128 v[106:109], v[24:25], off offset:2080
	;; [unrolled: 1-line block ×8, first 2 shown]
	v_add_nc_u64_e32 v[20:21], 32, v[20:21]
	s_wait_xcnt 0x8
	v_add_nc_u64_e32 v[36:37], 0x100, v[36:37]
	s_delay_alu instid0(VALU_DEP_2) | instskip(SKIP_3) | instid1(VALU_DEP_1)
	v_cmp_ge_i64_e32 vcc_lo, v[20:21], v[22:23]
	s_or_b32 s6, vcc_lo, s6
	s_wait_loadcnt 0x1b
	v_sub_nc_u64_e32 v[134:135], v[134:135], v[10:11]
	v_lshlrev_b64_e32 v[134:135], 6, v[134:135]
	s_wait_kmcnt 0x0
	s_delay_alu instid0(VALU_DEP_1)
	v_add_nc_u64_e32 v[148:149], s[4:5], v[134:135]
	s_clause 0x1
	global_load_b128 v[134:137], v[148:149], off
	global_load_b128 v[138:141], v[148:149], off offset:16
	s_wait_loadcnt 0xc
	v_sub_nc_u64_e32 v[142:143], v[142:143], v[10:11]
	s_wait_loadcnt 0xb
	v_sub_nc_u64_e32 v[144:145], v[144:145], v[10:11]
	;; [unrolled: 2-line block ×3, first 2 shown]
	s_delay_alu instid0(VALU_DEP_3) | instskip(NEXT) | instid1(VALU_DEP_3)
	v_lshlrev_b64_e32 v[142:143], 6, v[142:143]
	v_lshlrev_b64_e32 v[144:145], 6, v[144:145]
	s_delay_alu instid0(VALU_DEP_2) | instskip(NEXT) | instid1(VALU_DEP_2)
	v_add_nc_u64_e32 v[142:143], s[4:5], v[142:143]
	v_add_nc_u64_e32 v[144:145], s[4:5], v[144:145]
	s_wait_loadcnt 0x1
	v_fmac_f64_e32 v[34:35], v[50:51], v[134:135]
	v_fmac_f64_e32 v[12:13], v[52:53], v[134:135]
	;; [unrolled: 1-line block ×8, first 2 shown]
	v_fma_f64 v[150:151], -v[52:53], v[136:137], v[34:35]
	v_fmac_f64_e32 v[12:13], v[50:51], v[136:137]
	v_fma_f64 v[152:153], -v[48:49], v[136:137], v[32:33]
	v_fmac_f64_e32 v[16:17], v[46:47], v[136:137]
	;; [unrolled: 2-line block ×4, first 2 shown]
	s_clause 0x5
	global_load_b128 v[50:53], v[24:25], off offset:2224
	global_load_b128 v[32:35], v[24:25], off offset:2208
	;; [unrolled: 1-line block ×6, first 2 shown]
	s_wait_loadcnt 0x6
	v_fmac_f64_e32 v[150:151], v[66:67], v[138:139]
	v_fmac_f64_e32 v[12:13], v[68:69], v[138:139]
	;; [unrolled: 1-line block ×8, first 2 shown]
	v_fma_f64 v[150:151], -v[68:69], v[140:141], v[150:151]
	v_fmac_f64_e32 v[12:13], v[66:67], v[140:141]
	v_fma_f64 v[152:153], -v[64:65], v[140:141], v[152:153]
	v_fmac_f64_e32 v[16:17], v[62:63], v[140:141]
	global_load_b128 v[62:65], v[24:25], off offset:2256
	v_fma_f64 v[154:155], -v[60:61], v[140:141], v[154:155]
	v_fmac_f64_e32 v[18:19], v[58:59], v[140:141]
	global_load_b128 v[58:61], v[24:25], off offset:2240
	;; [unrolled: 3-line block ×3, first 2 shown]
	s_clause 0x1
	global_load_b128 v[66:69], v[148:149], off offset:32
	global_load_b128 v[134:137], v[148:149], off offset:48
	s_wait_loadcnt 0x1
	v_fmac_f64_e32 v[150:151], v[82:83], v[66:67]
	v_fmac_f64_e32 v[12:13], v[84:85], v[66:67]
	;; [unrolled: 1-line block ×8, first 2 shown]
	v_fma_f64 v[140:141], -v[84:85], v[68:69], v[150:151]
	v_fmac_f64_e32 v[12:13], v[82:83], v[68:69]
	s_wait_xcnt 0x0
	v_fma_f64 v[148:149], -v[80:81], v[68:69], v[152:153]
	v_fmac_f64_e32 v[16:17], v[78:79], v[68:69]
	v_fma_f64 v[150:151], -v[76:77], v[68:69], v[154:155]
	v_fmac_f64_e32 v[18:19], v[74:75], v[68:69]
	;; [unrolled: 2-line block ×3, first 2 shown]
	s_clause 0x4
	global_load_b128 v[82:85], v[24:25], off offset:4128
	global_load_b128 v[78:81], v[24:25], off offset:4112
	;; [unrolled: 1-line block ×5, first 2 shown]
	s_wait_loadcnt 0x5
	v_fmac_f64_e32 v[140:141], v[98:99], v[134:135]
	v_fmac_f64_e32 v[12:13], v[100:101], v[134:135]
	;; [unrolled: 1-line block ×8, first 2 shown]
	v_fma_f64 v[140:141], -v[100:101], v[136:137], v[140:141]
	v_fmac_f64_e32 v[12:13], v[98:99], v[136:137]
	global_load_b128 v[98:101], v[24:25], off offset:4176
	v_fma_f64 v[148:149], -v[96:97], v[136:137], v[148:149]
	v_fmac_f64_e32 v[16:17], v[94:95], v[136:137]
	global_load_b128 v[94:97], v[24:25], off offset:4160
	;; [unrolled: 3-line block ×3, first 2 shown]
	v_fma_f64 v[138:139], -v[88:89], v[136:137], v[138:139]
	v_fmac_f64_e32 v[14:15], v[86:87], v[136:137]
	s_clause 0x1
	global_load_b128 v[86:89], v[142:143], off
	global_load_b128 v[134:137], v[142:143], off offset:16
	s_wait_loadcnt 0x1
	v_fmac_f64_e32 v[140:141], v[114:115], v[86:87]
	v_fmac_f64_e32 v[12:13], v[116:117], v[86:87]
	;; [unrolled: 1-line block ×8, first 2 shown]
	v_fma_f64 v[140:141], -v[116:117], v[88:89], v[140:141]
	v_fmac_f64_e32 v[12:13], v[114:115], v[88:89]
	v_fma_f64 v[148:149], -v[112:113], v[88:89], v[148:149]
	v_fmac_f64_e32 v[16:17], v[110:111], v[88:89]
	;; [unrolled: 2-line block ×4, first 2 shown]
	s_clause 0x4
	global_load_b128 v[114:117], v[24:25], off offset:4256
	global_load_b128 v[110:113], v[24:25], off offset:4240
	;; [unrolled: 1-line block ×5, first 2 shown]
	s_wait_loadcnt 0x5
	v_fmac_f64_e32 v[140:141], v[130:131], v[134:135]
	v_fmac_f64_e32 v[12:13], v[132:133], v[134:135]
	;; [unrolled: 1-line block ×8, first 2 shown]
	v_fma_f64 v[140:141], -v[132:133], v[136:137], v[140:141]
	v_fmac_f64_e32 v[12:13], v[130:131], v[136:137]
	global_load_b128 v[130:133], v[24:25], off offset:4304
	v_fma_f64 v[148:149], -v[128:129], v[136:137], v[148:149]
	v_fmac_f64_e32 v[16:17], v[126:127], v[136:137]
	global_load_b128 v[126:129], v[24:25], off offset:4288
	;; [unrolled: 3-line block ×3, first 2 shown]
	v_fma_f64 v[138:139], -v[120:121], v[136:137], v[138:139]
	v_fmac_f64_e32 v[14:15], v[118:119], v[136:137]
	s_clause 0x1
	global_load_b128 v[118:121], v[142:143], off offset:32
	global_load_b128 v[134:137], v[142:143], off offset:48
	s_wait_loadcnt 0x1
	v_fmac_f64_e32 v[140:141], v[28:29], v[118:119]
	v_fmac_f64_e32 v[12:13], v[30:31], v[118:119]
	;; [unrolled: 1-line block ×8, first 2 shown]
	v_fma_f64 v[140:141], -v[30:31], v[120:121], v[140:141]
	v_fmac_f64_e32 v[12:13], v[28:29], v[120:121]
	s_wait_xcnt 0x0
	v_fma_f64 v[142:143], -v[44:45], v[120:121], v[148:149]
	v_fmac_f64_e32 v[16:17], v[42:43], v[120:121]
	v_fma_f64 v[148:149], -v[34:35], v[120:121], v[150:151]
	v_fmac_f64_e32 v[18:19], v[32:33], v[120:121]
	;; [unrolled: 2-line block ×3, first 2 shown]
	s_clause 0x4
	global_load_b128 v[28:31], v[24:25], off offset:6176
	global_load_b128 v[42:45], v[24:25], off offset:6160
	;; [unrolled: 1-line block ×5, first 2 shown]
	s_wait_loadcnt 0x5
	v_fmac_f64_e32 v[140:141], v[58:59], v[134:135]
	v_fmac_f64_e32 v[12:13], v[60:61], v[134:135]
	;; [unrolled: 1-line block ×8, first 2 shown]
	v_fma_f64 v[140:141], -v[60:61], v[136:137], v[140:141]
	v_fmac_f64_e32 v[12:13], v[58:59], v[136:137]
	global_load_b128 v[58:61], v[24:25], off offset:6224
	v_fma_f64 v[142:143], -v[64:65], v[136:137], v[142:143]
	v_fmac_f64_e32 v[16:17], v[62:63], v[136:137]
	global_load_b128 v[62:65], v[24:25], off offset:6208
	;; [unrolled: 3-line block ×3, first 2 shown]
	v_fma_f64 v[150:151], -v[40:41], v[136:137], v[138:139]
	v_fmac_f64_e32 v[14:15], v[38:39], v[136:137]
	s_clause 0x1
	global_load_b128 v[38:41], v[144:145], off
	global_load_b128 v[134:137], v[144:145], off offset:16
	s_wait_loadcnt 0x1
	v_fmac_f64_e32 v[140:141], v[74:75], v[38:39]
	v_fmac_f64_e32 v[12:13], v[76:77], v[38:39]
	;; [unrolled: 1-line block ×8, first 2 shown]
	v_fma_f64 v[152:153], -v[76:77], v[40:41], v[140:141]
	v_fmac_f64_e32 v[12:13], v[74:75], v[40:41]
	s_clause 0x1
	global_load_b128 v[74:77], v[144:145], off offset:32
	global_load_b128 v[138:141], v[144:145], off offset:48
	s_wait_xcnt 0x0
	v_lshlrev_b64_e32 v[144:145], 6, v[146:147]
	v_fma_f64 v[142:143], -v[80:81], v[40:41], v[142:143]
	v_fmac_f64_e32 v[16:17], v[78:79], v[40:41]
	global_load_b128 v[78:81], v[24:25], off offset:6304
	v_fma_f64 v[148:149], -v[84:85], v[40:41], v[148:149]
	v_fmac_f64_e32 v[18:19], v[82:83], v[40:41]
	global_load_b128 v[82:85], v[24:25], off offset:6288
	v_add_nc_u64_e32 v[144:145], s[4:5], v[144:145]
	v_fma_f64 v[146:147], -v[56:57], v[40:41], v[150:151]
	v_fmac_f64_e32 v[14:15], v[54:55], v[40:41]
	s_clause 0x1
	global_load_b128 v[38:41], v[144:145], off offset:16
	global_load_b128 v[54:57], v[144:145], off
	s_wait_loadcnt 0x6
	v_fmac_f64_e32 v[152:153], v[94:95], v[134:135]
	v_fmac_f64_e32 v[12:13], v[96:97], v[134:135]
	;; [unrolled: 1-line block ×8, first 2 shown]
	v_fma_f64 v[150:151], -v[96:97], v[136:137], v[152:153]
	v_fmac_f64_e32 v[12:13], v[94:95], v[136:137]
	global_load_b128 v[94:97], v[24:25], off offset:6272
	v_fma_f64 v[142:143], -v[100:101], v[136:137], v[142:143]
	v_fmac_f64_e32 v[16:17], v[98:99], v[136:137]
	global_load_b128 v[98:101], v[24:25], off offset:6352
	;; [unrolled: 3-line block ×3, first 2 shown]
	v_fma_f64 v[146:147], -v[68:69], v[136:137], v[146:147]
	v_fmac_f64_e32 v[14:15], v[66:67], v[136:137]
	s_clause 0x1
	global_load_b128 v[66:69], v[144:145], off offset:48
	global_load_b128 v[134:137], v[144:145], off offset:32
	s_wait_loadcnt 0xa
	v_fmac_f64_e32 v[150:151], v[106:107], v[74:75]
	v_fmac_f64_e32 v[12:13], v[108:109], v[74:75]
	;; [unrolled: 1-line block ×8, first 2 shown]
	s_wait_xcnt 0x0
	v_fma_f64 v[144:145], -v[108:109], v[76:77], v[150:151]
	v_fmac_f64_e32 v[12:13], v[106:107], v[76:77]
	global_load_b128 v[106:109], v[24:25], off offset:6368
	v_fma_f64 v[142:143], -v[112:113], v[76:77], v[142:143]
	v_fmac_f64_e32 v[16:17], v[110:111], v[76:77]
	global_load_b128 v[110:113], v[24:25], off offset:6384
	v_fma_f64 v[74:75], -v[116:117], v[76:77], v[148:149]
	v_fmac_f64_e32 v[18:19], v[114:115], v[76:77]
	v_fma_f64 v[92:93], -v[92:93], v[76:77], v[146:147]
	v_fmac_f64_e32 v[14:15], v[90:91], v[76:77]
	s_wait_xcnt 0x0
	v_add_nc_u64_e32 v[24:25], 0x2000, v[24:25]
	s_wait_loadcnt 0xb
	v_fmac_f64_e32 v[144:145], v[126:127], v[138:139]
	v_fmac_f64_e32 v[12:13], v[128:129], v[138:139]
	;; [unrolled: 1-line block ×8, first 2 shown]
	v_fma_f64 v[76:77], -v[128:129], v[140:141], v[144:145]
	v_fmac_f64_e32 v[12:13], v[126:127], v[140:141]
	v_fma_f64 v[90:91], -v[132:133], v[140:141], v[142:143]
	v_fmac_f64_e32 v[16:17], v[130:131], v[140:141]
	;; [unrolled: 2-line block ×4, first 2 shown]
	s_wait_loadcnt 0x7
	v_fmac_f64_e32 v[76:77], v[32:33], v[54:55]
	v_fmac_f64_e32 v[12:13], v[34:35], v[54:55]
	;; [unrolled: 1-line block ×8, first 2 shown]
	v_fma_f64 v[34:35], -v[34:35], v[56:57], v[76:77]
	v_fmac_f64_e32 v[12:13], v[32:33], v[56:57]
	v_fma_f64 v[32:33], -v[44:45], v[56:57], v[90:91]
	v_fmac_f64_e32 v[16:17], v[42:43], v[56:57]
	;; [unrolled: 2-line block ×4, first 2 shown]
	v_fmac_f64_e32 v[34:35], v[62:63], v[38:39]
	v_fmac_f64_e32 v[12:13], v[64:65], v[38:39]
	;; [unrolled: 1-line block ×8, first 2 shown]
	v_fma_f64 v[34:35], -v[64:65], v[40:41], v[34:35]
	v_fmac_f64_e32 v[12:13], v[62:63], v[40:41]
	v_fma_f64 v[32:33], -v[60:61], v[40:41], v[32:33]
	v_fmac_f64_e32 v[16:17], v[58:59], v[40:41]
	;; [unrolled: 2-line block ×4, first 2 shown]
	s_wait_loadcnt 0x2
	v_fmac_f64_e32 v[34:35], v[94:95], v[134:135]
	v_fmac_f64_e32 v[12:13], v[96:97], v[134:135]
	;; [unrolled: 1-line block ×8, first 2 shown]
	v_fma_f64 v[34:35], -v[96:97], v[136:137], v[34:35]
	v_fmac_f64_e32 v[12:13], v[94:95], v[136:137]
	v_fma_f64 v[32:33], -v[84:85], v[136:137], v[32:33]
	v_fmac_f64_e32 v[16:17], v[82:83], v[136:137]
	;; [unrolled: 2-line block ×4, first 2 shown]
	v_fmac_f64_e32 v[34:35], v[70:71], v[66:67]
	v_fmac_f64_e32 v[12:13], v[72:73], v[66:67]
	v_fmac_f64_e32 v[32:33], v[98:99], v[66:67]
	v_fmac_f64_e32 v[16:17], v[100:101], v[66:67]
	s_delay_alu instid0(VALU_DEP_4) | instskip(NEXT) | instid1(VALU_DEP_4)
	v_fma_f64 v[34:35], -v[72:73], v[68:69], v[34:35]
	v_fmac_f64_e32 v[12:13], v[70:71], v[68:69]
	s_wait_loadcnt 0x1
	v_fmac_f64_e32 v[30:31], v[106:107], v[66:67]
	v_fmac_f64_e32 v[18:19], v[108:109], v[66:67]
	v_fma_f64 v[32:33], -v[100:101], v[68:69], v[32:33]
	s_wait_loadcnt 0x0
	v_fmac_f64_e32 v[28:29], v[110:111], v[66:67]
	v_fmac_f64_e32 v[14:15], v[112:113], v[66:67]
	;; [unrolled: 1-line block ×3, first 2 shown]
	v_fma_f64 v[30:31], -v[108:109], v[68:69], v[30:31]
	v_fmac_f64_e32 v[18:19], v[106:107], v[68:69]
	v_fma_f64 v[28:29], -v[112:113], v[68:69], v[28:29]
	v_fmac_f64_e32 v[14:15], v[110:111], v[68:69]
	s_and_not1_b32 exec_lo, exec_lo, s6
	s_cbranch_execnz .LBB56_33
; %bb.34:
	s_or_b32 exec_lo, exec_lo, s6
.LBB56_35:
	s_delay_alu instid0(SALU_CYCLE_1)
	s_or_b32 exec_lo, exec_lo, s2
.LBB56_36:
	s_delay_alu instid0(SALU_CYCLE_1)
	s_or_b32 exec_lo, exec_lo, s3
.LBB56_37:
	v_mbcnt_lo_u32_b32 v1, -1, 0
	s_delay_alu instid0(VALU_DEP_1) | instskip(NEXT) | instid1(VALU_DEP_1)
	v_xor_b32_e32 v10, 4, v1
	v_cmp_gt_i32_e32 vcc_lo, 32, v10
	v_cndmask_b32_e32 v10, v1, v10, vcc_lo
	s_delay_alu instid0(VALU_DEP_1)
	v_lshlrev_b32_e32 v43, 2, v10
	ds_bpermute_b32 v20, v43, v12
	ds_bpermute_b32 v21, v43, v13
	s_wait_dscnt 0x0
	v_add_f64_e32 v[12:13], v[12:13], v[20:21]
	ds_bpermute_b32 v10, v43, v34
	ds_bpermute_b32 v11, v43, v35
	ds_bpermute_b32 v22, v43, v32
	ds_bpermute_b32 v23, v43, v33
	ds_bpermute_b32 v36, v43, v30
	ds_bpermute_b32 v37, v43, v31
	ds_bpermute_b32 v24, v43, v16
	ds_bpermute_b32 v25, v43, v17
	ds_bpermute_b32 v38, v43, v18
	ds_bpermute_b32 v39, v43, v19
	ds_bpermute_b32 v40, v43, v28
	ds_bpermute_b32 v41, v43, v29
	ds_bpermute_b32 v42, v43, v14
	ds_bpermute_b32 v43, v43, v15
	s_wait_dscnt 0xc
	v_add_f64_e32 v[10:11], v[34:35], v[10:11]
	s_wait_dscnt 0xa
	v_add_f64_e32 v[20:21], v[32:33], v[22:23]
	;; [unrolled: 2-line block ×5, first 2 shown]
	s_wait_dscnt 0x0
	v_dual_add_f64 v[32:33], v[14:15], v[42:43] :: v_dual_bitop2_b32 v14, 2, v1 bitop3:0x14
	s_delay_alu instid0(VALU_DEP_1) | instskip(SKIP_1) | instid1(VALU_DEP_1)
	v_cmp_gt_i32_e32 vcc_lo, 32, v14
	v_cndmask_b32_e32 v14, v1, v14, vcc_lo
	v_dual_add_f64 v[16:17], v[16:17], v[24:25] :: v_dual_lshlrev_b32 v30, 2, v14
	ds_bpermute_b32 v14, v30, v10
	ds_bpermute_b32 v15, v30, v11
	;; [unrolled: 1-line block ×10, first 2 shown]
	s_wait_dscnt 0x8
	v_add_f64_e32 v[10:11], v[10:11], v[14:15]
	ds_bpermute_b32 v36, v30, v16
	s_wait_dscnt 0x6
	v_dual_add_f64 v[14:15], v[22:23], v[38:39] :: v_dual_bitop2_b32 v22, 1, v1 bitop3:0x14
	ds_bpermute_b32 v37, v30, v17
	ds_bpermute_b32 v40, v30, v18
	;; [unrolled: 1-line block ×3, first 2 shown]
	v_cmp_gt_i32_e32 vcc_lo, 32, v22
	v_cndmask_b32_e32 v1, v1, v22, vcc_lo
	v_cmp_eq_u32_e32 vcc_lo, 7, v0
	s_delay_alu instid0(VALU_DEP_2)
	v_lshlrev_b32_e32 v1, 2, v1
	ds_bpermute_b32 v44, v30, v32
	ds_bpermute_b32 v45, v30, v33
	s_wait_dscnt 0xa
	v_add_f64_e32 v[30:31], v[12:13], v[24:25]
	s_wait_dscnt 0x8
	v_add_f64_e32 v[12:13], v[20:21], v[34:35]
	;; [unrolled: 2-line block ×3, first 2 shown]
	v_add_f64_e32 v[16:17], v[28:29], v[42:43]
	s_wait_dscnt 0x2
	v_add_f64_e32 v[20:21], v[18:19], v[40:41]
	ds_bpermute_b32 v22, v1, v10
	ds_bpermute_b32 v23, v1, v11
	s_wait_dscnt 0x2
	v_add_f64_e32 v[18:19], v[32:33], v[44:45]
	ds_bpermute_b32 v32, v1, v14
	ds_bpermute_b32 v33, v1, v15
	;; [unrolled: 1-line block ×14, first 2 shown]
	s_and_b32 exec_lo, exec_lo, vcc_lo
	s_cbranch_execz .LBB56_8
; %bb.38:
	s_wait_dscnt 0xa
	v_add_f64_e32 v[0:1], v[30:31], v[42:43]
	s_wait_dscnt 0x6
	v_add_f64_e32 v[30:31], v[24:25], v[40:41]
	;; [unrolled: 2-line block ×4, first 2 shown]
	v_add_f64_e32 v[40:41], v[10:11], v[22:23]
	v_add_f64_e32 v[28:29], v[12:13], v[28:29]
	;; [unrolled: 1-line block ×4, first 2 shown]
	v_cmp_eq_f64_e32 vcc_lo, 0, v[2:3]
	v_cmp_eq_f64_e64 s2, 0, v[4:5]
	s_load_b64 s[0:1], s[0:1], 0x68
	v_mul_f64_e64 v[22:23], v[0:1], -v[8:9]
	v_mul_f64_e32 v[24:25], v[6:7], v[0:1]
	v_mul_f64_e64 v[18:19], v[30:31], -v[8:9]
	v_mul_f64_e32 v[20:21], v[6:7], v[30:31]
	;; [unrolled: 2-line block ×4, first 2 shown]
	v_lshlrev_b64_e32 v[0:1], 6, v[26:27]
	s_and_b32 s2, vcc_lo, s2
	v_fmac_f64_e32 v[22:23], v[6:7], v[40:41]
	v_fmac_f64_e32 v[24:25], v[8:9], v[40:41]
	;; [unrolled: 1-line block ×8, first 2 shown]
	s_and_saveexec_b32 s3, s2
	s_delay_alu instid0(SALU_CYCLE_1)
	s_xor_b32 s2, exec_lo, s3
	s_cbranch_execz .LBB56_40
; %bb.39:
	s_wait_kmcnt 0x0
	v_add_nc_u64_e32 v[0:1], s[0:1], v[0:1]
                                        ; implicit-def: $vgpr4_vgpr5
	s_clause 0x3
	global_store_b128 v[0:1], v[22:25], off
	global_store_b128 v[0:1], v[18:21], off offset:16
	global_store_b128 v[0:1], v[14:17], off offset:32
	;; [unrolled: 1-line block ×3, first 2 shown]
                                        ; implicit-def: $vgpr22_vgpr23
                                        ; implicit-def: $vgpr0_vgpr1
                                        ; implicit-def: $vgpr18_vgpr19
                                        ; implicit-def: $vgpr14_vgpr15
                                        ; implicit-def: $vgpr10_vgpr11
.LBB56_40:
	s_wait_xcnt 0x0
	s_and_not1_saveexec_b32 s2, s2
	s_cbranch_execz .LBB56_8
; %bb.41:
	s_wait_kmcnt 0x0
	v_add_nc_u64_e32 v[0:1], s[0:1], v[0:1]
	s_clause 0x3
	global_load_b128 v[6:9], v[0:1], off
	global_load_b128 v[26:29], v[0:1], off offset:16
	global_load_b128 v[30:33], v[0:1], off offset:32
	;; [unrolled: 1-line block ×3, first 2 shown]
	s_wait_loadcnt 0x3
	v_fmac_f64_e32 v[22:23], v[2:3], v[6:7]
	v_fmac_f64_e32 v[24:25], v[4:5], v[6:7]
	s_wait_loadcnt 0x2
	v_fmac_f64_e32 v[18:19], v[2:3], v[26:27]
	v_fmac_f64_e32 v[20:21], v[4:5], v[26:27]
	;; [unrolled: 3-line block ×4, first 2 shown]
	v_fma_f64 v[22:23], -v[4:5], v[8:9], v[22:23]
	v_fmac_f64_e32 v[24:25], v[2:3], v[8:9]
	v_fma_f64 v[18:19], -v[4:5], v[28:29], v[18:19]
	v_fmac_f64_e32 v[20:21], v[2:3], v[28:29]
	;; [unrolled: 2-line block ×4, first 2 shown]
	s_clause 0x3
	global_store_b128 v[0:1], v[22:25], off
	global_store_b128 v[0:1], v[18:21], off offset:16
	global_store_b128 v[0:1], v[14:17], off offset:32
	;; [unrolled: 1-line block ×3, first 2 shown]
	s_sendmsg sendmsg(MSG_DEALLOC_VGPRS)
	s_endpgm
	.section	.rodata,"a",@progbits
	.p2align	6, 0x0
	.amdhsa_kernel _ZN9rocsparseL18bsrxmvn_4x4_kernelILj128ELj8E21rocsparse_complex_numIdEllS2_S2_S2_EEvT3_20rocsparse_direction_NS_24const_host_device_scalarIT1_EES3_PKS3_PKT2_SC_S9_PKT4_PKT5_S7_PT6_21rocsparse_index_base_b
		.amdhsa_group_segment_fixed_size 0
		.amdhsa_private_segment_fixed_size 0
		.amdhsa_kernarg_size 120
		.amdhsa_user_sgpr_count 2
		.amdhsa_user_sgpr_dispatch_ptr 0
		.amdhsa_user_sgpr_queue_ptr 0
		.amdhsa_user_sgpr_kernarg_segment_ptr 1
		.amdhsa_user_sgpr_dispatch_id 0
		.amdhsa_user_sgpr_kernarg_preload_length 0
		.amdhsa_user_sgpr_kernarg_preload_offset 0
		.amdhsa_user_sgpr_private_segment_size 0
		.amdhsa_wavefront_size32 1
		.amdhsa_uses_dynamic_stack 0
		.amdhsa_enable_private_segment 0
		.amdhsa_system_sgpr_workgroup_id_x 1
		.amdhsa_system_sgpr_workgroup_id_y 0
		.amdhsa_system_sgpr_workgroup_id_z 0
		.amdhsa_system_sgpr_workgroup_info 0
		.amdhsa_system_vgpr_workitem_id 0
		.amdhsa_next_free_vgpr 178
		.amdhsa_next_free_sgpr 12
		.amdhsa_named_barrier_count 0
		.amdhsa_reserve_vcc 1
		.amdhsa_float_round_mode_32 0
		.amdhsa_float_round_mode_16_64 0
		.amdhsa_float_denorm_mode_32 3
		.amdhsa_float_denorm_mode_16_64 3
		.amdhsa_fp16_overflow 0
		.amdhsa_memory_ordered 1
		.amdhsa_forward_progress 1
		.amdhsa_inst_pref_size 68
		.amdhsa_round_robin_scheduling 0
		.amdhsa_exception_fp_ieee_invalid_op 0
		.amdhsa_exception_fp_denorm_src 0
		.amdhsa_exception_fp_ieee_div_zero 0
		.amdhsa_exception_fp_ieee_overflow 0
		.amdhsa_exception_fp_ieee_underflow 0
		.amdhsa_exception_fp_ieee_inexact 0
		.amdhsa_exception_int_div_zero 0
	.end_amdhsa_kernel
	.section	.text._ZN9rocsparseL18bsrxmvn_4x4_kernelILj128ELj8E21rocsparse_complex_numIdEllS2_S2_S2_EEvT3_20rocsparse_direction_NS_24const_host_device_scalarIT1_EES3_PKS3_PKT2_SC_S9_PKT4_PKT5_S7_PT6_21rocsparse_index_base_b,"axG",@progbits,_ZN9rocsparseL18bsrxmvn_4x4_kernelILj128ELj8E21rocsparse_complex_numIdEllS2_S2_S2_EEvT3_20rocsparse_direction_NS_24const_host_device_scalarIT1_EES3_PKS3_PKT2_SC_S9_PKT4_PKT5_S7_PT6_21rocsparse_index_base_b,comdat
.Lfunc_end56:
	.size	_ZN9rocsparseL18bsrxmvn_4x4_kernelILj128ELj8E21rocsparse_complex_numIdEllS2_S2_S2_EEvT3_20rocsparse_direction_NS_24const_host_device_scalarIT1_EES3_PKS3_PKT2_SC_S9_PKT4_PKT5_S7_PT6_21rocsparse_index_base_b, .Lfunc_end56-_ZN9rocsparseL18bsrxmvn_4x4_kernelILj128ELj8E21rocsparse_complex_numIdEllS2_S2_S2_EEvT3_20rocsparse_direction_NS_24const_host_device_scalarIT1_EES3_PKS3_PKT2_SC_S9_PKT4_PKT5_S7_PT6_21rocsparse_index_base_b
                                        ; -- End function
	.set _ZN9rocsparseL18bsrxmvn_4x4_kernelILj128ELj8E21rocsparse_complex_numIdEllS2_S2_S2_EEvT3_20rocsparse_direction_NS_24const_host_device_scalarIT1_EES3_PKS3_PKT2_SC_S9_PKT4_PKT5_S7_PT6_21rocsparse_index_base_b.num_vgpr, 178
	.set _ZN9rocsparseL18bsrxmvn_4x4_kernelILj128ELj8E21rocsparse_complex_numIdEllS2_S2_S2_EEvT3_20rocsparse_direction_NS_24const_host_device_scalarIT1_EES3_PKS3_PKT2_SC_S9_PKT4_PKT5_S7_PT6_21rocsparse_index_base_b.num_agpr, 0
	.set _ZN9rocsparseL18bsrxmvn_4x4_kernelILj128ELj8E21rocsparse_complex_numIdEllS2_S2_S2_EEvT3_20rocsparse_direction_NS_24const_host_device_scalarIT1_EES3_PKS3_PKT2_SC_S9_PKT4_PKT5_S7_PT6_21rocsparse_index_base_b.numbered_sgpr, 12
	.set _ZN9rocsparseL18bsrxmvn_4x4_kernelILj128ELj8E21rocsparse_complex_numIdEllS2_S2_S2_EEvT3_20rocsparse_direction_NS_24const_host_device_scalarIT1_EES3_PKS3_PKT2_SC_S9_PKT4_PKT5_S7_PT6_21rocsparse_index_base_b.num_named_barrier, 0
	.set _ZN9rocsparseL18bsrxmvn_4x4_kernelILj128ELj8E21rocsparse_complex_numIdEllS2_S2_S2_EEvT3_20rocsparse_direction_NS_24const_host_device_scalarIT1_EES3_PKS3_PKT2_SC_S9_PKT4_PKT5_S7_PT6_21rocsparse_index_base_b.private_seg_size, 0
	.set _ZN9rocsparseL18bsrxmvn_4x4_kernelILj128ELj8E21rocsparse_complex_numIdEllS2_S2_S2_EEvT3_20rocsparse_direction_NS_24const_host_device_scalarIT1_EES3_PKS3_PKT2_SC_S9_PKT4_PKT5_S7_PT6_21rocsparse_index_base_b.uses_vcc, 1
	.set _ZN9rocsparseL18bsrxmvn_4x4_kernelILj128ELj8E21rocsparse_complex_numIdEllS2_S2_S2_EEvT3_20rocsparse_direction_NS_24const_host_device_scalarIT1_EES3_PKS3_PKT2_SC_S9_PKT4_PKT5_S7_PT6_21rocsparse_index_base_b.uses_flat_scratch, 0
	.set _ZN9rocsparseL18bsrxmvn_4x4_kernelILj128ELj8E21rocsparse_complex_numIdEllS2_S2_S2_EEvT3_20rocsparse_direction_NS_24const_host_device_scalarIT1_EES3_PKS3_PKT2_SC_S9_PKT4_PKT5_S7_PT6_21rocsparse_index_base_b.has_dyn_sized_stack, 0
	.set _ZN9rocsparseL18bsrxmvn_4x4_kernelILj128ELj8E21rocsparse_complex_numIdEllS2_S2_S2_EEvT3_20rocsparse_direction_NS_24const_host_device_scalarIT1_EES3_PKS3_PKT2_SC_S9_PKT4_PKT5_S7_PT6_21rocsparse_index_base_b.has_recursion, 0
	.set _ZN9rocsparseL18bsrxmvn_4x4_kernelILj128ELj8E21rocsparse_complex_numIdEllS2_S2_S2_EEvT3_20rocsparse_direction_NS_24const_host_device_scalarIT1_EES3_PKS3_PKT2_SC_S9_PKT4_PKT5_S7_PT6_21rocsparse_index_base_b.has_indirect_call, 0
	.section	.AMDGPU.csdata,"",@progbits
; Kernel info:
; codeLenInByte = 8688
; TotalNumSgprs: 14
; NumVgprs: 178
; ScratchSize: 0
; MemoryBound: 1
; FloatMode: 240
; IeeeMode: 1
; LDSByteSize: 0 bytes/workgroup (compile time only)
; SGPRBlocks: 0
; VGPRBlocks: 11
; NumSGPRsForWavesPerEU: 14
; NumVGPRsForWavesPerEU: 178
; NamedBarCnt: 0
; Occupancy: 5
; WaveLimiterHint : 1
; COMPUTE_PGM_RSRC2:SCRATCH_EN: 0
; COMPUTE_PGM_RSRC2:USER_SGPR: 2
; COMPUTE_PGM_RSRC2:TRAP_HANDLER: 0
; COMPUTE_PGM_RSRC2:TGID_X_EN: 1
; COMPUTE_PGM_RSRC2:TGID_Y_EN: 0
; COMPUTE_PGM_RSRC2:TGID_Z_EN: 0
; COMPUTE_PGM_RSRC2:TIDIG_COMP_CNT: 0
	.section	.text._ZN9rocsparseL18bsrxmvn_4x4_kernelILj128ELj16E21rocsparse_complex_numIdEllS2_S2_S2_EEvT3_20rocsparse_direction_NS_24const_host_device_scalarIT1_EES3_PKS3_PKT2_SC_S9_PKT4_PKT5_S7_PT6_21rocsparse_index_base_b,"axG",@progbits,_ZN9rocsparseL18bsrxmvn_4x4_kernelILj128ELj16E21rocsparse_complex_numIdEllS2_S2_S2_EEvT3_20rocsparse_direction_NS_24const_host_device_scalarIT1_EES3_PKS3_PKT2_SC_S9_PKT4_PKT5_S7_PT6_21rocsparse_index_base_b,comdat
	.globl	_ZN9rocsparseL18bsrxmvn_4x4_kernelILj128ELj16E21rocsparse_complex_numIdEllS2_S2_S2_EEvT3_20rocsparse_direction_NS_24const_host_device_scalarIT1_EES3_PKS3_PKT2_SC_S9_PKT4_PKT5_S7_PT6_21rocsparse_index_base_b ; -- Begin function _ZN9rocsparseL18bsrxmvn_4x4_kernelILj128ELj16E21rocsparse_complex_numIdEllS2_S2_S2_EEvT3_20rocsparse_direction_NS_24const_host_device_scalarIT1_EES3_PKS3_PKT2_SC_S9_PKT4_PKT5_S7_PT6_21rocsparse_index_base_b
	.p2align	8
	.type	_ZN9rocsparseL18bsrxmvn_4x4_kernelILj128ELj16E21rocsparse_complex_numIdEllS2_S2_S2_EEvT3_20rocsparse_direction_NS_24const_host_device_scalarIT1_EES3_PKS3_PKT2_SC_S9_PKT4_PKT5_S7_PT6_21rocsparse_index_base_b,@function
_ZN9rocsparseL18bsrxmvn_4x4_kernelILj128ELj16E21rocsparse_complex_numIdEllS2_S2_S2_EEvT3_20rocsparse_direction_NS_24const_host_device_scalarIT1_EES3_PKS3_PKT2_SC_S9_PKT4_PKT5_S7_PT6_21rocsparse_index_base_b: ; @_ZN9rocsparseL18bsrxmvn_4x4_kernelILj128ELj16E21rocsparse_complex_numIdEllS2_S2_S2_EEvT3_20rocsparse_direction_NS_24const_host_device_scalarIT1_EES3_PKS3_PKT2_SC_S9_PKT4_PKT5_S7_PT6_21rocsparse_index_base_b
; %bb.0:
	s_clause 0x1
	s_load_b64 s[4:5], s[0:1], 0x70
	s_load_b64 s[2:3], s[0:1], 0x10
	v_mov_b32_e32 v1, 0
	s_add_nc_u64 s[6:7], s[0:1], 16
	s_load_b64 s[8:9], s[0:1], 0x58
	s_wait_kmcnt 0x0
	s_bitcmp1_b32 s5, 0
	s_cselect_b32 s3, s7, s3
	s_cselect_b32 s2, s6, s2
	flat_load_b128 v[6:9], v1, s[2:3]
	s_wait_xcnt 0x0
	s_add_nc_u64 s[2:3], s[0:1], 0x58
	s_delay_alu instid0(SALU_CYCLE_1)
	s_cselect_b32 s3, s3, s9
	s_cselect_b32 s2, s2, s8
	flat_load_b128 v[2:5], v1, s[2:3]
	s_wait_loadcnt_dscnt 0x101
	v_cmp_eq_f64_e32 vcc_lo, 0, v[6:7]
	s_wait_xcnt 0x0
	v_cmp_eq_f64_e64 s2, 0, v[8:9]
	s_and_b32 s5, vcc_lo, s2
	s_mov_b32 s2, -1
	s_and_saveexec_b32 s3, s5
	s_cbranch_execz .LBB57_2
; %bb.1:
	s_wait_loadcnt_dscnt 0x0
	v_cmp_neq_f64_e32 vcc_lo, 1.0, v[2:3]
	v_cmp_neq_f64_e64 s2, 0, v[4:5]
	s_or_b32 s2, vcc_lo, s2
	s_delay_alu instid0(SALU_CYCLE_1)
	s_or_not1_b32 s2, s2, exec_lo
.LBB57_2:
	s_or_b32 exec_lo, exec_lo, s3
	s_and_saveexec_b32 s3, s2
	s_cbranch_execz .LBB57_8
; %bb.3:
	s_load_b64 s[2:3], s[0:1], 0x28
	s_bfe_u32 s5, ttmp6, 0x4000c
	s_and_b32 s6, ttmp6, 15
	s_add_co_i32 s5, s5, 1
	s_getreg_b32 s7, hwreg(HW_REG_IB_STS2, 6, 4)
	s_mul_i32 s5, ttmp9, s5
	v_dual_lshrrev_b32 v1, 4, v0 :: v_dual_mov_b32 v11, 0
	s_add_co_i32 s6, s6, s5
	s_cmp_eq_u32 s7, 0
	s_cselect_b32 s5, ttmp9, s6
	s_mov_b32 s6, 0
	v_lshl_or_b32 v10, s5, 3, v1
	s_wait_kmcnt 0x0
	s_cmp_lg_u64 s[2:3], 0
	s_cbranch_scc0 .LBB57_9
; %bb.4:
	s_load_b64 s[6:7], s[0:1], 0x20
                                        ; implicit-def: $vgpr26_vgpr27
                                        ; implicit-def: $vgpr12_vgpr13
	s_wait_kmcnt 0x0
	v_cmp_gt_i64_e32 vcc_lo, s[6:7], v[10:11]
	s_mov_b32 s7, 0
	s_mov_b32 s6, 0
	s_and_saveexec_b32 s5, vcc_lo
	s_delay_alu instid0(SALU_CYCLE_1)
	s_xor_b32 s8, exec_lo, s5
	s_cbranch_execz .LBB57_6
; %bb.5:
	v_lshl_add_u64 v[12:13], v[10:11], 3, s[2:3]
	s_mov_b32 s5, 0
	s_mov_b32 s6, exec_lo
	global_load_b64 v[12:13], v[12:13], off
	s_wait_loadcnt 0x0
	v_sub_nc_u64_e64 v[26:27], v[12:13], s[4:5]
	v_mov_b64_e32 v[12:13], s[4:5]
.LBB57_6:
	s_or_b32 exec_lo, exec_lo, s8
	s_delay_alu instid0(SALU_CYCLE_1)
	s_and_b32 vcc_lo, exec_lo, s7
	s_cbranch_vccnz .LBB57_10
.LBB57_7:
	s_and_b32 exec_lo, exec_lo, s6
	s_cbranch_execnz .LBB57_13
.LBB57_8:
	s_sendmsg sendmsg(MSG_DEALLOC_VGPRS)
	s_endpgm
.LBB57_9:
                                        ; implicit-def: $vgpr26_vgpr27
                                        ; implicit-def: $vgpr12_vgpr13
	s_cbranch_execz .LBB57_7
.LBB57_10:
	s_load_b64 s[2:3], s[0:1], 0x0
	s_wait_kmcnt 0x0
	v_cmp_gt_i64_e32 vcc_lo, s[2:3], v[10:11]
	s_and_saveexec_b32 s2, vcc_lo
; %bb.11:
	s_mov_b32 s5, 0
	s_or_b32 s6, s6, exec_lo
; %bb.12:
	s_or_b32 exec_lo, exec_lo, s2
	v_mov_b64_e32 v[12:13], s[4:5]
	v_mov_b64_e32 v[26:27], v[10:11]
	s_and_b32 exec_lo, exec_lo, s6
	s_cbranch_execz .LBB57_8
.LBB57_13:
	s_load_b256 s[4:11], s[0:1], 0x30
	s_delay_alu instid0(VALU_DEP_1) | instskip(SKIP_3) | instid1(VALU_DEP_2)
	v_lshlrev_b64_e32 v[10:11], 3, v[26:27]
	v_dual_mov_b32 v1, 0 :: v_dual_bitop2_b32 v0, 15, v0 bitop3:0x40
	s_load_b32 s3, s[0:1], 0x8
	s_wait_kmcnt 0x0
	v_add_nc_u64_e32 v[14:15], s[4:5], v[10:11]
	v_add_nc_u64_e32 v[10:11], s[6:7], v[10:11]
	s_cmp_eq_u64 s[6:7], 0
	s_load_b64 s[4:5], s[0:1], 0x50
	s_cselect_b32 vcc_lo, -1, 0
	s_cmp_eq_u32 s3, 1
	global_load_b64 v[36:37], v[14:15], off
	s_wait_xcnt 0x0
	v_add_nc_u64_e32 v[14:15], 8, v[14:15]
	s_delay_alu instid0(VALU_DEP_1) | instskip(SKIP_3) | instid1(VALU_DEP_1)
	v_dual_cndmask_b32 v11, v11, v15 :: v_dual_cndmask_b32 v10, v10, v14
	global_load_b64 v[10:11], v[10:11], off
	s_wait_loadcnt 0x1
	v_sub_nc_u64_e32 v[14:15], v[36:37], v[12:13]
	v_add_nc_u64_e32 v[20:21], v[14:15], v[0:1]
	s_wait_loadcnt 0x0
	v_sub_nc_u64_e32 v[22:23], v[10:11], v[12:13]
	s_delay_alu instid0(VALU_DEP_2) | instskip(NEXT) | instid1(VALU_DEP_2)
	v_lshlrev_b64_e32 v[14:15], 8, v[20:21]
	v_cmp_lt_i64_e64 s2, v[20:21], v[22:23]
	s_delay_alu instid0(VALU_DEP_2)
	v_add_nc_u64_e32 v[24:25], s[10:11], v[14:15]
	s_cbranch_scc1 .LBB57_25
; %bb.14:
	v_mov_b64_e32 v[10:11], 0
	v_mov_b64_e32 v[34:35], 0
	;; [unrolled: 1-line block ×8, first 2 shown]
	s_and_saveexec_b32 s3, s2
	s_cbranch_execz .LBB57_24
; %bb.15:
	v_dual_mov_b32 v11, v1 :: v_dual_bitop2_b32 v10, 16, v0 bitop3:0x54
	v_sub_nc_u64_e32 v[14:15], v[12:13], v[0:1]
	v_not_b32_e32 v17, v37
	v_not_b32_e32 v16, v36
	v_mov_b64_e32 v[32:33], 0
	v_sub_nc_u64_e32 v[10:11], v[10:11], v[12:13]
	v_mov_b64_e32 v[18:19], 0
	v_mov_b64_e32 v[30:31], 0
	v_add_nc_u64_e32 v[14:15], v[14:15], v[16:17]
	v_mov_b64_e32 v[16:17], 0
	v_mov_b64_e32 v[28:29], 0
	;; [unrolled: 1-line block ×3, first 2 shown]
	v_add_nc_u64_e32 v[10:11], v[10:11], v[36:37]
	v_mov_b64_e32 v[38:39], v[24:25]
	v_mov_b64_e32 v[40:41], v[20:21]
	s_mov_b32 s6, exec_lo
	s_delay_alu instid0(VALU_DEP_3) | instskip(NEXT) | instid1(VALU_DEP_1)
	v_max_i64 v[10:11], v[10:11], v[22:23]
	v_add_nc_u64_e32 v[42:43], v[14:15], v[10:11]
	v_mov_b64_e32 v[14:15], 0
	v_mov_b64_e32 v[10:11], 0
	s_delay_alu instid0(VALU_DEP_3) | instskip(NEXT) | instid1(VALU_DEP_1)
	v_dual_mov_b32 v47, 0 :: v_dual_bitop2_b32 v46, 48, v42 bitop3:0x40
	v_cmpx_ne_u64_e32 48, v[46:47]
	s_cbranch_execz .LBB57_19
; %bb.16:
	v_lshrrev_b32_e32 v10, 4, v42
	v_mov_b64_e32 v[34:35], 0
	v_mov_b64_e32 v[28:29], 0
	;; [unrolled: 1-line block ×4, first 2 shown]
	v_add_nc_u32_e32 v14, 1, v10
	v_mov_b64_e32 v[10:11], 0
	v_mov_b64_e32 v[32:33], 0
	;; [unrolled: 1-line block ×4, first 2 shown]
	v_and_b32_e32 v46, 3, v14
	v_mov_b64_e32 v[14:15], 0
	v_mov_b64_e32 v[38:39], v[24:25]
	v_lshl_add_u64 v[44:45], v[20:21], 3, s[8:9]
	s_mov_b32 s7, 0
	v_sub_nc_u64_e32 v[46:47], 0, v[46:47]
.LBB57_17:                              ; =>This Inner Loop Header: Depth=1
	global_load_b64 v[76:77], v[44:45], off
	s_clause 0x6
	global_load_b128 v[48:51], v[38:39], off offset:16
	global_load_b128 v[52:55], v[38:39], off
	global_load_b128 v[56:59], v[38:39], off offset:80
	global_load_b128 v[60:63], v[38:39], off offset:64
	;; [unrolled: 1-line block ×5, first 2 shown]
	v_add_nc_u64_e32 v[46:47], 1, v[46:47]
	v_add_nc_u64_e32 v[40:41], 16, v[40:41]
	s_wait_xcnt 0x7
	v_add_nc_u64_e32 v[44:45], 0x80, v[44:45]
	s_delay_alu instid0(VALU_DEP_3) | instskip(SKIP_3) | instid1(VALU_DEP_1)
	v_cmp_eq_u64_e32 vcc_lo, 0, v[46:47]
	s_or_b32 s7, vcc_lo, s7
	s_wait_loadcnt 0x7
	v_sub_nc_u64_e32 v[76:77], v[76:77], v[12:13]
	v_lshlrev_b64_e32 v[76:77], 6, v[76:77]
	s_wait_kmcnt 0x0
	s_delay_alu instid0(VALU_DEP_1)
	v_add_nc_u64_e32 v[128:129], s[4:5], v[76:77]
	global_load_b128 v[76:79], v[128:129], off
	global_load_b128 v[80:83], v[38:39], off offset:208
	global_load_b128 v[84:87], v[128:129], off offset:16
	s_clause 0x6
	global_load_b128 v[88:91], v[38:39], off offset:48
	global_load_b128 v[92:95], v[38:39], off offset:32
	global_load_b128 v[96:99], v[38:39], off offset:112
	global_load_b128 v[100:103], v[38:39], off offset:96
	global_load_b128 v[104:107], v[38:39], off offset:176
	global_load_b128 v[108:111], v[38:39], off offset:160
	global_load_b128 v[112:115], v[38:39], off offset:224
	global_load_b128 v[116:119], v[128:129], off offset:32
	global_load_b128 v[120:123], v[38:39], off offset:240
	global_load_b128 v[124:127], v[128:129], off offset:48
	s_wait_xcnt 0x1
	v_add_nc_u64_e32 v[38:39], 0x1000, v[38:39]
	s_wait_loadcnt 0xc
	v_fmac_f64_e32 v[34:35], v[52:53], v[76:77]
	v_fmac_f64_e32 v[10:11], v[54:55], v[76:77]
	v_fmac_f64_e32 v[32:33], v[60:61], v[76:77]
	v_fmac_f64_e32 v[16:17], v[62:63], v[76:77]
	v_fmac_f64_e32 v[30:31], v[68:69], v[76:77]
	v_fmac_f64_e32 v[18:19], v[70:71], v[76:77]
	v_fmac_f64_e32 v[28:29], v[72:73], v[76:77]
	v_fmac_f64_e32 v[14:15], v[74:75], v[76:77]
	v_fma_f64 v[34:35], -v[54:55], v[78:79], v[34:35]
	v_fmac_f64_e32 v[10:11], v[52:53], v[78:79]
	v_fma_f64 v[32:33], -v[62:63], v[78:79], v[32:33]
	v_fmac_f64_e32 v[16:17], v[60:61], v[78:79]
	v_fma_f64 v[30:31], -v[70:71], v[78:79], v[30:31]
	v_fmac_f64_e32 v[18:19], v[68:69], v[78:79]
	v_fma_f64 v[28:29], -v[74:75], v[78:79], v[28:29]
	v_fmac_f64_e32 v[14:15], v[72:73], v[78:79]
	s_wait_loadcnt 0xa
	v_fmac_f64_e32 v[34:35], v[48:49], v[84:85]
	v_fmac_f64_e32 v[10:11], v[50:51], v[84:85]
	v_fmac_f64_e32 v[32:33], v[56:57], v[84:85]
	v_fmac_f64_e32 v[16:17], v[58:59], v[84:85]
	v_fmac_f64_e32 v[30:31], v[64:65], v[84:85]
	v_fmac_f64_e32 v[18:19], v[66:67], v[84:85]
	v_fmac_f64_e32 v[28:29], v[80:81], v[84:85]
	v_fmac_f64_e32 v[14:15], v[82:83], v[84:85]
	v_fma_f64 v[34:35], -v[50:51], v[86:87], v[34:35]
	v_fmac_f64_e32 v[10:11], v[48:49], v[86:87]
	v_fma_f64 v[32:33], -v[58:59], v[86:87], v[32:33]
	v_fmac_f64_e32 v[16:17], v[56:57], v[86:87]
	v_fma_f64 v[30:31], -v[66:67], v[86:87], v[30:31]
	v_fmac_f64_e32 v[18:19], v[64:65], v[86:87]
	v_fma_f64 v[28:29], -v[82:83], v[86:87], v[28:29]
	v_fmac_f64_e32 v[14:15], v[80:81], v[86:87]
	;; [unrolled: 17-line block ×4, first 2 shown]
	s_and_not1_b32 exec_lo, exec_lo, s7
	s_cbranch_execnz .LBB57_17
; %bb.18:
	s_or_b32 exec_lo, exec_lo, s7
.LBB57_19:
	s_delay_alu instid0(SALU_CYCLE_1) | instskip(NEXT) | instid1(SALU_CYCLE_1)
	s_or_b32 exec_lo, exec_lo, s6
	s_mov_b32 s6, exec_lo
	v_cmpx_lt_u64_e32 47, v[42:43]
	s_cbranch_execz .LBB57_23
; %bb.20:
	v_lshl_add_u64 v[42:43], v[40:41], 3, s[8:9]
	s_mov_b32 s7, 0
	s_delay_alu instid0(VALU_DEP_1)
	v_add_nc_u64_e32 v[42:43], 0x100, v[42:43]
.LBB57_21:                              ; =>This Inner Loop Header: Depth=1
	global_load_b64 v[156:157], v[42:43], off offset:-256
	s_clause 0x13
	global_load_b128 v[44:47], v[38:39], off offset:48
	global_load_b128 v[48:51], v[38:39], off offset:32
	;; [unrolled: 1-line block ×3, first 2 shown]
	global_load_b128 v[56:59], v[38:39], off
	global_load_b128 v[60:63], v[38:39], off offset:112
	global_load_b128 v[64:67], v[38:39], off offset:96
	;; [unrolled: 1-line block ×16, first 2 shown]
	s_clause 0x2
	global_load_b64 v[164:165], v[42:43], off offset:-128
	global_load_b64 v[166:167], v[42:43], off
	global_load_b64 v[168:169], v[42:43], off offset:128
	s_clause 0x7
	global_load_b128 v[124:127], v[38:39], off offset:4208
	global_load_b128 v[128:131], v[38:39], off offset:4192
	;; [unrolled: 1-line block ×8, first 2 shown]
	v_add_nc_u64_e32 v[40:41], 64, v[40:41]
	s_wait_xcnt 0x8
	v_add_nc_u64_e32 v[42:43], 0x200, v[42:43]
	s_delay_alu instid0(VALU_DEP_2) | instskip(SKIP_3) | instid1(VALU_DEP_1)
	v_cmp_ge_i64_e32 vcc_lo, v[40:41], v[22:23]
	s_or_b32 s7, vcc_lo, s7
	s_wait_loadcnt 0x1f
	v_sub_nc_u64_e32 v[156:157], v[156:157], v[12:13]
	v_lshlrev_b64_e32 v[156:157], 6, v[156:157]
	s_wait_kmcnt 0x0
	s_delay_alu instid0(VALU_DEP_1)
	v_add_nc_u64_e32 v[170:171], s[4:5], v[156:157]
	s_clause 0x1
	global_load_b128 v[156:159], v[170:171], off
	global_load_b128 v[160:163], v[170:171], off offset:16
	s_wait_loadcnt 0xc
	v_sub_nc_u64_e32 v[164:165], v[164:165], v[12:13]
	s_delay_alu instid0(VALU_DEP_1) | instskip(NEXT) | instid1(VALU_DEP_1)
	v_lshlrev_b64_e32 v[164:165], 6, v[164:165]
	v_add_nc_u64_e32 v[164:165], s[4:5], v[164:165]
	s_wait_loadcnt 0x1
	v_fmac_f64_e32 v[34:35], v[56:57], v[156:157]
	v_fmac_f64_e32 v[10:11], v[58:59], v[156:157]
	v_fmac_f64_e32 v[32:33], v[72:73], v[156:157]
	v_fmac_f64_e32 v[16:17], v[74:75], v[156:157]
	v_fmac_f64_e32 v[30:31], v[88:89], v[156:157]
	v_fmac_f64_e32 v[18:19], v[90:91], v[156:157]
	v_fmac_f64_e32 v[28:29], v[104:105], v[156:157]
	v_fmac_f64_e32 v[14:15], v[106:107], v[156:157]
	v_fma_f64 v[172:173], -v[58:59], v[158:159], v[34:35]
	v_fmac_f64_e32 v[10:11], v[56:57], v[158:159]
	v_fma_f64 v[174:175], -v[74:75], v[158:159], v[32:33]
	v_fmac_f64_e32 v[16:17], v[72:73], v[158:159]
	v_fma_f64 v[176:177], -v[90:91], v[158:159], v[30:31]
	v_fmac_f64_e32 v[18:19], v[88:89], v[158:159]
	v_fma_f64 v[106:107], -v[106:107], v[158:159], v[28:29]
	v_fmac_f64_e32 v[14:15], v[104:105], v[158:159]
	s_clause 0x4
	global_load_b128 v[56:59], v[38:39], off offset:4336
	global_load_b128 v[32:35], v[38:39], off offset:4320
	global_load_b128 v[72:75], v[38:39], off offset:4304
	global_load_b128 v[28:31], v[38:39], off offset:4288
	global_load_b128 v[88:91], v[38:39], off offset:8240
	s_wait_loadcnt 0x5
	v_fmac_f64_e32 v[172:173], v[52:53], v[160:161]
	v_fmac_f64_e32 v[10:11], v[54:55], v[160:161]
	;; [unrolled: 1-line block ×8, first 2 shown]
	v_fma_f64 v[172:173], -v[54:55], v[162:163], v[172:173]
	v_fmac_f64_e32 v[10:11], v[52:53], v[162:163]
	global_load_b128 v[52:55], v[38:39], off offset:8224
	v_fma_f64 v[174:175], -v[70:71], v[162:163], v[174:175]
	v_fmac_f64_e32 v[16:17], v[68:69], v[162:163]
	global_load_b128 v[68:71], v[38:39], off offset:8208
	;; [unrolled: 3-line block ×4, first 2 shown]
	s_clause 0x1
	global_load_b128 v[104:107], v[170:171], off offset:32
	global_load_b128 v[156:159], v[170:171], off offset:48
	s_wait_loadcnt 0x1
	v_fmac_f64_e32 v[172:173], v[48:49], v[104:105]
	v_fmac_f64_e32 v[10:11], v[50:51], v[104:105]
	;; [unrolled: 1-line block ×8, first 2 shown]
	v_fma_f64 v[162:163], -v[50:51], v[106:107], v[172:173]
	v_fmac_f64_e32 v[10:11], v[48:49], v[106:107]
	s_wait_xcnt 0x0
	v_fma_f64 v[170:171], -v[66:67], v[106:107], v[174:175]
	v_fmac_f64_e32 v[16:17], v[64:65], v[106:107]
	v_fma_f64 v[172:173], -v[82:83], v[106:107], v[176:177]
	v_fmac_f64_e32 v[18:19], v[80:81], v[106:107]
	;; [unrolled: 2-line block ×3, first 2 shown]
	s_clause 0x4
	global_load_b128 v[48:51], v[38:39], off offset:8288
	global_load_b128 v[64:67], v[38:39], off offset:8272
	;; [unrolled: 1-line block ×5, first 2 shown]
	s_wait_loadcnt 0x5
	v_fmac_f64_e32 v[162:163], v[44:45], v[156:157]
	v_fmac_f64_e32 v[10:11], v[46:47], v[156:157]
	;; [unrolled: 1-line block ×8, first 2 shown]
	v_fma_f64 v[162:163], -v[46:47], v[158:159], v[162:163]
	v_fmac_f64_e32 v[10:11], v[44:45], v[158:159]
	global_load_b128 v[44:47], v[38:39], off offset:8336
	v_fma_f64 v[170:171], -v[62:63], v[158:159], v[170:171]
	v_fmac_f64_e32 v[16:17], v[60:61], v[158:159]
	global_load_b128 v[60:63], v[38:39], off offset:8320
	;; [unrolled: 3-line block ×3, first 2 shown]
	v_fma_f64 v[160:161], -v[94:95], v[158:159], v[160:161]
	v_fmac_f64_e32 v[14:15], v[92:93], v[158:159]
	s_clause 0x1
	global_load_b128 v[92:95], v[164:165], off
	global_load_b128 v[156:159], v[164:165], off offset:16
	s_wait_loadcnt 0x1
	v_fmac_f64_e32 v[170:171], v[136:137], v[92:93]
	v_fmac_f64_e32 v[16:17], v[138:139], v[92:93]
	;; [unrolled: 1-line block ×8, first 2 shown]
	v_fma_f64 v[170:171], -v[138:139], v[94:95], v[170:171]
	v_fmac_f64_e32 v[16:17], v[136:137], v[94:95]
	v_fma_f64 v[162:163], -v[122:123], v[94:95], v[162:163]
	v_fmac_f64_e32 v[10:11], v[120:121], v[94:95]
	s_clause 0x1
	global_load_b128 v[120:123], v[38:39], off offset:8416
	global_load_b128 v[136:139], v[38:39], off offset:8400
	v_fma_f64 v[172:173], -v[154:155], v[94:95], v[172:173]
	v_fmac_f64_e32 v[18:19], v[152:153], v[94:95]
	global_load_b128 v[152:155], v[38:39], off offset:8384
	v_fma_f64 v[160:161], -v[30:31], v[94:95], v[160:161]
	v_fmac_f64_e32 v[14:15], v[28:29], v[94:95]
	s_clause 0x1
	global_load_b128 v[28:31], v[38:39], off offset:12304
	global_load_b128 v[92:95], v[38:39], off offset:12288
	s_wait_loadcnt 0x5
	v_fmac_f64_e32 v[170:171], v[132:133], v[156:157]
	v_fmac_f64_e32 v[16:17], v[134:135], v[156:157]
	v_fmac_f64_e32 v[162:163], v[116:117], v[156:157]
	v_fmac_f64_e32 v[10:11], v[118:119], v[156:157]
	v_fmac_f64_e32 v[172:173], v[148:149], v[156:157]
	v_fmac_f64_e32 v[18:19], v[150:151], v[156:157]
	v_fmac_f64_e32 v[160:161], v[72:73], v[156:157]
	v_fmac_f64_e32 v[14:15], v[74:75], v[156:157]
	v_sub_nc_u64_e32 v[156:157], v[166:167], v[12:13]
	s_delay_alu instid0(VALU_DEP_1)
	v_lshlrev_b64_e32 v[156:157], 6, v[156:157]
	v_fma_f64 v[170:171], -v[134:135], v[158:159], v[170:171]
	v_fmac_f64_e32 v[16:17], v[132:133], v[158:159]
	global_load_b128 v[132:135], v[164:165], off offset:32
	v_fma_f64 v[162:163], -v[118:119], v[158:159], v[162:163]
	v_fmac_f64_e32 v[10:11], v[116:117], v[158:159]
	global_load_b128 v[116:119], v[38:39], off offset:12368
	;; [unrolled: 3-line block ×3, first 2 shown]
	s_wait_xcnt 0x0
	v_add_nc_u64_e32 v[164:165], s[4:5], v[156:157]
	v_fma_f64 v[160:161], -v[74:75], v[158:159], v[160:161]
	v_fmac_f64_e32 v[14:15], v[72:73], v[158:159]
	global_load_b128 v[72:75], v[38:39], off offset:12352
	global_load_b128 v[156:159], v[164:165], off
	s_wait_loadcnt 0x4
	v_fmac_f64_e32 v[162:163], v[112:113], v[132:133]
	v_fmac_f64_e32 v[10:11], v[114:115], v[132:133]
	;; [unrolled: 1-line block ×8, first 2 shown]
	v_fma_f64 v[162:163], -v[114:115], v[134:135], v[162:163]
	v_fmac_f64_e32 v[10:11], v[112:113], v[134:135]
	global_load_b128 v[112:115], v[164:165], off offset:16
	v_fma_f64 v[166:167], -v[130:131], v[134:135], v[170:171]
	v_fma_f64 v[170:171], -v[146:147], v[134:135], v[172:173]
	v_fmac_f64_e32 v[18:19], v[144:145], v[134:135]
	global_load_b128 v[144:147], v[164:165], off offset:32
	v_fmac_f64_e32 v[16:17], v[128:129], v[134:135]
	global_load_b128 v[128:131], v[38:39], off offset:12432
	v_fma_f64 v[172:173], -v[34:35], v[134:135], v[160:161]
	v_fmac_f64_e32 v[14:15], v[32:33], v[134:135]
	s_clause 0x1
	global_load_b128 v[32:35], v[38:39], off offset:12416
	global_load_b128 v[132:135], v[38:39], off offset:12496
	s_wait_loadcnt 0x7
	v_fmac_f64_e32 v[162:163], v[108:109], v[148:149]
	v_fmac_f64_e32 v[10:11], v[110:111], v[148:149]
	;; [unrolled: 1-line block ×8, first 2 shown]
	v_fma_f64 v[174:175], -v[110:111], v[150:151], v[162:163]
	v_fmac_f64_e32 v[10:11], v[108:109], v[150:151]
	global_load_b128 v[108:111], v[38:39], off offset:12480
	global_load_b128 v[160:163], v[164:165], off offset:48
	s_wait_xcnt 0x0
	v_sub_nc_u64_e32 v[164:165], v[168:169], v[12:13]
	v_fma_f64 v[166:167], -v[126:127], v[150:151], v[166:167]
	v_fma_f64 v[168:169], -v[142:143], v[150:151], v[170:171]
	v_fmac_f64_e32 v[18:19], v[140:141], v[150:151]
	v_fmac_f64_e32 v[16:17], v[124:125], v[150:151]
	global_load_b128 v[140:143], v[38:39], off offset:12336
	v_fma_f64 v[170:171], -v[58:59], v[150:151], v[172:173]
	v_lshlrev_b64_e32 v[164:165], 6, v[164:165]
	v_fmac_f64_e32 v[14:15], v[56:57], v[150:151]
	s_delay_alu instid0(VALU_DEP_2)
	v_add_nc_u64_e32 v[164:165], s[4:5], v[164:165]
	global_load_b128 v[124:127], v[164:165], off
	global_load_b128 v[56:59], v[38:39], off offset:12320
	global_load_b128 v[148:151], v[164:165], off offset:16
	s_wait_loadcnt 0xb
	v_fmac_f64_e32 v[174:175], v[84:85], v[156:157]
	v_fmac_f64_e32 v[10:11], v[86:87], v[156:157]
	;; [unrolled: 1-line block ×8, first 2 shown]
	v_fma_f64 v[172:173], -v[86:87], v[158:159], v[174:175]
	v_fmac_f64_e32 v[10:11], v[84:85], v[158:159]
	global_load_b128 v[84:87], v[38:39], off offset:12400
	v_fma_f64 v[166:167], -v[82:83], v[158:159], v[166:167]
	v_fma_f64 v[168:169], -v[62:63], v[158:159], v[168:169]
	v_fmac_f64_e32 v[18:19], v[60:61], v[158:159]
	v_fmac_f64_e32 v[16:17], v[80:81], v[158:159]
	global_load_b128 v[80:83], v[38:39], off offset:12384
	v_fma_f64 v[170:171], -v[154:155], v[158:159], v[170:171]
	global_load_b128 v[60:63], v[38:39], off offset:12464
	v_fmac_f64_e32 v[14:15], v[152:153], v[158:159]
	s_clause 0x1
	global_load_b128 v[152:155], v[38:39], off offset:12448
	global_load_b128 v[156:159], v[38:39], off offset:12512
	s_wait_loadcnt 0xf
	v_fmac_f64_e32 v[172:173], v[68:69], v[112:113]
	v_fmac_f64_e32 v[10:11], v[70:71], v[112:113]
	;; [unrolled: 1-line block ×8, first 2 shown]
	v_fma_f64 v[172:173], -v[70:71], v[114:115], v[172:173]
	v_fmac_f64_e32 v[10:11], v[68:69], v[114:115]
	global_load_b128 v[68:71], v[164:165], off offset:32
	v_fma_f64 v[112:113], -v[66:67], v[114:115], v[166:167]
	v_fmac_f64_e32 v[16:17], v[64:65], v[114:115]
	v_fma_f64 v[166:167], -v[46:47], v[114:115], v[168:169]
	v_fmac_f64_e32 v[18:19], v[44:45], v[114:115]
	v_fma_f64 v[138:139], -v[138:139], v[114:115], v[170:171]
	v_fmac_f64_e32 v[14:15], v[136:137], v[114:115]
	global_load_b128 v[44:47], v[38:39], off offset:12528
	global_load_b128 v[64:67], v[164:165], off offset:48
	s_wait_xcnt 0x1
	v_add_nc_u64_e32 v[38:39], 0x4000, v[38:39]
	s_wait_loadcnt 0x11
	v_fmac_f64_e32 v[172:173], v[52:53], v[144:145]
	v_fmac_f64_e32 v[10:11], v[54:55], v[144:145]
	v_fmac_f64_e32 v[112:113], v[48:49], v[144:145]
	v_fmac_f64_e32 v[16:17], v[50:51], v[144:145]
	v_fmac_f64_e32 v[166:167], v[104:105], v[144:145]
	v_fmac_f64_e32 v[18:19], v[106:107], v[144:145]
	v_fmac_f64_e32 v[138:139], v[120:121], v[144:145]
	v_fmac_f64_e32 v[14:15], v[122:123], v[144:145]
	v_fma_f64 v[54:55], -v[54:55], v[146:147], v[172:173]
	v_fmac_f64_e32 v[10:11], v[52:53], v[146:147]
	v_fma_f64 v[50:51], -v[50:51], v[146:147], v[112:113]
	v_fmac_f64_e32 v[16:17], v[48:49], v[146:147]
	v_fma_f64 v[48:49], -v[106:107], v[146:147], v[166:167]
	v_fmac_f64_e32 v[18:19], v[104:105], v[146:147]
	v_fma_f64 v[52:53], -v[122:123], v[146:147], v[138:139]
	v_fmac_f64_e32 v[14:15], v[120:121], v[146:147]
	s_wait_loadcnt 0xc
	v_fmac_f64_e32 v[54:55], v[88:89], v[160:161]
	v_fmac_f64_e32 v[10:11], v[90:91], v[160:161]
	v_fmac_f64_e32 v[50:51], v[100:101], v[160:161]
	v_fmac_f64_e32 v[16:17], v[102:103], v[160:161]
	v_fmac_f64_e32 v[48:49], v[96:97], v[160:161]
	v_fmac_f64_e32 v[18:19], v[98:99], v[160:161]
	v_fmac_f64_e32 v[52:53], v[76:77], v[160:161]
	v_fmac_f64_e32 v[14:15], v[78:79], v[160:161]
	v_fma_f64 v[54:55], -v[90:91], v[162:163], v[54:55]
	v_fmac_f64_e32 v[10:11], v[88:89], v[162:163]
	v_fma_f64 v[50:51], -v[102:103], v[162:163], v[50:51]
	v_fmac_f64_e32 v[16:17], v[100:101], v[162:163]
	v_fma_f64 v[48:49], -v[98:99], v[162:163], v[48:49]
	v_fmac_f64_e32 v[18:19], v[96:97], v[162:163]
	v_fma_f64 v[52:53], -v[78:79], v[162:163], v[52:53]
	v_fmac_f64_e32 v[14:15], v[76:77], v[162:163]
	;; [unrolled: 17-line block ×6, first 2 shown]
	s_and_not1_b32 exec_lo, exec_lo, s7
	s_cbranch_execnz .LBB57_21
; %bb.22:
	s_or_b32 exec_lo, exec_lo, s7
.LBB57_23:
	s_delay_alu instid0(SALU_CYCLE_1)
	s_or_b32 exec_lo, exec_lo, s6
.LBB57_24:
	s_delay_alu instid0(SALU_CYCLE_1)
	s_or_b32 exec_lo, exec_lo, s3
	s_cbranch_execz .LBB57_26
	s_branch .LBB57_37
.LBB57_25:
                                        ; implicit-def: $vgpr10_vgpr11
                                        ; implicit-def: $vgpr34_vgpr35
                                        ; implicit-def: $vgpr28_vgpr29
                                        ; implicit-def: $vgpr14_vgpr15
                                        ; implicit-def: $vgpr30_vgpr31
                                        ; implicit-def: $vgpr18_vgpr19
                                        ; implicit-def: $vgpr32_vgpr33
                                        ; implicit-def: $vgpr16_vgpr17
.LBB57_26:
	v_mov_b64_e32 v[10:11], 0
	v_mov_b64_e32 v[34:35], 0
	;; [unrolled: 1-line block ×8, first 2 shown]
	s_and_saveexec_b32 s3, s2
	s_cbranch_execz .LBB57_36
; %bb.27:
	v_dual_mov_b32 v11, v1 :: v_dual_bitop2_b32 v10, 16, v0 bitop3:0x54
	v_sub_nc_u64_e32 v[14:15], v[12:13], v[0:1]
	v_not_b32_e32 v17, v37
	v_not_b32_e32 v16, v36
	v_mov_b64_e32 v[32:33], 0
	v_sub_nc_u64_e32 v[10:11], v[10:11], v[12:13]
	v_mov_b64_e32 v[18:19], 0
	v_mov_b64_e32 v[30:31], 0
	v_add_nc_u64_e32 v[14:15], v[14:15], v[16:17]
	v_mov_b64_e32 v[16:17], 0
	v_mov_b64_e32 v[28:29], 0
	;; [unrolled: 1-line block ×3, first 2 shown]
	v_add_nc_u64_e32 v[10:11], v[10:11], v[36:37]
	s_mov_b32 s2, exec_lo
	s_delay_alu instid0(VALU_DEP_1) | instskip(NEXT) | instid1(VALU_DEP_1)
	v_max_i64 v[10:11], v[10:11], v[22:23]
	v_add_nc_u64_e32 v[36:37], v[14:15], v[10:11]
	v_mov_b64_e32 v[14:15], 0
	v_mov_b64_e32 v[10:11], 0
	s_delay_alu instid0(VALU_DEP_3) | instskip(NEXT) | instid1(VALU_DEP_1)
	v_dual_mov_b32 v39, 0 :: v_dual_bitop2_b32 v38, 48, v36 bitop3:0x40
	v_cmpx_ne_u64_e32 48, v[38:39]
	s_cbranch_execz .LBB57_31
; %bb.28:
	v_lshrrev_b32_e32 v1, 4, v36
	v_mov_b64_e32 v[10:11], 0
	v_mov_b64_e32 v[34:35], 0
	;; [unrolled: 1-line block ×4, first 2 shown]
	v_add_nc_u32_e32 v1, 1, v1
	v_mov_b64_e32 v[30:31], 0
	v_mov_b64_e32 v[18:19], 0
	v_mov_b64_e32 v[32:33], 0
	v_mov_b64_e32 v[16:17], 0
	v_and_b32_e32 v38, 3, v1
	v_lshl_add_u64 v[40:41], v[20:21], 3, s[8:9]
	s_mov_b32 s6, 0
	s_delay_alu instid0(VALU_DEP_2)
	v_sub_nc_u64_e32 v[38:39], 0, v[38:39]
.LBB57_29:                              ; =>This Inner Loop Header: Depth=1
	global_load_b64 v[58:59], v[40:41], off
	s_clause 0x3
	global_load_b128 v[42:45], v[24:25], off offset:48
	global_load_b128 v[46:49], v[24:25], off offset:32
	;; [unrolled: 1-line block ×3, first 2 shown]
	global_load_b128 v[54:57], v[24:25], off
	v_add_nc_u64_e32 v[38:39], 1, v[38:39]
	v_add_nc_u64_e32 v[20:21], 16, v[20:21]
	s_wait_xcnt 0x4
	v_add_nc_u64_e32 v[40:41], 0x80, v[40:41]
	s_delay_alu instid0(VALU_DEP_3) | instskip(SKIP_3) | instid1(VALU_DEP_1)
	v_cmp_eq_u64_e32 vcc_lo, 0, v[38:39]
	s_or_b32 s6, vcc_lo, s6
	s_wait_loadcnt 0x4
	v_sub_nc_u64_e32 v[58:59], v[58:59], v[12:13]
	v_lshlrev_b64_e32 v[58:59], 6, v[58:59]
	s_wait_kmcnt 0x0
	s_delay_alu instid0(VALU_DEP_1)
	v_add_nc_u64_e32 v[118:119], s[4:5], v[58:59]
	global_load_b128 v[58:61], v[118:119], off
	s_clause 0x3
	global_load_b128 v[62:65], v[24:25], off offset:112
	global_load_b128 v[66:69], v[24:25], off offset:96
	;; [unrolled: 1-line block ×5, first 2 shown]
	s_clause 0x3
	global_load_b128 v[82:85], v[24:25], off offset:176
	global_load_b128 v[86:89], v[24:25], off offset:160
	;; [unrolled: 1-line block ×4, first 2 shown]
	s_clause 0x1
	global_load_b128 v[98:101], v[118:119], off offset:32
	global_load_b128 v[102:105], v[118:119], off offset:48
	s_clause 0x3
	global_load_b128 v[106:109], v[24:25], off offset:192
	global_load_b128 v[110:113], v[24:25], off offset:208
	;; [unrolled: 1-line block ×3, first 2 shown]
	; meta instruction
	global_load_b128 v[118:121], v[24:25], off offset:240
	s_wait_xcnt 0x0
	v_add_nc_u64_e32 v[24:25], 0x1000, v[24:25]
	s_wait_loadcnt 0xf
	v_fmac_f64_e32 v[34:35], v[54:55], v[58:59]
	v_fmac_f64_e32 v[10:11], v[56:57], v[58:59]
	v_fmac_f64_e32 v[32:33], v[50:51], v[58:59]
	v_fmac_f64_e32 v[16:17], v[52:53], v[58:59]
	v_fmac_f64_e32 v[30:31], v[46:47], v[58:59]
	v_fmac_f64_e32 v[18:19], v[48:49], v[58:59]
	v_fmac_f64_e32 v[28:29], v[42:43], v[58:59]
	v_fmac_f64_e32 v[14:15], v[44:45], v[58:59]
	v_fma_f64 v[34:35], -v[56:57], v[60:61], v[34:35]
	v_fmac_f64_e32 v[10:11], v[54:55], v[60:61]
	v_fma_f64 v[32:33], -v[52:53], v[60:61], v[32:33]
	v_fmac_f64_e32 v[16:17], v[50:51], v[60:61]
	v_fma_f64 v[30:31], -v[48:49], v[60:61], v[30:31]
	v_fmac_f64_e32 v[18:19], v[46:47], v[60:61]
	v_fma_f64 v[28:29], -v[44:45], v[60:61], v[28:29]
	v_fmac_f64_e32 v[14:15], v[42:43], v[60:61]
	s_wait_loadcnt 0xa
	v_fmac_f64_e32 v[34:35], v[74:75], v[78:79]
	v_fmac_f64_e32 v[10:11], v[76:77], v[78:79]
	v_fmac_f64_e32 v[32:33], v[70:71], v[78:79]
	v_fmac_f64_e32 v[16:17], v[72:73], v[78:79]
	v_fmac_f64_e32 v[30:31], v[66:67], v[78:79]
	v_fmac_f64_e32 v[18:19], v[68:69], v[78:79]
	v_fmac_f64_e32 v[28:29], v[62:63], v[78:79]
	v_fmac_f64_e32 v[14:15], v[64:65], v[78:79]
	v_fma_f64 v[34:35], -v[76:77], v[80:81], v[34:35]
	v_fmac_f64_e32 v[10:11], v[74:75], v[80:81]
	v_fma_f64 v[32:33], -v[72:73], v[80:81], v[32:33]
	v_fmac_f64_e32 v[16:17], v[70:71], v[80:81]
	v_fma_f64 v[30:31], -v[68:69], v[80:81], v[30:31]
	v_fmac_f64_e32 v[18:19], v[66:67], v[80:81]
	v_fma_f64 v[28:29], -v[64:65], v[80:81], v[28:29]
	v_fmac_f64_e32 v[14:15], v[62:63], v[80:81]
	;; [unrolled: 17-line block ×3, first 2 shown]
	s_wait_loadcnt 0x3
	v_fmac_f64_e32 v[34:35], v[106:107], v[102:103]
	v_fmac_f64_e32 v[10:11], v[108:109], v[102:103]
	s_wait_loadcnt 0x2
	v_fmac_f64_e32 v[32:33], v[110:111], v[102:103]
	v_fmac_f64_e32 v[16:17], v[112:113], v[102:103]
	;; [unrolled: 3-line block ×4, first 2 shown]
	v_fma_f64 v[34:35], -v[108:109], v[104:105], v[34:35]
	v_fmac_f64_e32 v[10:11], v[106:107], v[104:105]
	v_fma_f64 v[32:33], -v[112:113], v[104:105], v[32:33]
	v_fmac_f64_e32 v[16:17], v[110:111], v[104:105]
	;; [unrolled: 2-line block ×4, first 2 shown]
	s_and_not1_b32 exec_lo, exec_lo, s6
	s_cbranch_execnz .LBB57_29
; %bb.30:
	s_or_b32 exec_lo, exec_lo, s6
.LBB57_31:
	s_delay_alu instid0(SALU_CYCLE_1) | instskip(NEXT) | instid1(SALU_CYCLE_1)
	s_or_b32 exec_lo, exec_lo, s2
	s_mov_b32 s2, exec_lo
	v_cmpx_lt_u64_e32 47, v[36:37]
	s_cbranch_execz .LBB57_35
; %bb.32:
	v_lshl_add_u64 v[36:37], v[20:21], 3, s[8:9]
	s_mov_b32 s6, 0
	s_delay_alu instid0(VALU_DEP_1)
	v_add_nc_u64_e32 v[36:37], 0x100, v[36:37]
.LBB57_33:                              ; =>This Inner Loop Header: Depth=1
	global_load_b64 v[134:135], v[36:37], off offset:-256
	s_clause 0xf
	global_load_b128 v[38:41], v[24:25], off offset:48
	global_load_b128 v[42:45], v[24:25], off offset:32
	;; [unrolled: 1-line block ×3, first 2 shown]
	global_load_b128 v[50:53], v[24:25], off
	global_load_b128 v[54:57], v[24:25], off offset:112
	global_load_b128 v[58:61], v[24:25], off offset:96
	;; [unrolled: 1-line block ×12, first 2 shown]
	s_clause 0x2
	global_load_b64 v[142:143], v[36:37], off offset:-128
	global_load_b64 v[144:145], v[36:37], off
	global_load_b64 v[146:147], v[36:37], off offset:128
	s_clause 0x7
	global_load_b128 v[102:105], v[24:25], off offset:4144
	global_load_b128 v[106:109], v[24:25], off offset:4128
	;; [unrolled: 1-line block ×8, first 2 shown]
	v_add_nc_u64_e32 v[20:21], 64, v[20:21]
	s_wait_xcnt 0x8
	v_add_nc_u64_e32 v[36:37], 0x200, v[36:37]
	s_delay_alu instid0(VALU_DEP_2) | instskip(SKIP_3) | instid1(VALU_DEP_1)
	v_cmp_ge_i64_e32 vcc_lo, v[20:21], v[22:23]
	s_or_b32 s6, vcc_lo, s6
	s_wait_loadcnt 0x1b
	v_sub_nc_u64_e32 v[134:135], v[134:135], v[12:13]
	v_lshlrev_b64_e32 v[134:135], 6, v[134:135]
	s_wait_kmcnt 0x0
	s_delay_alu instid0(VALU_DEP_1)
	v_add_nc_u64_e32 v[148:149], s[4:5], v[134:135]
	s_clause 0x1
	global_load_b128 v[134:137], v[148:149], off
	global_load_b128 v[138:141], v[148:149], off offset:16
	s_wait_loadcnt 0xc
	v_sub_nc_u64_e32 v[142:143], v[142:143], v[12:13]
	s_wait_loadcnt 0xb
	v_sub_nc_u64_e32 v[144:145], v[144:145], v[12:13]
	;; [unrolled: 2-line block ×3, first 2 shown]
	s_delay_alu instid0(VALU_DEP_3) | instskip(NEXT) | instid1(VALU_DEP_3)
	v_lshlrev_b64_e32 v[142:143], 6, v[142:143]
	v_lshlrev_b64_e32 v[144:145], 6, v[144:145]
	s_delay_alu instid0(VALU_DEP_2) | instskip(NEXT) | instid1(VALU_DEP_2)
	v_add_nc_u64_e32 v[142:143], s[4:5], v[142:143]
	v_add_nc_u64_e32 v[144:145], s[4:5], v[144:145]
	s_wait_loadcnt 0x1
	v_fmac_f64_e32 v[34:35], v[50:51], v[134:135]
	v_fmac_f64_e32 v[10:11], v[52:53], v[134:135]
	;; [unrolled: 1-line block ×8, first 2 shown]
	v_fma_f64 v[150:151], -v[52:53], v[136:137], v[34:35]
	v_fmac_f64_e32 v[10:11], v[50:51], v[136:137]
	v_fma_f64 v[152:153], -v[48:49], v[136:137], v[32:33]
	v_fmac_f64_e32 v[16:17], v[46:47], v[136:137]
	;; [unrolled: 2-line block ×4, first 2 shown]
	s_clause 0x5
	global_load_b128 v[50:53], v[24:25], off offset:4272
	global_load_b128 v[32:35], v[24:25], off offset:4256
	;; [unrolled: 1-line block ×6, first 2 shown]
	s_wait_loadcnt 0x6
	v_fmac_f64_e32 v[150:151], v[66:67], v[138:139]
	v_fmac_f64_e32 v[10:11], v[68:69], v[138:139]
	v_fmac_f64_e32 v[152:153], v[62:63], v[138:139]
	v_fmac_f64_e32 v[16:17], v[64:65], v[138:139]
	v_fmac_f64_e32 v[154:155], v[58:59], v[138:139]
	v_fmac_f64_e32 v[18:19], v[60:61], v[138:139]
	v_fmac_f64_e32 v[134:135], v[54:55], v[138:139]
	v_fmac_f64_e32 v[14:15], v[56:57], v[138:139]
	v_fma_f64 v[150:151], -v[68:69], v[140:141], v[150:151]
	v_fmac_f64_e32 v[10:11], v[66:67], v[140:141]
	v_fma_f64 v[152:153], -v[64:65], v[140:141], v[152:153]
	v_fmac_f64_e32 v[16:17], v[62:63], v[140:141]
	global_load_b128 v[62:65], v[24:25], off offset:4304
	v_fma_f64 v[154:155], -v[60:61], v[140:141], v[154:155]
	v_fmac_f64_e32 v[18:19], v[58:59], v[140:141]
	global_load_b128 v[58:61], v[24:25], off offset:4288
	;; [unrolled: 3-line block ×3, first 2 shown]
	s_clause 0x1
	global_load_b128 v[66:69], v[148:149], off offset:32
	global_load_b128 v[134:137], v[148:149], off offset:48
	s_wait_loadcnt 0x1
	v_fmac_f64_e32 v[150:151], v[82:83], v[66:67]
	v_fmac_f64_e32 v[10:11], v[84:85], v[66:67]
	;; [unrolled: 1-line block ×8, first 2 shown]
	v_fma_f64 v[140:141], -v[84:85], v[68:69], v[150:151]
	v_fmac_f64_e32 v[10:11], v[82:83], v[68:69]
	s_wait_xcnt 0x0
	v_fma_f64 v[148:149], -v[80:81], v[68:69], v[152:153]
	v_fmac_f64_e32 v[16:17], v[78:79], v[68:69]
	v_fma_f64 v[150:151], -v[76:77], v[68:69], v[154:155]
	v_fmac_f64_e32 v[18:19], v[74:75], v[68:69]
	;; [unrolled: 2-line block ×3, first 2 shown]
	s_clause 0x4
	global_load_b128 v[82:85], v[24:25], off offset:8224
	global_load_b128 v[78:81], v[24:25], off offset:8208
	global_load_b128 v[74:77], v[24:25], off offset:8192
	global_load_b128 v[66:69], v[24:25], off offset:8304
	global_load_b128 v[70:73], v[24:25], off offset:8288
	s_wait_loadcnt 0x5
	v_fmac_f64_e32 v[140:141], v[98:99], v[134:135]
	v_fmac_f64_e32 v[10:11], v[100:101], v[134:135]
	;; [unrolled: 1-line block ×8, first 2 shown]
	v_fma_f64 v[140:141], -v[100:101], v[136:137], v[140:141]
	v_fmac_f64_e32 v[10:11], v[98:99], v[136:137]
	global_load_b128 v[98:101], v[24:25], off offset:8272
	v_fma_f64 v[148:149], -v[96:97], v[136:137], v[148:149]
	v_fmac_f64_e32 v[16:17], v[94:95], v[136:137]
	global_load_b128 v[94:97], v[24:25], off offset:8256
	;; [unrolled: 3-line block ×3, first 2 shown]
	v_fma_f64 v[138:139], -v[88:89], v[136:137], v[138:139]
	v_fmac_f64_e32 v[14:15], v[86:87], v[136:137]
	s_clause 0x1
	global_load_b128 v[86:89], v[142:143], off
	global_load_b128 v[134:137], v[142:143], off offset:16
	s_wait_loadcnt 0x1
	v_fmac_f64_e32 v[140:141], v[114:115], v[86:87]
	v_fmac_f64_e32 v[10:11], v[116:117], v[86:87]
	;; [unrolled: 1-line block ×8, first 2 shown]
	v_fma_f64 v[140:141], -v[116:117], v[88:89], v[140:141]
	v_fmac_f64_e32 v[10:11], v[114:115], v[88:89]
	v_fma_f64 v[148:149], -v[112:113], v[88:89], v[148:149]
	v_fmac_f64_e32 v[16:17], v[110:111], v[88:89]
	;; [unrolled: 2-line block ×4, first 2 shown]
	s_clause 0x4
	global_load_b128 v[114:117], v[24:25], off offset:8352
	global_load_b128 v[110:113], v[24:25], off offset:8336
	;; [unrolled: 1-line block ×5, first 2 shown]
	s_wait_loadcnt 0x5
	v_fmac_f64_e32 v[140:141], v[130:131], v[134:135]
	v_fmac_f64_e32 v[10:11], v[132:133], v[134:135]
	;; [unrolled: 1-line block ×8, first 2 shown]
	v_fma_f64 v[140:141], -v[132:133], v[136:137], v[140:141]
	v_fmac_f64_e32 v[10:11], v[130:131], v[136:137]
	global_load_b128 v[130:133], v[24:25], off offset:8400
	v_fma_f64 v[148:149], -v[128:129], v[136:137], v[148:149]
	v_fmac_f64_e32 v[16:17], v[126:127], v[136:137]
	global_load_b128 v[126:129], v[24:25], off offset:8384
	;; [unrolled: 3-line block ×3, first 2 shown]
	v_fma_f64 v[138:139], -v[120:121], v[136:137], v[138:139]
	v_fmac_f64_e32 v[14:15], v[118:119], v[136:137]
	s_clause 0x1
	global_load_b128 v[118:121], v[142:143], off offset:32
	global_load_b128 v[134:137], v[142:143], off offset:48
	s_wait_loadcnt 0x1
	v_fmac_f64_e32 v[140:141], v[28:29], v[118:119]
	v_fmac_f64_e32 v[10:11], v[30:31], v[118:119]
	;; [unrolled: 1-line block ×8, first 2 shown]
	v_fma_f64 v[140:141], -v[30:31], v[120:121], v[140:141]
	v_fmac_f64_e32 v[10:11], v[28:29], v[120:121]
	s_wait_xcnt 0x0
	v_fma_f64 v[142:143], -v[44:45], v[120:121], v[148:149]
	v_fmac_f64_e32 v[16:17], v[42:43], v[120:121]
	v_fma_f64 v[148:149], -v[34:35], v[120:121], v[150:151]
	v_fmac_f64_e32 v[18:19], v[32:33], v[120:121]
	;; [unrolled: 2-line block ×3, first 2 shown]
	s_clause 0x4
	global_load_b128 v[28:31], v[24:25], off offset:12320
	global_load_b128 v[42:45], v[24:25], off offset:12304
	;; [unrolled: 1-line block ×5, first 2 shown]
	s_wait_loadcnt 0x5
	v_fmac_f64_e32 v[140:141], v[58:59], v[134:135]
	v_fmac_f64_e32 v[10:11], v[60:61], v[134:135]
	;; [unrolled: 1-line block ×8, first 2 shown]
	v_fma_f64 v[140:141], -v[60:61], v[136:137], v[140:141]
	v_fmac_f64_e32 v[10:11], v[58:59], v[136:137]
	global_load_b128 v[58:61], v[24:25], off offset:12368
	v_fma_f64 v[142:143], -v[64:65], v[136:137], v[142:143]
	v_fmac_f64_e32 v[16:17], v[62:63], v[136:137]
	global_load_b128 v[62:65], v[24:25], off offset:12352
	;; [unrolled: 3-line block ×3, first 2 shown]
	v_fma_f64 v[150:151], -v[40:41], v[136:137], v[138:139]
	v_fmac_f64_e32 v[14:15], v[38:39], v[136:137]
	s_clause 0x1
	global_load_b128 v[38:41], v[144:145], off
	global_load_b128 v[134:137], v[144:145], off offset:16
	s_wait_loadcnt 0x1
	v_fmac_f64_e32 v[140:141], v[74:75], v[38:39]
	v_fmac_f64_e32 v[10:11], v[76:77], v[38:39]
	;; [unrolled: 1-line block ×8, first 2 shown]
	v_fma_f64 v[152:153], -v[76:77], v[40:41], v[140:141]
	v_fmac_f64_e32 v[10:11], v[74:75], v[40:41]
	s_clause 0x1
	global_load_b128 v[74:77], v[144:145], off offset:32
	global_load_b128 v[138:141], v[144:145], off offset:48
	s_wait_xcnt 0x0
	v_lshlrev_b64_e32 v[144:145], 6, v[146:147]
	v_fma_f64 v[142:143], -v[80:81], v[40:41], v[142:143]
	v_fmac_f64_e32 v[16:17], v[78:79], v[40:41]
	global_load_b128 v[78:81], v[24:25], off offset:12448
	v_fma_f64 v[148:149], -v[84:85], v[40:41], v[148:149]
	v_fmac_f64_e32 v[18:19], v[82:83], v[40:41]
	global_load_b128 v[82:85], v[24:25], off offset:12432
	v_add_nc_u64_e32 v[144:145], s[4:5], v[144:145]
	v_fma_f64 v[146:147], -v[56:57], v[40:41], v[150:151]
	v_fmac_f64_e32 v[14:15], v[54:55], v[40:41]
	s_clause 0x1
	global_load_b128 v[38:41], v[144:145], off offset:16
	global_load_b128 v[54:57], v[144:145], off
	s_wait_loadcnt 0x6
	v_fmac_f64_e32 v[152:153], v[94:95], v[134:135]
	v_fmac_f64_e32 v[10:11], v[96:97], v[134:135]
	;; [unrolled: 1-line block ×8, first 2 shown]
	v_fma_f64 v[150:151], -v[96:97], v[136:137], v[152:153]
	v_fmac_f64_e32 v[10:11], v[94:95], v[136:137]
	global_load_b128 v[94:97], v[24:25], off offset:12416
	v_fma_f64 v[142:143], -v[100:101], v[136:137], v[142:143]
	v_fmac_f64_e32 v[16:17], v[98:99], v[136:137]
	global_load_b128 v[98:101], v[24:25], off offset:12496
	v_fma_f64 v[148:149], -v[72:73], v[136:137], v[148:149]
	v_fmac_f64_e32 v[18:19], v[70:71], v[136:137]
	global_load_b128 v[70:73], v[24:25], off offset:12480
	v_fma_f64 v[146:147], -v[68:69], v[136:137], v[146:147]
	v_fmac_f64_e32 v[14:15], v[66:67], v[136:137]
	s_clause 0x1
	global_load_b128 v[66:69], v[144:145], off offset:48
	global_load_b128 v[134:137], v[144:145], off offset:32
	s_wait_loadcnt 0xa
	v_fmac_f64_e32 v[150:151], v[106:107], v[74:75]
	v_fmac_f64_e32 v[10:11], v[108:109], v[74:75]
	;; [unrolled: 1-line block ×8, first 2 shown]
	s_wait_xcnt 0x0
	v_fma_f64 v[144:145], -v[108:109], v[76:77], v[150:151]
	v_fmac_f64_e32 v[10:11], v[106:107], v[76:77]
	global_load_b128 v[106:109], v[24:25], off offset:12512
	v_fma_f64 v[142:143], -v[112:113], v[76:77], v[142:143]
	v_fmac_f64_e32 v[16:17], v[110:111], v[76:77]
	global_load_b128 v[110:113], v[24:25], off offset:12528
	v_fma_f64 v[74:75], -v[116:117], v[76:77], v[148:149]
	v_fmac_f64_e32 v[18:19], v[114:115], v[76:77]
	v_fma_f64 v[92:93], -v[92:93], v[76:77], v[146:147]
	v_fmac_f64_e32 v[14:15], v[90:91], v[76:77]
	s_wait_xcnt 0x0
	v_add_nc_u64_e32 v[24:25], 0x4000, v[24:25]
	s_wait_loadcnt 0xb
	v_fmac_f64_e32 v[144:145], v[126:127], v[138:139]
	v_fmac_f64_e32 v[10:11], v[128:129], v[138:139]
	;; [unrolled: 1-line block ×8, first 2 shown]
	v_fma_f64 v[76:77], -v[128:129], v[140:141], v[144:145]
	v_fmac_f64_e32 v[10:11], v[126:127], v[140:141]
	v_fma_f64 v[90:91], -v[132:133], v[140:141], v[142:143]
	v_fmac_f64_e32 v[16:17], v[130:131], v[140:141]
	;; [unrolled: 2-line block ×4, first 2 shown]
	s_wait_loadcnt 0x7
	v_fmac_f64_e32 v[76:77], v[32:33], v[54:55]
	v_fmac_f64_e32 v[10:11], v[34:35], v[54:55]
	;; [unrolled: 1-line block ×8, first 2 shown]
	v_fma_f64 v[34:35], -v[34:35], v[56:57], v[76:77]
	v_fmac_f64_e32 v[10:11], v[32:33], v[56:57]
	v_fma_f64 v[32:33], -v[44:45], v[56:57], v[90:91]
	v_fmac_f64_e32 v[16:17], v[42:43], v[56:57]
	;; [unrolled: 2-line block ×4, first 2 shown]
	v_fmac_f64_e32 v[34:35], v[62:63], v[38:39]
	v_fmac_f64_e32 v[10:11], v[64:65], v[38:39]
	;; [unrolled: 1-line block ×8, first 2 shown]
	v_fma_f64 v[34:35], -v[64:65], v[40:41], v[34:35]
	v_fmac_f64_e32 v[10:11], v[62:63], v[40:41]
	v_fma_f64 v[32:33], -v[60:61], v[40:41], v[32:33]
	v_fmac_f64_e32 v[16:17], v[58:59], v[40:41]
	;; [unrolled: 2-line block ×4, first 2 shown]
	s_wait_loadcnt 0x2
	v_fmac_f64_e32 v[34:35], v[94:95], v[134:135]
	v_fmac_f64_e32 v[10:11], v[96:97], v[134:135]
	;; [unrolled: 1-line block ×8, first 2 shown]
	v_fma_f64 v[34:35], -v[96:97], v[136:137], v[34:35]
	v_fmac_f64_e32 v[10:11], v[94:95], v[136:137]
	v_fma_f64 v[32:33], -v[84:85], v[136:137], v[32:33]
	v_fmac_f64_e32 v[16:17], v[82:83], v[136:137]
	;; [unrolled: 2-line block ×4, first 2 shown]
	v_fmac_f64_e32 v[34:35], v[70:71], v[66:67]
	v_fmac_f64_e32 v[10:11], v[72:73], v[66:67]
	;; [unrolled: 1-line block ×4, first 2 shown]
	s_delay_alu instid0(VALU_DEP_4) | instskip(NEXT) | instid1(VALU_DEP_4)
	v_fma_f64 v[34:35], -v[72:73], v[68:69], v[34:35]
	v_fmac_f64_e32 v[10:11], v[70:71], v[68:69]
	s_wait_loadcnt 0x1
	v_fmac_f64_e32 v[30:31], v[106:107], v[66:67]
	v_fmac_f64_e32 v[18:19], v[108:109], v[66:67]
	v_fma_f64 v[32:33], -v[100:101], v[68:69], v[32:33]
	s_wait_loadcnt 0x0
	v_fmac_f64_e32 v[28:29], v[110:111], v[66:67]
	v_fmac_f64_e32 v[14:15], v[112:113], v[66:67]
	;; [unrolled: 1-line block ×3, first 2 shown]
	v_fma_f64 v[30:31], -v[108:109], v[68:69], v[30:31]
	v_fmac_f64_e32 v[18:19], v[106:107], v[68:69]
	v_fma_f64 v[28:29], -v[112:113], v[68:69], v[28:29]
	v_fmac_f64_e32 v[14:15], v[110:111], v[68:69]
	s_and_not1_b32 exec_lo, exec_lo, s6
	s_cbranch_execnz .LBB57_33
; %bb.34:
	s_or_b32 exec_lo, exec_lo, s6
.LBB57_35:
	s_delay_alu instid0(SALU_CYCLE_1)
	s_or_b32 exec_lo, exec_lo, s2
.LBB57_36:
	s_delay_alu instid0(SALU_CYCLE_1)
	s_or_b32 exec_lo, exec_lo, s3
.LBB57_37:
	v_mbcnt_lo_u32_b32 v1, -1, 0
	s_delay_alu instid0(VALU_DEP_1) | instskip(NEXT) | instid1(VALU_DEP_1)
	v_xor_b32_e32 v12, 8, v1
	v_cmp_gt_i32_e32 vcc_lo, 32, v12
	v_cndmask_b32_e32 v12, v1, v12, vcc_lo
	s_delay_alu instid0(VALU_DEP_1)
	v_lshlrev_b32_e32 v43, 2, v12
	ds_bpermute_b32 v24, v43, v16
	ds_bpermute_b32 v25, v43, v17
	;; [unrolled: 1-line block ×4, first 2 shown]
	s_wait_dscnt 0x2
	v_add_f64_e32 v[16:17], v[16:17], v[24:25]
	s_wait_dscnt 0x0
	v_add_f64_e32 v[24:25], v[28:29], v[40:41]
	v_xor_b32_e32 v28, 4, v1
	ds_bpermute_b32 v12, v43, v34
	ds_bpermute_b32 v13, v43, v35
	ds_bpermute_b32 v20, v43, v10
	ds_bpermute_b32 v21, v43, v11
	ds_bpermute_b32 v38, v43, v18
	ds_bpermute_b32 v39, v43, v19
	ds_bpermute_b32 v22, v43, v32
	ds_bpermute_b32 v23, v43, v33
	ds_bpermute_b32 v36, v43, v30
	ds_bpermute_b32 v37, v43, v31
	ds_bpermute_b32 v42, v43, v14
	ds_bpermute_b32 v43, v43, v15
	v_cmp_gt_i32_e32 vcc_lo, 32, v28
	v_cndmask_b32_e32 v28, v1, v28, vcc_lo
	s_wait_dscnt 0xa
	v_add_f64_e32 v[12:13], v[34:35], v[12:13]
	s_wait_dscnt 0x8
	v_add_f64_e32 v[10:11], v[10:11], v[20:21]
	;; [unrolled: 2-line block ×5, first 2 shown]
	s_wait_dscnt 0x0
	v_dual_add_f64 v[14:15], v[14:15], v[42:43] :: v_dual_lshlrev_b32 v43, 2, v28
	ds_bpermute_b32 v28, v43, v12
	ds_bpermute_b32 v29, v43, v13
	;; [unrolled: 1-line block ×4, first 2 shown]
	s_wait_dscnt 0x2
	v_add_f64_e32 v[12:13], v[12:13], v[28:29]
	s_wait_dscnt 0x0
	v_add_f64_e32 v[28:29], v[10:11], v[30:31]
	ds_bpermute_b32 v38, v43, v18
	ds_bpermute_b32 v39, v43, v19
	;; [unrolled: 1-line block ×9, first 2 shown]
	v_xor_b32_e32 v10, 2, v1
	s_delay_alu instid0(VALU_DEP_1) | instskip(SKIP_4) | instid1(VALU_DEP_2)
	v_cmp_gt_i32_e32 vcc_lo, 32, v10
	v_cndmask_b32_e32 v10, v1, v10, vcc_lo
	s_wait_dscnt 0x7
	v_add_f64_e32 v[18:19], v[18:19], v[38:39]
	s_wait_dscnt 0x5
	v_dual_add_f64 v[22:23], v[22:23], v[36:37] :: v_dual_lshlrev_b32 v30, 2, v10
	ds_bpermute_b32 v34, v43, v16
	ds_bpermute_b32 v35, v43, v17
	;; [unrolled: 1-line block ×3, first 2 shown]
	s_wait_dscnt 0x6
	v_add_f64_e32 v[20:21], v[20:21], v[32:33]
	s_wait_dscnt 0x4
	v_add_f64_e32 v[32:33], v[24:25], v[40:41]
	ds_bpermute_b32 v10, v30, v12
	ds_bpermute_b32 v11, v30, v13
	s_wait_dscnt 0x3
	v_add_f64_e32 v[16:17], v[16:17], v[34:35]
	s_wait_dscnt 0x2
	v_add_f64_e32 v[34:35], v[14:15], v[42:43]
	ds_bpermute_b32 v14, v30, v28
	ds_bpermute_b32 v15, v30, v29
	s_wait_dscnt 0x2
	v_add_f64_e32 v[10:11], v[12:13], v[10:11]
	ds_bpermute_b32 v40, v30, v18
	ds_bpermute_b32 v41, v30, v19
	;; [unrolled: 1-line block ×12, first 2 shown]
	s_wait_dscnt 0xc
	v_add_f64_e32 v[30:31], v[28:29], v[14:15]
	s_wait_dscnt 0x8
	v_dual_add_f64 v[14:15], v[22:23], v[38:39] :: v_dual_bitop2_b32 v22, 1, v1 bitop3:0x14
	s_wait_dscnt 0x6
	v_add_f64_e32 v[12:13], v[20:21], v[24:25]
	v_add_f64_e32 v[20:21], v[18:19], v[40:41]
	s_delay_alu instid0(VALU_DEP_3) | instskip(SKIP_2) | instid1(VALU_DEP_2)
	v_cmp_gt_i32_e32 vcc_lo, 32, v22
	v_cndmask_b32_e32 v1, v1, v22, vcc_lo
	v_cmp_eq_u32_e32 vcc_lo, 15, v0
	v_lshlrev_b32_e32 v1, 2, v1
	s_wait_dscnt 0x2
	v_add_f64_e32 v[24:25], v[16:17], v[36:37]
	v_add_f64_e32 v[16:17], v[32:33], v[42:43]
	s_wait_dscnt 0x0
	v_add_f64_e32 v[18:19], v[34:35], v[44:45]
	ds_bpermute_b32 v22, v1, v10
	ds_bpermute_b32 v23, v1, v11
	;; [unrolled: 1-line block ×16, first 2 shown]
	s_and_b32 exec_lo, exec_lo, vcc_lo
	s_cbranch_execz .LBB57_8
; %bb.38:
	s_wait_dscnt 0xc
	v_add_f64_e32 v[0:1], v[30:31], v[42:43]
	s_wait_dscnt 0x4
	v_add_f64_e32 v[30:31], v[24:25], v[40:41]
	v_add_f64_e32 v[38:39], v[20:21], v[38:39]
	s_wait_dscnt 0x0
	v_add_f64_e32 v[36:37], v[18:19], v[36:37]
	v_add_f64_e32 v[40:41], v[10:11], v[22:23]
	;; [unrolled: 1-line block ×5, first 2 shown]
	v_cmp_eq_f64_e32 vcc_lo, 0, v[2:3]
	v_cmp_eq_f64_e64 s2, 0, v[4:5]
	s_load_b64 s[0:1], s[0:1], 0x68
	v_mul_f64_e64 v[22:23], v[0:1], -v[8:9]
	v_mul_f64_e32 v[24:25], v[6:7], v[0:1]
	v_mul_f64_e64 v[18:19], v[30:31], -v[8:9]
	v_mul_f64_e32 v[20:21], v[6:7], v[30:31]
	;; [unrolled: 2-line block ×4, first 2 shown]
	v_lshlrev_b64_e32 v[0:1], 6, v[26:27]
	s_and_b32 s2, vcc_lo, s2
	v_fmac_f64_e32 v[22:23], v[6:7], v[40:41]
	v_fmac_f64_e32 v[24:25], v[8:9], v[40:41]
	;; [unrolled: 1-line block ×8, first 2 shown]
	s_and_saveexec_b32 s3, s2
	s_delay_alu instid0(SALU_CYCLE_1)
	s_xor_b32 s2, exec_lo, s3
	s_cbranch_execz .LBB57_40
; %bb.39:
	s_wait_kmcnt 0x0
	v_add_nc_u64_e32 v[0:1], s[0:1], v[0:1]
                                        ; implicit-def: $vgpr4_vgpr5
	s_clause 0x3
	global_store_b128 v[0:1], v[22:25], off
	global_store_b128 v[0:1], v[18:21], off offset:16
	global_store_b128 v[0:1], v[14:17], off offset:32
	global_store_b128 v[0:1], v[10:13], off offset:48
                                        ; implicit-def: $vgpr22_vgpr23
                                        ; implicit-def: $vgpr0_vgpr1
                                        ; implicit-def: $vgpr18_vgpr19
                                        ; implicit-def: $vgpr14_vgpr15
                                        ; implicit-def: $vgpr10_vgpr11
.LBB57_40:
	s_wait_xcnt 0x0
	s_and_not1_saveexec_b32 s2, s2
	s_cbranch_execz .LBB57_8
; %bb.41:
	s_wait_kmcnt 0x0
	v_add_nc_u64_e32 v[0:1], s[0:1], v[0:1]
	s_clause 0x3
	global_load_b128 v[6:9], v[0:1], off
	global_load_b128 v[26:29], v[0:1], off offset:16
	global_load_b128 v[30:33], v[0:1], off offset:32
	;; [unrolled: 1-line block ×3, first 2 shown]
	s_wait_loadcnt 0x3
	v_fmac_f64_e32 v[22:23], v[2:3], v[6:7]
	v_fmac_f64_e32 v[24:25], v[4:5], v[6:7]
	s_wait_loadcnt 0x2
	v_fmac_f64_e32 v[18:19], v[2:3], v[26:27]
	v_fmac_f64_e32 v[20:21], v[4:5], v[26:27]
	;; [unrolled: 3-line block ×4, first 2 shown]
	v_fma_f64 v[22:23], -v[4:5], v[8:9], v[22:23]
	v_fmac_f64_e32 v[24:25], v[2:3], v[8:9]
	v_fma_f64 v[18:19], -v[4:5], v[28:29], v[18:19]
	v_fmac_f64_e32 v[20:21], v[2:3], v[28:29]
	;; [unrolled: 2-line block ×4, first 2 shown]
	s_clause 0x3
	global_store_b128 v[0:1], v[22:25], off
	global_store_b128 v[0:1], v[18:21], off offset:16
	global_store_b128 v[0:1], v[14:17], off offset:32
	global_store_b128 v[0:1], v[10:13], off offset:48
	s_sendmsg sendmsg(MSG_DEALLOC_VGPRS)
	s_endpgm
	.section	.rodata,"a",@progbits
	.p2align	6, 0x0
	.amdhsa_kernel _ZN9rocsparseL18bsrxmvn_4x4_kernelILj128ELj16E21rocsparse_complex_numIdEllS2_S2_S2_EEvT3_20rocsparse_direction_NS_24const_host_device_scalarIT1_EES3_PKS3_PKT2_SC_S9_PKT4_PKT5_S7_PT6_21rocsparse_index_base_b
		.amdhsa_group_segment_fixed_size 0
		.amdhsa_private_segment_fixed_size 0
		.amdhsa_kernarg_size 120
		.amdhsa_user_sgpr_count 2
		.amdhsa_user_sgpr_dispatch_ptr 0
		.amdhsa_user_sgpr_queue_ptr 0
		.amdhsa_user_sgpr_kernarg_segment_ptr 1
		.amdhsa_user_sgpr_dispatch_id 0
		.amdhsa_user_sgpr_kernarg_preload_length 0
		.amdhsa_user_sgpr_kernarg_preload_offset 0
		.amdhsa_user_sgpr_private_segment_size 0
		.amdhsa_wavefront_size32 1
		.amdhsa_uses_dynamic_stack 0
		.amdhsa_enable_private_segment 0
		.amdhsa_system_sgpr_workgroup_id_x 1
		.amdhsa_system_sgpr_workgroup_id_y 0
		.amdhsa_system_sgpr_workgroup_id_z 0
		.amdhsa_system_sgpr_workgroup_info 0
		.amdhsa_system_vgpr_workitem_id 0
		.amdhsa_next_free_vgpr 178
		.amdhsa_next_free_sgpr 12
		.amdhsa_named_barrier_count 0
		.amdhsa_reserve_vcc 1
		.amdhsa_float_round_mode_32 0
		.amdhsa_float_round_mode_16_64 0
		.amdhsa_float_denorm_mode_32 3
		.amdhsa_float_denorm_mode_16_64 3
		.amdhsa_fp16_overflow 0
		.amdhsa_memory_ordered 1
		.amdhsa_forward_progress 1
		.amdhsa_inst_pref_size 70
		.amdhsa_round_robin_scheduling 0
		.amdhsa_exception_fp_ieee_invalid_op 0
		.amdhsa_exception_fp_denorm_src 0
		.amdhsa_exception_fp_ieee_div_zero 0
		.amdhsa_exception_fp_ieee_overflow 0
		.amdhsa_exception_fp_ieee_underflow 0
		.amdhsa_exception_fp_ieee_inexact 0
		.amdhsa_exception_int_div_zero 0
	.end_amdhsa_kernel
	.section	.text._ZN9rocsparseL18bsrxmvn_4x4_kernelILj128ELj16E21rocsparse_complex_numIdEllS2_S2_S2_EEvT3_20rocsparse_direction_NS_24const_host_device_scalarIT1_EES3_PKS3_PKT2_SC_S9_PKT4_PKT5_S7_PT6_21rocsparse_index_base_b,"axG",@progbits,_ZN9rocsparseL18bsrxmvn_4x4_kernelILj128ELj16E21rocsparse_complex_numIdEllS2_S2_S2_EEvT3_20rocsparse_direction_NS_24const_host_device_scalarIT1_EES3_PKS3_PKT2_SC_S9_PKT4_PKT5_S7_PT6_21rocsparse_index_base_b,comdat
.Lfunc_end57:
	.size	_ZN9rocsparseL18bsrxmvn_4x4_kernelILj128ELj16E21rocsparse_complex_numIdEllS2_S2_S2_EEvT3_20rocsparse_direction_NS_24const_host_device_scalarIT1_EES3_PKS3_PKT2_SC_S9_PKT4_PKT5_S7_PT6_21rocsparse_index_base_b, .Lfunc_end57-_ZN9rocsparseL18bsrxmvn_4x4_kernelILj128ELj16E21rocsparse_complex_numIdEllS2_S2_S2_EEvT3_20rocsparse_direction_NS_24const_host_device_scalarIT1_EES3_PKS3_PKT2_SC_S9_PKT4_PKT5_S7_PT6_21rocsparse_index_base_b
                                        ; -- End function
	.set _ZN9rocsparseL18bsrxmvn_4x4_kernelILj128ELj16E21rocsparse_complex_numIdEllS2_S2_S2_EEvT3_20rocsparse_direction_NS_24const_host_device_scalarIT1_EES3_PKS3_PKT2_SC_S9_PKT4_PKT5_S7_PT6_21rocsparse_index_base_b.num_vgpr, 178
	.set _ZN9rocsparseL18bsrxmvn_4x4_kernelILj128ELj16E21rocsparse_complex_numIdEllS2_S2_S2_EEvT3_20rocsparse_direction_NS_24const_host_device_scalarIT1_EES3_PKS3_PKT2_SC_S9_PKT4_PKT5_S7_PT6_21rocsparse_index_base_b.num_agpr, 0
	.set _ZN9rocsparseL18bsrxmvn_4x4_kernelILj128ELj16E21rocsparse_complex_numIdEllS2_S2_S2_EEvT3_20rocsparse_direction_NS_24const_host_device_scalarIT1_EES3_PKS3_PKT2_SC_S9_PKT4_PKT5_S7_PT6_21rocsparse_index_base_b.numbered_sgpr, 12
	.set _ZN9rocsparseL18bsrxmvn_4x4_kernelILj128ELj16E21rocsparse_complex_numIdEllS2_S2_S2_EEvT3_20rocsparse_direction_NS_24const_host_device_scalarIT1_EES3_PKS3_PKT2_SC_S9_PKT4_PKT5_S7_PT6_21rocsparse_index_base_b.num_named_barrier, 0
	.set _ZN9rocsparseL18bsrxmvn_4x4_kernelILj128ELj16E21rocsparse_complex_numIdEllS2_S2_S2_EEvT3_20rocsparse_direction_NS_24const_host_device_scalarIT1_EES3_PKS3_PKT2_SC_S9_PKT4_PKT5_S7_PT6_21rocsparse_index_base_b.private_seg_size, 0
	.set _ZN9rocsparseL18bsrxmvn_4x4_kernelILj128ELj16E21rocsparse_complex_numIdEllS2_S2_S2_EEvT3_20rocsparse_direction_NS_24const_host_device_scalarIT1_EES3_PKS3_PKT2_SC_S9_PKT4_PKT5_S7_PT6_21rocsparse_index_base_b.uses_vcc, 1
	.set _ZN9rocsparseL18bsrxmvn_4x4_kernelILj128ELj16E21rocsparse_complex_numIdEllS2_S2_S2_EEvT3_20rocsparse_direction_NS_24const_host_device_scalarIT1_EES3_PKS3_PKT2_SC_S9_PKT4_PKT5_S7_PT6_21rocsparse_index_base_b.uses_flat_scratch, 0
	.set _ZN9rocsparseL18bsrxmvn_4x4_kernelILj128ELj16E21rocsparse_complex_numIdEllS2_S2_S2_EEvT3_20rocsparse_direction_NS_24const_host_device_scalarIT1_EES3_PKS3_PKT2_SC_S9_PKT4_PKT5_S7_PT6_21rocsparse_index_base_b.has_dyn_sized_stack, 0
	.set _ZN9rocsparseL18bsrxmvn_4x4_kernelILj128ELj16E21rocsparse_complex_numIdEllS2_S2_S2_EEvT3_20rocsparse_direction_NS_24const_host_device_scalarIT1_EES3_PKS3_PKT2_SC_S9_PKT4_PKT5_S7_PT6_21rocsparse_index_base_b.has_recursion, 0
	.set _ZN9rocsparseL18bsrxmvn_4x4_kernelILj128ELj16E21rocsparse_complex_numIdEllS2_S2_S2_EEvT3_20rocsparse_direction_NS_24const_host_device_scalarIT1_EES3_PKS3_PKT2_SC_S9_PKT4_PKT5_S7_PT6_21rocsparse_index_base_b.has_indirect_call, 0
	.section	.AMDGPU.csdata,"",@progbits
; Kernel info:
; codeLenInByte = 8900
; TotalNumSgprs: 14
; NumVgprs: 178
; ScratchSize: 0
; MemoryBound: 1
; FloatMode: 240
; IeeeMode: 1
; LDSByteSize: 0 bytes/workgroup (compile time only)
; SGPRBlocks: 0
; VGPRBlocks: 11
; NumSGPRsForWavesPerEU: 14
; NumVGPRsForWavesPerEU: 178
; NamedBarCnt: 0
; Occupancy: 5
; WaveLimiterHint : 1
; COMPUTE_PGM_RSRC2:SCRATCH_EN: 0
; COMPUTE_PGM_RSRC2:USER_SGPR: 2
; COMPUTE_PGM_RSRC2:TRAP_HANDLER: 0
; COMPUTE_PGM_RSRC2:TGID_X_EN: 1
; COMPUTE_PGM_RSRC2:TGID_Y_EN: 0
; COMPUTE_PGM_RSRC2:TGID_Z_EN: 0
; COMPUTE_PGM_RSRC2:TIDIG_COMP_CNT: 0
	.section	.text._ZN9rocsparseL18bsrxmvn_4x4_kernelILj128ELj32E21rocsparse_complex_numIdEllS2_S2_S2_EEvT3_20rocsparse_direction_NS_24const_host_device_scalarIT1_EES3_PKS3_PKT2_SC_S9_PKT4_PKT5_S7_PT6_21rocsparse_index_base_b,"axG",@progbits,_ZN9rocsparseL18bsrxmvn_4x4_kernelILj128ELj32E21rocsparse_complex_numIdEllS2_S2_S2_EEvT3_20rocsparse_direction_NS_24const_host_device_scalarIT1_EES3_PKS3_PKT2_SC_S9_PKT4_PKT5_S7_PT6_21rocsparse_index_base_b,comdat
	.globl	_ZN9rocsparseL18bsrxmvn_4x4_kernelILj128ELj32E21rocsparse_complex_numIdEllS2_S2_S2_EEvT3_20rocsparse_direction_NS_24const_host_device_scalarIT1_EES3_PKS3_PKT2_SC_S9_PKT4_PKT5_S7_PT6_21rocsparse_index_base_b ; -- Begin function _ZN9rocsparseL18bsrxmvn_4x4_kernelILj128ELj32E21rocsparse_complex_numIdEllS2_S2_S2_EEvT3_20rocsparse_direction_NS_24const_host_device_scalarIT1_EES3_PKS3_PKT2_SC_S9_PKT4_PKT5_S7_PT6_21rocsparse_index_base_b
	.p2align	8
	.type	_ZN9rocsparseL18bsrxmvn_4x4_kernelILj128ELj32E21rocsparse_complex_numIdEllS2_S2_S2_EEvT3_20rocsparse_direction_NS_24const_host_device_scalarIT1_EES3_PKS3_PKT2_SC_S9_PKT4_PKT5_S7_PT6_21rocsparse_index_base_b,@function
_ZN9rocsparseL18bsrxmvn_4x4_kernelILj128ELj32E21rocsparse_complex_numIdEllS2_S2_S2_EEvT3_20rocsparse_direction_NS_24const_host_device_scalarIT1_EES3_PKS3_PKT2_SC_S9_PKT4_PKT5_S7_PT6_21rocsparse_index_base_b: ; @_ZN9rocsparseL18bsrxmvn_4x4_kernelILj128ELj32E21rocsparse_complex_numIdEllS2_S2_S2_EEvT3_20rocsparse_direction_NS_24const_host_device_scalarIT1_EES3_PKS3_PKT2_SC_S9_PKT4_PKT5_S7_PT6_21rocsparse_index_base_b
; %bb.0:
	s_clause 0x1
	s_load_b64 s[4:5], s[0:1], 0x70
	s_load_b64 s[2:3], s[0:1], 0x10
	v_mov_b32_e32 v1, 0
	s_add_nc_u64 s[6:7], s[0:1], 16
	s_load_b64 s[8:9], s[0:1], 0x58
	s_wait_kmcnt 0x0
	s_bitcmp1_b32 s5, 0
	s_cselect_b32 s3, s7, s3
	s_cselect_b32 s2, s6, s2
	flat_load_b128 v[6:9], v1, s[2:3]
	s_wait_xcnt 0x0
	s_add_nc_u64 s[2:3], s[0:1], 0x58
	s_delay_alu instid0(SALU_CYCLE_1)
	s_cselect_b32 s3, s3, s9
	s_cselect_b32 s2, s2, s8
	flat_load_b128 v[2:5], v1, s[2:3]
	s_wait_loadcnt_dscnt 0x101
	v_cmp_eq_f64_e32 vcc_lo, 0, v[6:7]
	s_wait_xcnt 0x0
	v_cmp_eq_f64_e64 s2, 0, v[8:9]
	s_and_b32 s5, vcc_lo, s2
	s_mov_b32 s2, -1
	s_and_saveexec_b32 s3, s5
	s_cbranch_execz .LBB58_2
; %bb.1:
	s_wait_loadcnt_dscnt 0x0
	v_cmp_neq_f64_e32 vcc_lo, 1.0, v[2:3]
	v_cmp_neq_f64_e64 s2, 0, v[4:5]
	s_or_b32 s2, vcc_lo, s2
	s_delay_alu instid0(SALU_CYCLE_1)
	s_or_not1_b32 s2, s2, exec_lo
.LBB58_2:
	s_or_b32 exec_lo, exec_lo, s3
	s_and_saveexec_b32 s3, s2
	s_cbranch_execz .LBB58_8
; %bb.3:
	s_load_b64 s[2:3], s[0:1], 0x28
	s_bfe_u32 s5, ttmp6, 0x4000c
	s_and_b32 s6, ttmp6, 15
	s_add_co_i32 s5, s5, 1
	s_getreg_b32 s7, hwreg(HW_REG_IB_STS2, 6, 4)
	s_mul_i32 s5, ttmp9, s5
	v_dual_lshrrev_b32 v1, 5, v0 :: v_dual_mov_b32 v11, 0
	s_add_co_i32 s6, s6, s5
	s_cmp_eq_u32 s7, 0
	s_cselect_b32 s5, ttmp9, s6
	s_mov_b32 s6, 0
	v_lshl_or_b32 v10, s5, 2, v1
	s_wait_kmcnt 0x0
	s_cmp_lg_u64 s[2:3], 0
	s_cbranch_scc0 .LBB58_9
; %bb.4:
	s_load_b64 s[6:7], s[0:1], 0x20
                                        ; implicit-def: $vgpr26_vgpr27
                                        ; implicit-def: $vgpr18_vgpr19
	s_wait_kmcnt 0x0
	v_cmp_gt_i64_e32 vcc_lo, s[6:7], v[10:11]
	s_mov_b32 s7, 0
	s_mov_b32 s6, 0
	s_and_saveexec_b32 s5, vcc_lo
	s_delay_alu instid0(SALU_CYCLE_1)
	s_xor_b32 s8, exec_lo, s5
	s_cbranch_execz .LBB58_6
; %bb.5:
	v_lshl_add_u64 v[12:13], v[10:11], 3, s[2:3]
	s_mov_b32 s5, 0
	s_mov_b32 s6, exec_lo
	v_mov_b64_e32 v[18:19], s[4:5]
	global_load_b64 v[12:13], v[12:13], off
	s_wait_loadcnt 0x0
	v_sub_nc_u64_e64 v[26:27], v[12:13], s[4:5]
.LBB58_6:
	s_or_b32 exec_lo, exec_lo, s8
	s_delay_alu instid0(SALU_CYCLE_1)
	s_and_b32 vcc_lo, exec_lo, s7
	s_cbranch_vccnz .LBB58_10
.LBB58_7:
	s_and_b32 exec_lo, exec_lo, s6
	s_cbranch_execnz .LBB58_13
.LBB58_8:
	s_sendmsg sendmsg(MSG_DEALLOC_VGPRS)
	s_endpgm
.LBB58_9:
                                        ; implicit-def: $vgpr26_vgpr27
                                        ; implicit-def: $vgpr18_vgpr19
	s_cbranch_execz .LBB58_7
.LBB58_10:
	s_load_b64 s[2:3], s[0:1], 0x0
	s_wait_kmcnt 0x0
	v_cmp_gt_i64_e32 vcc_lo, s[2:3], v[10:11]
	s_and_saveexec_b32 s2, vcc_lo
; %bb.11:
	s_mov_b32 s5, 0
	s_or_b32 s6, s6, exec_lo
; %bb.12:
	s_or_b32 exec_lo, exec_lo, s2
	v_mov_b64_e32 v[18:19], s[4:5]
	v_mov_b64_e32 v[26:27], v[10:11]
	s_and_b32 exec_lo, exec_lo, s6
	s_cbranch_execz .LBB58_8
.LBB58_13:
	s_load_b256 s[4:11], s[0:1], 0x30
	s_delay_alu instid0(VALU_DEP_1) | instskip(SKIP_3) | instid1(VALU_DEP_2)
	v_lshlrev_b64_e32 v[10:11], 3, v[26:27]
	v_dual_mov_b32 v1, 0 :: v_dual_bitop2_b32 v0, 31, v0 bitop3:0x40
	s_load_b32 s3, s[0:1], 0x8
	s_wait_kmcnt 0x0
	v_add_nc_u64_e32 v[12:13], s[4:5], v[10:11]
	v_add_nc_u64_e32 v[10:11], s[6:7], v[10:11]
	s_cmp_eq_u64 s[6:7], 0
	s_load_b64 s[4:5], s[0:1], 0x50
	s_cselect_b32 vcc_lo, -1, 0
	s_cmp_eq_u32 s3, 1
	global_load_b64 v[36:37], v[12:13], off
	s_wait_xcnt 0x0
	v_add_nc_u64_e32 v[12:13], 8, v[12:13]
	s_delay_alu instid0(VALU_DEP_1) | instskip(SKIP_3) | instid1(VALU_DEP_1)
	v_dual_cndmask_b32 v11, v11, v13 :: v_dual_cndmask_b32 v10, v10, v12
	global_load_b64 v[10:11], v[10:11], off
	s_wait_loadcnt 0x1
	v_sub_nc_u64_e32 v[12:13], v[36:37], v[18:19]
	v_add_nc_u64_e32 v[20:21], v[12:13], v[0:1]
	s_wait_loadcnt 0x0
	v_sub_nc_u64_e32 v[22:23], v[10:11], v[18:19]
	s_delay_alu instid0(VALU_DEP_2) | instskip(NEXT) | instid1(VALU_DEP_2)
	v_lshlrev_b64_e32 v[12:13], 8, v[20:21]
	v_cmp_lt_i64_e64 s2, v[20:21], v[22:23]
	s_delay_alu instid0(VALU_DEP_2)
	v_add_nc_u64_e32 v[24:25], s[10:11], v[12:13]
	s_cbranch_scc1 .LBB58_25
; %bb.14:
	v_mov_b64_e32 v[10:11], 0
	v_mov_b64_e32 v[34:35], 0
	;; [unrolled: 1-line block ×8, first 2 shown]
	s_and_saveexec_b32 s3, s2
	s_cbranch_execz .LBB58_24
; %bb.15:
	v_dual_mov_b32 v11, v1 :: v_dual_bitop2_b32 v10, 32, v0 bitop3:0x54
	v_sub_nc_u64_e32 v[12:13], v[18:19], v[0:1]
	v_not_b32_e32 v15, v37
	v_not_b32_e32 v14, v36
	v_mov_b64_e32 v[32:33], 0
	v_sub_nc_u64_e32 v[10:11], v[10:11], v[18:19]
	v_mov_b64_e32 v[16:17], 0
	v_mov_b64_e32 v[30:31], 0
	v_add_nc_u64_e32 v[12:13], v[12:13], v[14:15]
	v_mov_b64_e32 v[14:15], 0
	v_mov_b64_e32 v[28:29], 0
	;; [unrolled: 1-line block ×3, first 2 shown]
	v_add_nc_u64_e32 v[10:11], v[10:11], v[36:37]
	v_mov_b64_e32 v[38:39], v[24:25]
	v_mov_b64_e32 v[40:41], v[20:21]
	v_mov_b32_e32 v47, 0
	s_mov_b32 s6, exec_lo
	s_delay_alu instid0(VALU_DEP_4) | instskip(NEXT) | instid1(VALU_DEP_1)
	v_max_i64 v[10:11], v[10:11], v[22:23]
	v_add_nc_u64_e32 v[42:43], v[12:13], v[10:11]
	v_mov_b64_e32 v[12:13], 0
	v_mov_b64_e32 v[10:11], 0
	s_delay_alu instid0(VALU_DEP_3) | instskip(NEXT) | instid1(VALU_DEP_1)
	v_and_b32_e32 v46, 0x60, v42
	v_cmpx_ne_u64_e32 0x60, v[46:47]
	s_cbranch_execz .LBB58_19
; %bb.16:
	v_lshrrev_b32_e32 v10, 5, v42
	v_mov_b64_e32 v[34:35], 0
	v_mov_b64_e32 v[28:29], 0
	;; [unrolled: 1-line block ×4, first 2 shown]
	v_add_nc_u32_e32 v12, 1, v10
	v_mov_b64_e32 v[10:11], 0
	v_mov_b64_e32 v[32:33], 0
	;; [unrolled: 1-line block ×4, first 2 shown]
	v_and_b32_e32 v46, 3, v12
	v_mov_b64_e32 v[12:13], 0
	v_mov_b64_e32 v[38:39], v[24:25]
	v_lshl_add_u64 v[44:45], v[20:21], 3, s[8:9]
	s_mov_b32 s7, 0
	v_sub_nc_u64_e32 v[46:47], 0, v[46:47]
.LBB58_17:                              ; =>This Inner Loop Header: Depth=1
	global_load_b64 v[76:77], v[44:45], off
	s_clause 0x6
	global_load_b128 v[48:51], v[38:39], off offset:16
	global_load_b128 v[52:55], v[38:39], off
	global_load_b128 v[56:59], v[38:39], off offset:80
	global_load_b128 v[60:63], v[38:39], off offset:64
	;; [unrolled: 1-line block ×5, first 2 shown]
	v_add_nc_u64_e32 v[46:47], 1, v[46:47]
	v_add_nc_u64_e32 v[40:41], 32, v[40:41]
	s_wait_xcnt 0x7
	v_add_nc_u64_e32 v[44:45], 0x100, v[44:45]
	s_delay_alu instid0(VALU_DEP_3) | instskip(SKIP_3) | instid1(VALU_DEP_1)
	v_cmp_eq_u64_e32 vcc_lo, 0, v[46:47]
	s_or_b32 s7, vcc_lo, s7
	s_wait_loadcnt 0x7
	v_sub_nc_u64_e32 v[76:77], v[76:77], v[18:19]
	v_lshlrev_b64_e32 v[76:77], 6, v[76:77]
	s_wait_kmcnt 0x0
	s_delay_alu instid0(VALU_DEP_1)
	v_add_nc_u64_e32 v[128:129], s[4:5], v[76:77]
	global_load_b128 v[76:79], v[128:129], off
	global_load_b128 v[80:83], v[38:39], off offset:208
	global_load_b128 v[84:87], v[128:129], off offset:16
	s_clause 0x6
	global_load_b128 v[88:91], v[38:39], off offset:48
	global_load_b128 v[92:95], v[38:39], off offset:32
	;; [unrolled: 1-line block ×10, first 2 shown]
	s_wait_xcnt 0x1
	v_add_nc_u64_e32 v[38:39], 0x2000, v[38:39]
	s_wait_loadcnt 0xc
	v_fmac_f64_e32 v[34:35], v[52:53], v[76:77]
	v_fmac_f64_e32 v[10:11], v[54:55], v[76:77]
	v_fmac_f64_e32 v[32:33], v[60:61], v[76:77]
	v_fmac_f64_e32 v[14:15], v[62:63], v[76:77]
	v_fmac_f64_e32 v[30:31], v[68:69], v[76:77]
	v_fmac_f64_e32 v[16:17], v[70:71], v[76:77]
	v_fmac_f64_e32 v[28:29], v[72:73], v[76:77]
	v_fmac_f64_e32 v[12:13], v[74:75], v[76:77]
	v_fma_f64 v[34:35], -v[54:55], v[78:79], v[34:35]
	v_fmac_f64_e32 v[10:11], v[52:53], v[78:79]
	v_fma_f64 v[32:33], -v[62:63], v[78:79], v[32:33]
	v_fmac_f64_e32 v[14:15], v[60:61], v[78:79]
	v_fma_f64 v[30:31], -v[70:71], v[78:79], v[30:31]
	v_fmac_f64_e32 v[16:17], v[68:69], v[78:79]
	v_fma_f64 v[28:29], -v[74:75], v[78:79], v[28:29]
	v_fmac_f64_e32 v[12:13], v[72:73], v[78:79]
	s_wait_loadcnt 0xa
	v_fmac_f64_e32 v[34:35], v[48:49], v[84:85]
	v_fmac_f64_e32 v[10:11], v[50:51], v[84:85]
	v_fmac_f64_e32 v[32:33], v[56:57], v[84:85]
	v_fmac_f64_e32 v[14:15], v[58:59], v[84:85]
	v_fmac_f64_e32 v[30:31], v[64:65], v[84:85]
	v_fmac_f64_e32 v[16:17], v[66:67], v[84:85]
	v_fmac_f64_e32 v[28:29], v[80:81], v[84:85]
	v_fmac_f64_e32 v[12:13], v[82:83], v[84:85]
	v_fma_f64 v[34:35], -v[50:51], v[86:87], v[34:35]
	v_fmac_f64_e32 v[10:11], v[48:49], v[86:87]
	v_fma_f64 v[32:33], -v[58:59], v[86:87], v[32:33]
	v_fmac_f64_e32 v[14:15], v[56:57], v[86:87]
	v_fma_f64 v[30:31], -v[66:67], v[86:87], v[30:31]
	v_fmac_f64_e32 v[16:17], v[64:65], v[86:87]
	v_fma_f64 v[28:29], -v[82:83], v[86:87], v[28:29]
	v_fmac_f64_e32 v[12:13], v[80:81], v[86:87]
	;; [unrolled: 17-line block ×4, first 2 shown]
	s_and_not1_b32 exec_lo, exec_lo, s7
	s_cbranch_execnz .LBB58_17
; %bb.18:
	s_or_b32 exec_lo, exec_lo, s7
.LBB58_19:
	s_delay_alu instid0(SALU_CYCLE_1) | instskip(NEXT) | instid1(SALU_CYCLE_1)
	s_or_b32 exec_lo, exec_lo, s6
	s_mov_b32 s6, exec_lo
	v_cmpx_lt_u64_e32 0x5f, v[42:43]
	s_cbranch_execz .LBB58_23
; %bb.20:
	v_lshl_add_u64 v[42:43], v[40:41], 3, s[8:9]
	s_mov_b32 s7, 0
	s_delay_alu instid0(VALU_DEP_1)
	v_add_nc_u64_e32 v[42:43], 0x200, v[42:43]
.LBB58_21:                              ; =>This Inner Loop Header: Depth=1
	global_load_b64 v[156:157], v[42:43], off offset:-512
	s_clause 0x13
	global_load_b128 v[44:47], v[38:39], off offset:48
	global_load_b128 v[48:51], v[38:39], off offset:32
	;; [unrolled: 1-line block ×3, first 2 shown]
	global_load_b128 v[56:59], v[38:39], off
	global_load_b128 v[60:63], v[38:39], off offset:112
	global_load_b128 v[64:67], v[38:39], off offset:96
	;; [unrolled: 1-line block ×16, first 2 shown]
	s_clause 0x2
	global_load_b64 v[164:165], v[42:43], off offset:-256
	global_load_b64 v[166:167], v[42:43], off
	global_load_b64 v[168:169], v[42:43], off offset:256
	s_clause 0x7
	global_load_b128 v[124:127], v[38:39], off offset:8304
	global_load_b128 v[128:131], v[38:39], off offset:8288
	;; [unrolled: 1-line block ×8, first 2 shown]
	v_add_nc_u64_e32 v[40:41], 0x80, v[40:41]
	s_wait_xcnt 0x8
	v_add_nc_u64_e32 v[42:43], 0x400, v[42:43]
	s_delay_alu instid0(VALU_DEP_2) | instskip(SKIP_3) | instid1(VALU_DEP_1)
	v_cmp_ge_i64_e32 vcc_lo, v[40:41], v[22:23]
	s_or_b32 s7, vcc_lo, s7
	s_wait_loadcnt 0x1f
	v_sub_nc_u64_e32 v[156:157], v[156:157], v[18:19]
	v_lshlrev_b64_e32 v[156:157], 6, v[156:157]
	s_wait_kmcnt 0x0
	s_delay_alu instid0(VALU_DEP_1)
	v_add_nc_u64_e32 v[170:171], s[4:5], v[156:157]
	s_clause 0x1
	global_load_b128 v[156:159], v[170:171], off
	global_load_b128 v[160:163], v[170:171], off offset:16
	s_wait_loadcnt 0xc
	v_sub_nc_u64_e32 v[164:165], v[164:165], v[18:19]
	s_delay_alu instid0(VALU_DEP_1) | instskip(NEXT) | instid1(VALU_DEP_1)
	v_lshlrev_b64_e32 v[164:165], 6, v[164:165]
	v_add_nc_u64_e32 v[164:165], s[4:5], v[164:165]
	s_wait_loadcnt 0x1
	v_fmac_f64_e32 v[34:35], v[56:57], v[156:157]
	v_fmac_f64_e32 v[10:11], v[58:59], v[156:157]
	v_fmac_f64_e32 v[32:33], v[72:73], v[156:157]
	v_fmac_f64_e32 v[14:15], v[74:75], v[156:157]
	v_fmac_f64_e32 v[30:31], v[88:89], v[156:157]
	v_fmac_f64_e32 v[16:17], v[90:91], v[156:157]
	v_fmac_f64_e32 v[28:29], v[104:105], v[156:157]
	v_fmac_f64_e32 v[12:13], v[106:107], v[156:157]
	v_fma_f64 v[172:173], -v[58:59], v[158:159], v[34:35]
	v_fmac_f64_e32 v[10:11], v[56:57], v[158:159]
	v_fma_f64 v[174:175], -v[74:75], v[158:159], v[32:33]
	v_fmac_f64_e32 v[14:15], v[72:73], v[158:159]
	;; [unrolled: 2-line block ×4, first 2 shown]
	s_clause 0x4
	global_load_b128 v[56:59], v[38:39], off offset:8432
	global_load_b128 v[32:35], v[38:39], off offset:8416
	;; [unrolled: 1-line block ×5, first 2 shown]
	s_wait_loadcnt 0x5
	v_fmac_f64_e32 v[172:173], v[52:53], v[160:161]
	v_fmac_f64_e32 v[10:11], v[54:55], v[160:161]
	;; [unrolled: 1-line block ×8, first 2 shown]
	v_fma_f64 v[172:173], -v[54:55], v[162:163], v[172:173]
	v_fmac_f64_e32 v[10:11], v[52:53], v[162:163]
	global_load_b128 v[52:55], v[38:39], off offset:16416
	v_fma_f64 v[174:175], -v[70:71], v[162:163], v[174:175]
	v_fmac_f64_e32 v[14:15], v[68:69], v[162:163]
	global_load_b128 v[68:71], v[38:39], off offset:16400
	v_fma_f64 v[176:177], -v[86:87], v[162:163], v[176:177]
	v_fmac_f64_e32 v[16:17], v[84:85], v[162:163]
	global_load_b128 v[84:87], v[38:39], off offset:16384
	v_fma_f64 v[160:161], -v[102:103], v[162:163], v[106:107]
	v_fmac_f64_e32 v[12:13], v[100:101], v[162:163]
	global_load_b128 v[100:103], v[38:39], off offset:16496
	s_clause 0x1
	global_load_b128 v[104:107], v[170:171], off offset:32
	global_load_b128 v[156:159], v[170:171], off offset:48
	s_wait_loadcnt 0x1
	v_fmac_f64_e32 v[172:173], v[48:49], v[104:105]
	v_fmac_f64_e32 v[10:11], v[50:51], v[104:105]
	;; [unrolled: 1-line block ×8, first 2 shown]
	v_fma_f64 v[162:163], -v[50:51], v[106:107], v[172:173]
	v_fmac_f64_e32 v[10:11], v[48:49], v[106:107]
	s_wait_xcnt 0x0
	v_fma_f64 v[170:171], -v[66:67], v[106:107], v[174:175]
	v_fmac_f64_e32 v[14:15], v[64:65], v[106:107]
	v_fma_f64 v[172:173], -v[82:83], v[106:107], v[176:177]
	v_fmac_f64_e32 v[16:17], v[80:81], v[106:107]
	;; [unrolled: 2-line block ×3, first 2 shown]
	s_clause 0x4
	global_load_b128 v[48:51], v[38:39], off offset:16480
	global_load_b128 v[64:67], v[38:39], off offset:16464
	;; [unrolled: 1-line block ×5, first 2 shown]
	s_wait_loadcnt 0x5
	v_fmac_f64_e32 v[162:163], v[44:45], v[156:157]
	v_fmac_f64_e32 v[10:11], v[46:47], v[156:157]
	;; [unrolled: 1-line block ×8, first 2 shown]
	v_fma_f64 v[162:163], -v[46:47], v[158:159], v[162:163]
	v_fmac_f64_e32 v[10:11], v[44:45], v[158:159]
	global_load_b128 v[44:47], v[38:39], off offset:16528
	v_fma_f64 v[170:171], -v[62:63], v[158:159], v[170:171]
	v_fmac_f64_e32 v[14:15], v[60:61], v[158:159]
	global_load_b128 v[60:63], v[38:39], off offset:16512
	;; [unrolled: 3-line block ×3, first 2 shown]
	v_fma_f64 v[160:161], -v[94:95], v[158:159], v[160:161]
	v_fmac_f64_e32 v[12:13], v[92:93], v[158:159]
	s_clause 0x1
	global_load_b128 v[92:95], v[164:165], off
	global_load_b128 v[156:159], v[164:165], off offset:16
	s_wait_loadcnt 0x1
	v_fmac_f64_e32 v[170:171], v[136:137], v[92:93]
	v_fmac_f64_e32 v[14:15], v[138:139], v[92:93]
	;; [unrolled: 1-line block ×8, first 2 shown]
	v_fma_f64 v[170:171], -v[138:139], v[94:95], v[170:171]
	v_fmac_f64_e32 v[14:15], v[136:137], v[94:95]
	v_fma_f64 v[162:163], -v[122:123], v[94:95], v[162:163]
	v_fmac_f64_e32 v[10:11], v[120:121], v[94:95]
	s_clause 0x1
	global_load_b128 v[120:123], v[38:39], off offset:16608
	global_load_b128 v[136:139], v[38:39], off offset:16592
	v_fma_f64 v[172:173], -v[154:155], v[94:95], v[172:173]
	v_fmac_f64_e32 v[16:17], v[152:153], v[94:95]
	global_load_b128 v[152:155], v[38:39], off offset:16576
	v_fma_f64 v[160:161], -v[30:31], v[94:95], v[160:161]
	v_fmac_f64_e32 v[12:13], v[28:29], v[94:95]
	s_clause 0x1
	global_load_b128 v[28:31], v[38:39], off offset:24592
	global_load_b128 v[92:95], v[38:39], off offset:24576
	s_wait_loadcnt 0x5
	v_fmac_f64_e32 v[170:171], v[132:133], v[156:157]
	v_fmac_f64_e32 v[14:15], v[134:135], v[156:157]
	v_fmac_f64_e32 v[162:163], v[116:117], v[156:157]
	v_fmac_f64_e32 v[10:11], v[118:119], v[156:157]
	v_fmac_f64_e32 v[172:173], v[148:149], v[156:157]
	v_fmac_f64_e32 v[16:17], v[150:151], v[156:157]
	v_fmac_f64_e32 v[160:161], v[72:73], v[156:157]
	v_fmac_f64_e32 v[12:13], v[74:75], v[156:157]
	v_sub_nc_u64_e32 v[156:157], v[166:167], v[18:19]
	s_delay_alu instid0(VALU_DEP_1)
	v_lshlrev_b64_e32 v[156:157], 6, v[156:157]
	v_fma_f64 v[170:171], -v[134:135], v[158:159], v[170:171]
	v_fmac_f64_e32 v[14:15], v[132:133], v[158:159]
	global_load_b128 v[132:135], v[164:165], off offset:32
	v_fma_f64 v[162:163], -v[118:119], v[158:159], v[162:163]
	v_fmac_f64_e32 v[10:11], v[116:117], v[158:159]
	global_load_b128 v[116:119], v[38:39], off offset:24656
	v_fma_f64 v[172:173], -v[150:151], v[158:159], v[172:173]
	v_fmac_f64_e32 v[16:17], v[148:149], v[158:159]
	global_load_b128 v[148:151], v[164:165], off offset:48
	s_wait_xcnt 0x0
	v_add_nc_u64_e32 v[164:165], s[4:5], v[156:157]
	v_fma_f64 v[160:161], -v[74:75], v[158:159], v[160:161]
	v_fmac_f64_e32 v[12:13], v[72:73], v[158:159]
	global_load_b128 v[72:75], v[38:39], off offset:24640
	global_load_b128 v[156:159], v[164:165], off
	s_wait_loadcnt 0x4
	v_fmac_f64_e32 v[162:163], v[112:113], v[132:133]
	v_fmac_f64_e32 v[10:11], v[114:115], v[132:133]
	v_fmac_f64_e32 v[170:171], v[128:129], v[132:133]
	v_fmac_f64_e32 v[172:173], v[144:145], v[132:133]
	v_fmac_f64_e32 v[16:17], v[146:147], v[132:133]
	v_fmac_f64_e32 v[14:15], v[130:131], v[132:133]
	v_fmac_f64_e32 v[160:161], v[32:33], v[132:133]
	v_fmac_f64_e32 v[12:13], v[34:35], v[132:133]
	v_fma_f64 v[162:163], -v[114:115], v[134:135], v[162:163]
	v_fmac_f64_e32 v[10:11], v[112:113], v[134:135]
	global_load_b128 v[112:115], v[164:165], off offset:16
	v_fma_f64 v[166:167], -v[130:131], v[134:135], v[170:171]
	v_fma_f64 v[170:171], -v[146:147], v[134:135], v[172:173]
	v_fmac_f64_e32 v[16:17], v[144:145], v[134:135]
	global_load_b128 v[144:147], v[164:165], off offset:32
	v_fmac_f64_e32 v[14:15], v[128:129], v[134:135]
	global_load_b128 v[128:131], v[38:39], off offset:24720
	v_fma_f64 v[172:173], -v[34:35], v[134:135], v[160:161]
	v_fmac_f64_e32 v[12:13], v[32:33], v[134:135]
	s_clause 0x1
	global_load_b128 v[32:35], v[38:39], off offset:24704
	global_load_b128 v[132:135], v[38:39], off offset:24784
	s_wait_loadcnt 0x7
	v_fmac_f64_e32 v[162:163], v[108:109], v[148:149]
	v_fmac_f64_e32 v[10:11], v[110:111], v[148:149]
	;; [unrolled: 1-line block ×8, first 2 shown]
	v_fma_f64 v[174:175], -v[110:111], v[150:151], v[162:163]
	v_fmac_f64_e32 v[10:11], v[108:109], v[150:151]
	global_load_b128 v[108:111], v[38:39], off offset:24768
	global_load_b128 v[160:163], v[164:165], off offset:48
	s_wait_xcnt 0x0
	v_sub_nc_u64_e32 v[164:165], v[168:169], v[18:19]
	v_fma_f64 v[166:167], -v[126:127], v[150:151], v[166:167]
	v_fma_f64 v[168:169], -v[142:143], v[150:151], v[170:171]
	v_fmac_f64_e32 v[16:17], v[140:141], v[150:151]
	v_fmac_f64_e32 v[14:15], v[124:125], v[150:151]
	global_load_b128 v[140:143], v[38:39], off offset:24624
	v_fma_f64 v[170:171], -v[58:59], v[150:151], v[172:173]
	v_lshlrev_b64_e32 v[164:165], 6, v[164:165]
	v_fmac_f64_e32 v[12:13], v[56:57], v[150:151]
	s_delay_alu instid0(VALU_DEP_2)
	v_add_nc_u64_e32 v[164:165], s[4:5], v[164:165]
	global_load_b128 v[124:127], v[164:165], off
	global_load_b128 v[56:59], v[38:39], off offset:24608
	global_load_b128 v[148:151], v[164:165], off offset:16
	s_wait_loadcnt 0xb
	v_fmac_f64_e32 v[174:175], v[84:85], v[156:157]
	v_fmac_f64_e32 v[10:11], v[86:87], v[156:157]
	;; [unrolled: 1-line block ×8, first 2 shown]
	v_fma_f64 v[172:173], -v[86:87], v[158:159], v[174:175]
	v_fmac_f64_e32 v[10:11], v[84:85], v[158:159]
	global_load_b128 v[84:87], v[38:39], off offset:24688
	v_fma_f64 v[166:167], -v[82:83], v[158:159], v[166:167]
	v_fma_f64 v[168:169], -v[62:63], v[158:159], v[168:169]
	v_fmac_f64_e32 v[16:17], v[60:61], v[158:159]
	v_fmac_f64_e32 v[14:15], v[80:81], v[158:159]
	global_load_b128 v[80:83], v[38:39], off offset:24672
	v_fma_f64 v[170:171], -v[154:155], v[158:159], v[170:171]
	global_load_b128 v[60:63], v[38:39], off offset:24752
	v_fmac_f64_e32 v[12:13], v[152:153], v[158:159]
	s_clause 0x1
	global_load_b128 v[152:155], v[38:39], off offset:24736
	global_load_b128 v[156:159], v[38:39], off offset:24800
	s_wait_loadcnt 0xf
	v_fmac_f64_e32 v[172:173], v[68:69], v[112:113]
	v_fmac_f64_e32 v[10:11], v[70:71], v[112:113]
	;; [unrolled: 1-line block ×8, first 2 shown]
	v_fma_f64 v[172:173], -v[70:71], v[114:115], v[172:173]
	v_fmac_f64_e32 v[10:11], v[68:69], v[114:115]
	global_load_b128 v[68:71], v[164:165], off offset:32
	v_fma_f64 v[112:113], -v[66:67], v[114:115], v[166:167]
	v_fmac_f64_e32 v[14:15], v[64:65], v[114:115]
	v_fma_f64 v[166:167], -v[46:47], v[114:115], v[168:169]
	v_fmac_f64_e32 v[16:17], v[44:45], v[114:115]
	;; [unrolled: 2-line block ×3, first 2 shown]
	global_load_b128 v[44:47], v[38:39], off offset:24816
	global_load_b128 v[64:67], v[164:165], off offset:48
	s_wait_xcnt 0x1
	v_add_nc_u64_e32 v[38:39], 0x8000, v[38:39]
	s_wait_loadcnt 0x11
	v_fmac_f64_e32 v[172:173], v[52:53], v[144:145]
	v_fmac_f64_e32 v[10:11], v[54:55], v[144:145]
	v_fmac_f64_e32 v[112:113], v[48:49], v[144:145]
	v_fmac_f64_e32 v[14:15], v[50:51], v[144:145]
	v_fmac_f64_e32 v[166:167], v[104:105], v[144:145]
	v_fmac_f64_e32 v[16:17], v[106:107], v[144:145]
	v_fmac_f64_e32 v[138:139], v[120:121], v[144:145]
	v_fmac_f64_e32 v[12:13], v[122:123], v[144:145]
	v_fma_f64 v[54:55], -v[54:55], v[146:147], v[172:173]
	v_fmac_f64_e32 v[10:11], v[52:53], v[146:147]
	v_fma_f64 v[50:51], -v[50:51], v[146:147], v[112:113]
	v_fmac_f64_e32 v[14:15], v[48:49], v[146:147]
	v_fma_f64 v[48:49], -v[106:107], v[146:147], v[166:167]
	v_fmac_f64_e32 v[16:17], v[104:105], v[146:147]
	v_fma_f64 v[52:53], -v[122:123], v[146:147], v[138:139]
	v_fmac_f64_e32 v[12:13], v[120:121], v[146:147]
	s_wait_loadcnt 0xc
	v_fmac_f64_e32 v[54:55], v[88:89], v[160:161]
	v_fmac_f64_e32 v[10:11], v[90:91], v[160:161]
	v_fmac_f64_e32 v[50:51], v[100:101], v[160:161]
	v_fmac_f64_e32 v[14:15], v[102:103], v[160:161]
	v_fmac_f64_e32 v[48:49], v[96:97], v[160:161]
	v_fmac_f64_e32 v[16:17], v[98:99], v[160:161]
	v_fmac_f64_e32 v[52:53], v[76:77], v[160:161]
	v_fmac_f64_e32 v[12:13], v[78:79], v[160:161]
	v_fma_f64 v[54:55], -v[90:91], v[162:163], v[54:55]
	v_fmac_f64_e32 v[10:11], v[88:89], v[162:163]
	v_fma_f64 v[50:51], -v[102:103], v[162:163], v[50:51]
	v_fmac_f64_e32 v[14:15], v[100:101], v[162:163]
	v_fma_f64 v[48:49], -v[98:99], v[162:163], v[48:49]
	v_fmac_f64_e32 v[16:17], v[96:97], v[162:163]
	v_fma_f64 v[52:53], -v[78:79], v[162:163], v[52:53]
	v_fmac_f64_e32 v[12:13], v[76:77], v[162:163]
	;; [unrolled: 17-line block ×6, first 2 shown]
	s_and_not1_b32 exec_lo, exec_lo, s7
	s_cbranch_execnz .LBB58_21
; %bb.22:
	s_or_b32 exec_lo, exec_lo, s7
.LBB58_23:
	s_delay_alu instid0(SALU_CYCLE_1)
	s_or_b32 exec_lo, exec_lo, s6
.LBB58_24:
	s_delay_alu instid0(SALU_CYCLE_1)
	s_or_b32 exec_lo, exec_lo, s3
	s_cbranch_execz .LBB58_26
	s_branch .LBB58_37
.LBB58_25:
                                        ; implicit-def: $vgpr10_vgpr11
                                        ; implicit-def: $vgpr34_vgpr35
                                        ; implicit-def: $vgpr28_vgpr29
                                        ; implicit-def: $vgpr12_vgpr13
                                        ; implicit-def: $vgpr30_vgpr31
                                        ; implicit-def: $vgpr16_vgpr17
                                        ; implicit-def: $vgpr32_vgpr33
                                        ; implicit-def: $vgpr14_vgpr15
.LBB58_26:
	v_mov_b64_e32 v[10:11], 0
	v_mov_b64_e32 v[34:35], 0
	;; [unrolled: 1-line block ×8, first 2 shown]
	s_and_saveexec_b32 s3, s2
	s_cbranch_execz .LBB58_36
; %bb.27:
	v_dual_mov_b32 v11, v1 :: v_dual_bitop2_b32 v10, 32, v0 bitop3:0x54
	v_sub_nc_u64_e32 v[12:13], v[18:19], v[0:1]
	v_not_b32_e32 v15, v37
	v_not_b32_e32 v14, v36
	v_mov_b64_e32 v[32:33], 0
	v_sub_nc_u64_e32 v[10:11], v[10:11], v[18:19]
	v_mov_b64_e32 v[16:17], 0
	v_mov_b64_e32 v[30:31], 0
	v_add_nc_u64_e32 v[12:13], v[12:13], v[14:15]
	v_mov_b64_e32 v[14:15], 0
	v_mov_b64_e32 v[28:29], 0
	;; [unrolled: 1-line block ×3, first 2 shown]
	v_add_nc_u64_e32 v[10:11], v[10:11], v[36:37]
	v_mov_b32_e32 v39, 0
	s_mov_b32 s2, exec_lo
	s_delay_alu instid0(VALU_DEP_2) | instskip(NEXT) | instid1(VALU_DEP_1)
	v_max_i64 v[10:11], v[10:11], v[22:23]
	v_add_nc_u64_e32 v[36:37], v[12:13], v[10:11]
	v_mov_b64_e32 v[12:13], 0
	v_mov_b64_e32 v[10:11], 0
	s_delay_alu instid0(VALU_DEP_3) | instskip(NEXT) | instid1(VALU_DEP_1)
	v_and_b32_e32 v38, 0x60, v36
	v_cmpx_ne_u64_e32 0x60, v[38:39]
	s_cbranch_execz .LBB58_31
; %bb.28:
	v_lshrrev_b32_e32 v1, 5, v36
	v_mov_b64_e32 v[10:11], 0
	v_mov_b64_e32 v[34:35], 0
	;; [unrolled: 1-line block ×4, first 2 shown]
	v_add_nc_u32_e32 v1, 1, v1
	v_mov_b64_e32 v[30:31], 0
	v_mov_b64_e32 v[16:17], 0
	;; [unrolled: 1-line block ×4, first 2 shown]
	v_and_b32_e32 v38, 3, v1
	v_lshl_add_u64 v[40:41], v[20:21], 3, s[8:9]
	s_mov_b32 s6, 0
	s_delay_alu instid0(VALU_DEP_2)
	v_sub_nc_u64_e32 v[38:39], 0, v[38:39]
.LBB58_29:                              ; =>This Inner Loop Header: Depth=1
	global_load_b64 v[58:59], v[40:41], off
	s_clause 0x3
	global_load_b128 v[42:45], v[24:25], off offset:48
	global_load_b128 v[46:49], v[24:25], off offset:32
	;; [unrolled: 1-line block ×3, first 2 shown]
	global_load_b128 v[54:57], v[24:25], off
	v_add_nc_u64_e32 v[38:39], 1, v[38:39]
	v_add_nc_u64_e32 v[20:21], 32, v[20:21]
	s_wait_xcnt 0x4
	v_add_nc_u64_e32 v[40:41], 0x100, v[40:41]
	s_delay_alu instid0(VALU_DEP_3) | instskip(SKIP_3) | instid1(VALU_DEP_1)
	v_cmp_eq_u64_e32 vcc_lo, 0, v[38:39]
	s_or_b32 s6, vcc_lo, s6
	s_wait_loadcnt 0x4
	v_sub_nc_u64_e32 v[58:59], v[58:59], v[18:19]
	v_lshlrev_b64_e32 v[58:59], 6, v[58:59]
	s_wait_kmcnt 0x0
	s_delay_alu instid0(VALU_DEP_1)
	v_add_nc_u64_e32 v[118:119], s[4:5], v[58:59]
	global_load_b128 v[58:61], v[118:119], off
	s_clause 0x3
	global_load_b128 v[62:65], v[24:25], off offset:112
	global_load_b128 v[66:69], v[24:25], off offset:96
	global_load_b128 v[70:73], v[24:25], off offset:80
	global_load_b128 v[74:77], v[24:25], off offset:64
	global_load_b128 v[78:81], v[118:119], off offset:16
	s_clause 0x3
	global_load_b128 v[82:85], v[24:25], off offset:176
	global_load_b128 v[86:89], v[24:25], off offset:160
	global_load_b128 v[90:93], v[24:25], off offset:144
	global_load_b128 v[94:97], v[24:25], off offset:128
	s_clause 0x1
	global_load_b128 v[98:101], v[118:119], off offset:32
	global_load_b128 v[102:105], v[118:119], off offset:48
	s_clause 0x3
	global_load_b128 v[106:109], v[24:25], off offset:192
	global_load_b128 v[110:113], v[24:25], off offset:208
	;; [unrolled: 1-line block ×3, first 2 shown]
	; meta instruction
	global_load_b128 v[118:121], v[24:25], off offset:240
	s_wait_xcnt 0x0
	v_add_nc_u64_e32 v[24:25], 0x2000, v[24:25]
	s_wait_loadcnt 0xf
	v_fmac_f64_e32 v[34:35], v[54:55], v[58:59]
	v_fmac_f64_e32 v[10:11], v[56:57], v[58:59]
	v_fmac_f64_e32 v[32:33], v[50:51], v[58:59]
	v_fmac_f64_e32 v[14:15], v[52:53], v[58:59]
	v_fmac_f64_e32 v[30:31], v[46:47], v[58:59]
	v_fmac_f64_e32 v[16:17], v[48:49], v[58:59]
	v_fmac_f64_e32 v[28:29], v[42:43], v[58:59]
	v_fmac_f64_e32 v[12:13], v[44:45], v[58:59]
	v_fma_f64 v[34:35], -v[56:57], v[60:61], v[34:35]
	v_fmac_f64_e32 v[10:11], v[54:55], v[60:61]
	v_fma_f64 v[32:33], -v[52:53], v[60:61], v[32:33]
	v_fmac_f64_e32 v[14:15], v[50:51], v[60:61]
	v_fma_f64 v[30:31], -v[48:49], v[60:61], v[30:31]
	v_fmac_f64_e32 v[16:17], v[46:47], v[60:61]
	v_fma_f64 v[28:29], -v[44:45], v[60:61], v[28:29]
	v_fmac_f64_e32 v[12:13], v[42:43], v[60:61]
	s_wait_loadcnt 0xa
	v_fmac_f64_e32 v[34:35], v[74:75], v[78:79]
	v_fmac_f64_e32 v[10:11], v[76:77], v[78:79]
	v_fmac_f64_e32 v[32:33], v[70:71], v[78:79]
	v_fmac_f64_e32 v[14:15], v[72:73], v[78:79]
	v_fmac_f64_e32 v[30:31], v[66:67], v[78:79]
	v_fmac_f64_e32 v[16:17], v[68:69], v[78:79]
	v_fmac_f64_e32 v[28:29], v[62:63], v[78:79]
	v_fmac_f64_e32 v[12:13], v[64:65], v[78:79]
	v_fma_f64 v[34:35], -v[76:77], v[80:81], v[34:35]
	v_fmac_f64_e32 v[10:11], v[74:75], v[80:81]
	v_fma_f64 v[32:33], -v[72:73], v[80:81], v[32:33]
	v_fmac_f64_e32 v[14:15], v[70:71], v[80:81]
	v_fma_f64 v[30:31], -v[68:69], v[80:81], v[30:31]
	v_fmac_f64_e32 v[16:17], v[66:67], v[80:81]
	v_fma_f64 v[28:29], -v[64:65], v[80:81], v[28:29]
	v_fmac_f64_e32 v[12:13], v[62:63], v[80:81]
	;; [unrolled: 17-line block ×3, first 2 shown]
	s_wait_loadcnt 0x3
	v_fmac_f64_e32 v[34:35], v[106:107], v[102:103]
	v_fmac_f64_e32 v[10:11], v[108:109], v[102:103]
	s_wait_loadcnt 0x2
	v_fmac_f64_e32 v[32:33], v[110:111], v[102:103]
	v_fmac_f64_e32 v[14:15], v[112:113], v[102:103]
	;; [unrolled: 3-line block ×4, first 2 shown]
	v_fma_f64 v[34:35], -v[108:109], v[104:105], v[34:35]
	v_fmac_f64_e32 v[10:11], v[106:107], v[104:105]
	v_fma_f64 v[32:33], -v[112:113], v[104:105], v[32:33]
	v_fmac_f64_e32 v[14:15], v[110:111], v[104:105]
	;; [unrolled: 2-line block ×4, first 2 shown]
	s_and_not1_b32 exec_lo, exec_lo, s6
	s_cbranch_execnz .LBB58_29
; %bb.30:
	s_or_b32 exec_lo, exec_lo, s6
.LBB58_31:
	s_delay_alu instid0(SALU_CYCLE_1) | instskip(NEXT) | instid1(SALU_CYCLE_1)
	s_or_b32 exec_lo, exec_lo, s2
	s_mov_b32 s2, exec_lo
	v_cmpx_lt_u64_e32 0x5f, v[36:37]
	s_cbranch_execz .LBB58_35
; %bb.32:
	v_lshl_add_u64 v[36:37], v[20:21], 3, s[8:9]
	s_mov_b32 s6, 0
	s_delay_alu instid0(VALU_DEP_1)
	v_add_nc_u64_e32 v[36:37], 0x200, v[36:37]
.LBB58_33:                              ; =>This Inner Loop Header: Depth=1
	global_load_b64 v[134:135], v[36:37], off offset:-512
	s_clause 0xf
	global_load_b128 v[38:41], v[24:25], off offset:48
	global_load_b128 v[42:45], v[24:25], off offset:32
	;; [unrolled: 1-line block ×3, first 2 shown]
	global_load_b128 v[50:53], v[24:25], off
	global_load_b128 v[54:57], v[24:25], off offset:112
	global_load_b128 v[58:61], v[24:25], off offset:96
	;; [unrolled: 1-line block ×12, first 2 shown]
	s_clause 0x2
	global_load_b64 v[142:143], v[36:37], off offset:-256
	global_load_b64 v[144:145], v[36:37], off
	global_load_b64 v[146:147], v[36:37], off offset:256
	s_clause 0x7
	global_load_b128 v[102:105], v[24:25], off offset:8240
	global_load_b128 v[106:109], v[24:25], off offset:8224
	;; [unrolled: 1-line block ×8, first 2 shown]
	v_add_nc_u64_e32 v[20:21], 0x80, v[20:21]
	s_wait_xcnt 0x8
	v_add_nc_u64_e32 v[36:37], 0x400, v[36:37]
	s_delay_alu instid0(VALU_DEP_2) | instskip(SKIP_3) | instid1(VALU_DEP_1)
	v_cmp_ge_i64_e32 vcc_lo, v[20:21], v[22:23]
	s_or_b32 s6, vcc_lo, s6
	s_wait_loadcnt 0x1b
	v_sub_nc_u64_e32 v[134:135], v[134:135], v[18:19]
	v_lshlrev_b64_e32 v[134:135], 6, v[134:135]
	s_wait_kmcnt 0x0
	s_delay_alu instid0(VALU_DEP_1)
	v_add_nc_u64_e32 v[148:149], s[4:5], v[134:135]
	s_clause 0x1
	global_load_b128 v[134:137], v[148:149], off
	global_load_b128 v[138:141], v[148:149], off offset:16
	s_wait_loadcnt 0xc
	v_sub_nc_u64_e32 v[142:143], v[142:143], v[18:19]
	s_wait_loadcnt 0xb
	v_sub_nc_u64_e32 v[144:145], v[144:145], v[18:19]
	s_wait_loadcnt 0xa
	v_sub_nc_u64_e32 v[146:147], v[146:147], v[18:19]
	s_delay_alu instid0(VALU_DEP_3) | instskip(NEXT) | instid1(VALU_DEP_3)
	v_lshlrev_b64_e32 v[142:143], 6, v[142:143]
	v_lshlrev_b64_e32 v[144:145], 6, v[144:145]
	s_delay_alu instid0(VALU_DEP_2) | instskip(NEXT) | instid1(VALU_DEP_2)
	v_add_nc_u64_e32 v[142:143], s[4:5], v[142:143]
	v_add_nc_u64_e32 v[144:145], s[4:5], v[144:145]
	s_wait_loadcnt 0x1
	v_fmac_f64_e32 v[34:35], v[50:51], v[134:135]
	v_fmac_f64_e32 v[10:11], v[52:53], v[134:135]
	;; [unrolled: 1-line block ×8, first 2 shown]
	v_fma_f64 v[150:151], -v[52:53], v[136:137], v[34:35]
	v_fmac_f64_e32 v[10:11], v[50:51], v[136:137]
	v_fma_f64 v[152:153], -v[48:49], v[136:137], v[32:33]
	v_fmac_f64_e32 v[14:15], v[46:47], v[136:137]
	;; [unrolled: 2-line block ×4, first 2 shown]
	s_clause 0x5
	global_load_b128 v[50:53], v[24:25], off offset:8368
	global_load_b128 v[32:35], v[24:25], off offset:8352
	;; [unrolled: 1-line block ×6, first 2 shown]
	s_wait_loadcnt 0x6
	v_fmac_f64_e32 v[150:151], v[66:67], v[138:139]
	v_fmac_f64_e32 v[10:11], v[68:69], v[138:139]
	;; [unrolled: 1-line block ×8, first 2 shown]
	v_fma_f64 v[150:151], -v[68:69], v[140:141], v[150:151]
	v_fmac_f64_e32 v[10:11], v[66:67], v[140:141]
	v_fma_f64 v[152:153], -v[64:65], v[140:141], v[152:153]
	v_fmac_f64_e32 v[14:15], v[62:63], v[140:141]
	global_load_b128 v[62:65], v[24:25], off offset:8400
	v_fma_f64 v[154:155], -v[60:61], v[140:141], v[154:155]
	v_fmac_f64_e32 v[16:17], v[58:59], v[140:141]
	global_load_b128 v[58:61], v[24:25], off offset:8384
	;; [unrolled: 3-line block ×3, first 2 shown]
	s_clause 0x1
	global_load_b128 v[66:69], v[148:149], off offset:32
	global_load_b128 v[134:137], v[148:149], off offset:48
	s_wait_loadcnt 0x1
	v_fmac_f64_e32 v[150:151], v[82:83], v[66:67]
	v_fmac_f64_e32 v[10:11], v[84:85], v[66:67]
	;; [unrolled: 1-line block ×8, first 2 shown]
	v_fma_f64 v[140:141], -v[84:85], v[68:69], v[150:151]
	v_fmac_f64_e32 v[10:11], v[82:83], v[68:69]
	s_wait_xcnt 0x0
	v_fma_f64 v[148:149], -v[80:81], v[68:69], v[152:153]
	v_fmac_f64_e32 v[14:15], v[78:79], v[68:69]
	v_fma_f64 v[150:151], -v[76:77], v[68:69], v[154:155]
	v_fmac_f64_e32 v[16:17], v[74:75], v[68:69]
	;; [unrolled: 2-line block ×3, first 2 shown]
	s_clause 0x4
	global_load_b128 v[82:85], v[24:25], off offset:16416
	global_load_b128 v[78:81], v[24:25], off offset:16400
	;; [unrolled: 1-line block ×5, first 2 shown]
	s_wait_loadcnt 0x5
	v_fmac_f64_e32 v[140:141], v[98:99], v[134:135]
	v_fmac_f64_e32 v[10:11], v[100:101], v[134:135]
	;; [unrolled: 1-line block ×8, first 2 shown]
	v_fma_f64 v[140:141], -v[100:101], v[136:137], v[140:141]
	v_fmac_f64_e32 v[10:11], v[98:99], v[136:137]
	global_load_b128 v[98:101], v[24:25], off offset:16464
	v_fma_f64 v[148:149], -v[96:97], v[136:137], v[148:149]
	v_fmac_f64_e32 v[14:15], v[94:95], v[136:137]
	global_load_b128 v[94:97], v[24:25], off offset:16448
	;; [unrolled: 3-line block ×3, first 2 shown]
	v_fma_f64 v[138:139], -v[88:89], v[136:137], v[138:139]
	v_fmac_f64_e32 v[12:13], v[86:87], v[136:137]
	s_clause 0x1
	global_load_b128 v[86:89], v[142:143], off
	global_load_b128 v[134:137], v[142:143], off offset:16
	s_wait_loadcnt 0x1
	v_fmac_f64_e32 v[140:141], v[114:115], v[86:87]
	v_fmac_f64_e32 v[10:11], v[116:117], v[86:87]
	;; [unrolled: 1-line block ×8, first 2 shown]
	v_fma_f64 v[140:141], -v[116:117], v[88:89], v[140:141]
	v_fmac_f64_e32 v[10:11], v[114:115], v[88:89]
	v_fma_f64 v[148:149], -v[112:113], v[88:89], v[148:149]
	v_fmac_f64_e32 v[14:15], v[110:111], v[88:89]
	;; [unrolled: 2-line block ×4, first 2 shown]
	s_clause 0x4
	global_load_b128 v[114:117], v[24:25], off offset:16544
	global_load_b128 v[110:113], v[24:25], off offset:16528
	;; [unrolled: 1-line block ×5, first 2 shown]
	s_wait_loadcnt 0x5
	v_fmac_f64_e32 v[140:141], v[130:131], v[134:135]
	v_fmac_f64_e32 v[10:11], v[132:133], v[134:135]
	;; [unrolled: 1-line block ×8, first 2 shown]
	v_fma_f64 v[140:141], -v[132:133], v[136:137], v[140:141]
	v_fmac_f64_e32 v[10:11], v[130:131], v[136:137]
	global_load_b128 v[130:133], v[24:25], off offset:16592
	v_fma_f64 v[148:149], -v[128:129], v[136:137], v[148:149]
	v_fmac_f64_e32 v[14:15], v[126:127], v[136:137]
	global_load_b128 v[126:129], v[24:25], off offset:16576
	;; [unrolled: 3-line block ×3, first 2 shown]
	v_fma_f64 v[138:139], -v[120:121], v[136:137], v[138:139]
	v_fmac_f64_e32 v[12:13], v[118:119], v[136:137]
	s_clause 0x1
	global_load_b128 v[118:121], v[142:143], off offset:32
	global_load_b128 v[134:137], v[142:143], off offset:48
	s_wait_loadcnt 0x1
	v_fmac_f64_e32 v[140:141], v[28:29], v[118:119]
	v_fmac_f64_e32 v[10:11], v[30:31], v[118:119]
	;; [unrolled: 1-line block ×8, first 2 shown]
	v_fma_f64 v[140:141], -v[30:31], v[120:121], v[140:141]
	v_fmac_f64_e32 v[10:11], v[28:29], v[120:121]
	s_wait_xcnt 0x0
	v_fma_f64 v[142:143], -v[44:45], v[120:121], v[148:149]
	v_fmac_f64_e32 v[14:15], v[42:43], v[120:121]
	v_fma_f64 v[148:149], -v[34:35], v[120:121], v[150:151]
	v_fmac_f64_e32 v[16:17], v[32:33], v[120:121]
	;; [unrolled: 2-line block ×3, first 2 shown]
	s_clause 0x4
	global_load_b128 v[28:31], v[24:25], off offset:24608
	global_load_b128 v[42:45], v[24:25], off offset:24592
	;; [unrolled: 1-line block ×5, first 2 shown]
	s_wait_loadcnt 0x5
	v_fmac_f64_e32 v[140:141], v[58:59], v[134:135]
	v_fmac_f64_e32 v[10:11], v[60:61], v[134:135]
	v_fmac_f64_e32 v[142:143], v[62:63], v[134:135]
	v_fmac_f64_e32 v[14:15], v[64:65], v[134:135]
	v_fmac_f64_e32 v[148:149], v[46:47], v[134:135]
	v_fmac_f64_e32 v[16:17], v[48:49], v[134:135]
	v_fmac_f64_e32 v[138:139], v[38:39], v[134:135]
	v_fmac_f64_e32 v[12:13], v[40:41], v[134:135]
	v_fma_f64 v[140:141], -v[60:61], v[136:137], v[140:141]
	v_fmac_f64_e32 v[10:11], v[58:59], v[136:137]
	global_load_b128 v[58:61], v[24:25], off offset:24656
	v_fma_f64 v[142:143], -v[64:65], v[136:137], v[142:143]
	v_fmac_f64_e32 v[14:15], v[62:63], v[136:137]
	global_load_b128 v[62:65], v[24:25], off offset:24640
	v_fma_f64 v[148:149], -v[48:49], v[136:137], v[148:149]
	v_fmac_f64_e32 v[16:17], v[46:47], v[136:137]
	global_load_b128 v[46:49], v[24:25], off offset:24752
	v_fma_f64 v[150:151], -v[40:41], v[136:137], v[138:139]
	v_fmac_f64_e32 v[12:13], v[38:39], v[136:137]
	s_clause 0x1
	global_load_b128 v[38:41], v[144:145], off
	global_load_b128 v[134:137], v[144:145], off offset:16
	s_wait_loadcnt 0x1
	v_fmac_f64_e32 v[140:141], v[74:75], v[38:39]
	v_fmac_f64_e32 v[10:11], v[76:77], v[38:39]
	;; [unrolled: 1-line block ×8, first 2 shown]
	v_fma_f64 v[152:153], -v[76:77], v[40:41], v[140:141]
	v_fmac_f64_e32 v[10:11], v[74:75], v[40:41]
	s_clause 0x1
	global_load_b128 v[74:77], v[144:145], off offset:32
	global_load_b128 v[138:141], v[144:145], off offset:48
	s_wait_xcnt 0x0
	v_lshlrev_b64_e32 v[144:145], 6, v[146:147]
	v_fma_f64 v[142:143], -v[80:81], v[40:41], v[142:143]
	v_fmac_f64_e32 v[14:15], v[78:79], v[40:41]
	global_load_b128 v[78:81], v[24:25], off offset:24736
	v_fma_f64 v[148:149], -v[84:85], v[40:41], v[148:149]
	v_fmac_f64_e32 v[16:17], v[82:83], v[40:41]
	global_load_b128 v[82:85], v[24:25], off offset:24720
	v_add_nc_u64_e32 v[144:145], s[4:5], v[144:145]
	v_fma_f64 v[146:147], -v[56:57], v[40:41], v[150:151]
	v_fmac_f64_e32 v[12:13], v[54:55], v[40:41]
	s_clause 0x1
	global_load_b128 v[38:41], v[144:145], off offset:16
	global_load_b128 v[54:57], v[144:145], off
	s_wait_loadcnt 0x6
	v_fmac_f64_e32 v[152:153], v[94:95], v[134:135]
	v_fmac_f64_e32 v[10:11], v[96:97], v[134:135]
	;; [unrolled: 1-line block ×8, first 2 shown]
	v_fma_f64 v[150:151], -v[96:97], v[136:137], v[152:153]
	v_fmac_f64_e32 v[10:11], v[94:95], v[136:137]
	global_load_b128 v[94:97], v[24:25], off offset:24704
	v_fma_f64 v[142:143], -v[100:101], v[136:137], v[142:143]
	v_fmac_f64_e32 v[14:15], v[98:99], v[136:137]
	global_load_b128 v[98:101], v[24:25], off offset:24784
	;; [unrolled: 3-line block ×3, first 2 shown]
	v_fma_f64 v[146:147], -v[68:69], v[136:137], v[146:147]
	v_fmac_f64_e32 v[12:13], v[66:67], v[136:137]
	s_clause 0x1
	global_load_b128 v[66:69], v[144:145], off offset:48
	global_load_b128 v[134:137], v[144:145], off offset:32
	s_wait_loadcnt 0xa
	v_fmac_f64_e32 v[150:151], v[106:107], v[74:75]
	v_fmac_f64_e32 v[10:11], v[108:109], v[74:75]
	;; [unrolled: 1-line block ×8, first 2 shown]
	s_wait_xcnt 0x0
	v_fma_f64 v[144:145], -v[108:109], v[76:77], v[150:151]
	v_fmac_f64_e32 v[10:11], v[106:107], v[76:77]
	global_load_b128 v[106:109], v[24:25], off offset:24800
	v_fma_f64 v[142:143], -v[112:113], v[76:77], v[142:143]
	v_fmac_f64_e32 v[14:15], v[110:111], v[76:77]
	global_load_b128 v[110:113], v[24:25], off offset:24816
	v_fma_f64 v[74:75], -v[116:117], v[76:77], v[148:149]
	v_fmac_f64_e32 v[16:17], v[114:115], v[76:77]
	v_fma_f64 v[92:93], -v[92:93], v[76:77], v[146:147]
	v_fmac_f64_e32 v[12:13], v[90:91], v[76:77]
	s_wait_xcnt 0x0
	v_add_nc_u64_e32 v[24:25], 0x8000, v[24:25]
	s_wait_loadcnt 0xb
	v_fmac_f64_e32 v[144:145], v[126:127], v[138:139]
	v_fmac_f64_e32 v[10:11], v[128:129], v[138:139]
	;; [unrolled: 1-line block ×8, first 2 shown]
	v_fma_f64 v[76:77], -v[128:129], v[140:141], v[144:145]
	v_fmac_f64_e32 v[10:11], v[126:127], v[140:141]
	v_fma_f64 v[90:91], -v[132:133], v[140:141], v[142:143]
	v_fmac_f64_e32 v[14:15], v[130:131], v[140:141]
	;; [unrolled: 2-line block ×4, first 2 shown]
	s_wait_loadcnt 0x7
	v_fmac_f64_e32 v[76:77], v[32:33], v[54:55]
	v_fmac_f64_e32 v[10:11], v[34:35], v[54:55]
	;; [unrolled: 1-line block ×8, first 2 shown]
	v_fma_f64 v[34:35], -v[34:35], v[56:57], v[76:77]
	v_fmac_f64_e32 v[10:11], v[32:33], v[56:57]
	v_fma_f64 v[32:33], -v[44:45], v[56:57], v[90:91]
	v_fmac_f64_e32 v[14:15], v[42:43], v[56:57]
	;; [unrolled: 2-line block ×4, first 2 shown]
	v_fmac_f64_e32 v[34:35], v[62:63], v[38:39]
	v_fmac_f64_e32 v[10:11], v[64:65], v[38:39]
	;; [unrolled: 1-line block ×8, first 2 shown]
	v_fma_f64 v[34:35], -v[64:65], v[40:41], v[34:35]
	v_fmac_f64_e32 v[10:11], v[62:63], v[40:41]
	v_fma_f64 v[32:33], -v[60:61], v[40:41], v[32:33]
	v_fmac_f64_e32 v[14:15], v[58:59], v[40:41]
	;; [unrolled: 2-line block ×4, first 2 shown]
	s_wait_loadcnt 0x2
	v_fmac_f64_e32 v[34:35], v[94:95], v[134:135]
	v_fmac_f64_e32 v[10:11], v[96:97], v[134:135]
	;; [unrolled: 1-line block ×8, first 2 shown]
	v_fma_f64 v[34:35], -v[96:97], v[136:137], v[34:35]
	v_fmac_f64_e32 v[10:11], v[94:95], v[136:137]
	v_fma_f64 v[32:33], -v[84:85], v[136:137], v[32:33]
	v_fmac_f64_e32 v[14:15], v[82:83], v[136:137]
	;; [unrolled: 2-line block ×4, first 2 shown]
	v_fmac_f64_e32 v[34:35], v[70:71], v[66:67]
	v_fmac_f64_e32 v[10:11], v[72:73], v[66:67]
	;; [unrolled: 1-line block ×4, first 2 shown]
	s_delay_alu instid0(VALU_DEP_4) | instskip(NEXT) | instid1(VALU_DEP_4)
	v_fma_f64 v[34:35], -v[72:73], v[68:69], v[34:35]
	v_fmac_f64_e32 v[10:11], v[70:71], v[68:69]
	s_wait_loadcnt 0x1
	v_fmac_f64_e32 v[30:31], v[106:107], v[66:67]
	v_fmac_f64_e32 v[16:17], v[108:109], v[66:67]
	v_fma_f64 v[32:33], -v[100:101], v[68:69], v[32:33]
	s_wait_loadcnt 0x0
	v_fmac_f64_e32 v[28:29], v[110:111], v[66:67]
	v_fmac_f64_e32 v[12:13], v[112:113], v[66:67]
	;; [unrolled: 1-line block ×3, first 2 shown]
	v_fma_f64 v[30:31], -v[108:109], v[68:69], v[30:31]
	v_fmac_f64_e32 v[16:17], v[106:107], v[68:69]
	v_fma_f64 v[28:29], -v[112:113], v[68:69], v[28:29]
	v_fmac_f64_e32 v[12:13], v[110:111], v[68:69]
	s_and_not1_b32 exec_lo, exec_lo, s6
	s_cbranch_execnz .LBB58_33
; %bb.34:
	s_or_b32 exec_lo, exec_lo, s6
.LBB58_35:
	s_delay_alu instid0(SALU_CYCLE_1)
	s_or_b32 exec_lo, exec_lo, s2
.LBB58_36:
	s_delay_alu instid0(SALU_CYCLE_1)
	s_or_b32 exec_lo, exec_lo, s3
.LBB58_37:
	v_mbcnt_lo_u32_b32 v1, -1, 0
	s_delay_alu instid0(VALU_DEP_1) | instskip(NEXT) | instid1(VALU_DEP_1)
	v_xor_b32_e32 v18, 16, v1
	v_cmp_gt_i32_e32 vcc_lo, 32, v18
	v_cndmask_b32_e32 v18, v1, v18, vcc_lo
	s_delay_alu instid0(VALU_DEP_1)
	v_lshlrev_b32_e32 v43, 2, v18
	ds_bpermute_b32 v24, v43, v14
	ds_bpermute_b32 v25, v43, v15
	s_wait_dscnt 0x0
	v_add_f64_e32 v[14:15], v[14:15], v[24:25]
	ds_bpermute_b32 v18, v43, v34
	ds_bpermute_b32 v19, v43, v35
	;; [unrolled: 1-line block ×14, first 2 shown]
	s_wait_dscnt 0xc
	v_add_f64_e32 v[18:19], v[34:35], v[18:19]
	s_wait_dscnt 0xa
	v_add_f64_e32 v[10:11], v[10:11], v[20:21]
	;; [unrolled: 2-line block ×3, first 2 shown]
	s_wait_dscnt 0x6
	v_dual_add_f64 v[20:21], v[32:33], v[22:23] :: v_dual_bitop2_b32 v28, 8, v1 bitop3:0x14
	s_wait_dscnt 0x4
	v_add_f64_e32 v[22:23], v[30:31], v[36:37]
	s_delay_alu instid0(VALU_DEP_2) | instskip(SKIP_3) | instid1(VALU_DEP_1)
	v_cmp_gt_i32_e32 vcc_lo, 32, v28
	s_wait_dscnt 0x0
	v_add_f64_e32 v[12:13], v[12:13], v[42:43]
	v_cndmask_b32_e32 v28, v1, v28, vcc_lo
	v_dual_add_f64 v[16:17], v[16:17], v[38:39] :: v_dual_lshlrev_b32 v43, 2, v28
	ds_bpermute_b32 v34, v43, v14
	ds_bpermute_b32 v35, v43, v15
	;; [unrolled: 1-line block ×14, first 2 shown]
	s_wait_dscnt 0xa
	v_add_f64_e32 v[18:19], v[18:19], v[28:29]
	s_wait_dscnt 0x8
	v_dual_add_f64 v[10:11], v[10:11], v[30:31] :: v_dual_bitop2_b32 v28, 4, v1 bitop3:0x14
	ds_bpermute_b32 v42, v43, v12
	ds_bpermute_b32 v43, v43, v13
	v_cmp_gt_i32_e32 vcc_lo, 32, v28
	v_add_f64_e32 v[14:15], v[14:15], v[34:35]
	s_wait_dscnt 0x6
	v_add_f64_e32 v[20:21], v[20:21], v[32:33]
	v_cndmask_b32_e32 v28, v1, v28, vcc_lo
	s_wait_dscnt 0x2
	v_add_f64_e32 v[16:17], v[16:17], v[38:39]
	s_wait_dscnt 0x0
	s_delay_alu instid0(VALU_DEP_2)
	v_dual_add_f64 v[12:13], v[12:13], v[42:43] :: v_dual_lshlrev_b32 v43, 2, v28
	ds_bpermute_b32 v28, v43, v18
	ds_bpermute_b32 v29, v43, v19
	;; [unrolled: 1-line block ×10, first 2 shown]
	s_wait_dscnt 0x8
	v_add_f64_e32 v[18:19], v[18:19], v[28:29]
	s_wait_dscnt 0x6
	v_dual_add_f64 v[28:29], v[10:11], v[30:31] :: v_dual_bitop2_b32 v10, 2, v1 bitop3:0x14
	ds_bpermute_b32 v42, v43, v12
	v_cmp_gt_i32_e32 vcc_lo, 32, v10
	s_wait_dscnt 0x4
	v_add_f64_e32 v[20:21], v[20:21], v[32:33]
	s_wait_dscnt 0x3
	v_add_f64_e32 v[14:15], v[14:15], v[34:35]
	v_dual_add_f64 v[22:23], v[22:23], v[36:37] :: v_dual_cndmask_b32 v10, v1, v10, vcc_lo
	s_wait_dscnt 0x1
	v_add_f64_e32 v[16:17], v[16:17], v[38:39]
	s_delay_alu instid0(VALU_DEP_2)
	v_dual_add_f64 v[24:25], v[24:25], v[40:41] :: v_dual_lshlrev_b32 v30, 2, v10
	ds_bpermute_b32 v10, v30, v18
	ds_bpermute_b32 v11, v30, v19
	ds_bpermute_b32 v36, v43, v22
	ds_bpermute_b32 v37, v43, v23
	ds_bpermute_b32 v40, v43, v24
	ds_bpermute_b32 v41, v43, v25
	ds_bpermute_b32 v43, v43, v13
	s_wait_dscnt 0x5
	v_add_f64_e32 v[10:11], v[18:19], v[10:11]
	s_wait_dscnt 0x3
	v_add_f64_e32 v[22:23], v[22:23], v[36:37]
	ds_bpermute_b32 v36, v30, v14
	ds_bpermute_b32 v37, v30, v15
	s_wait_dscnt 0x3
	v_add_f64_e32 v[32:33], v[24:25], v[40:41]
	s_wait_dscnt 0x2
	v_add_f64_e32 v[34:35], v[12:13], v[42:43]
	ds_bpermute_b32 v12, v30, v28
	ds_bpermute_b32 v13, v30, v29
	;; [unrolled: 1-line block ×12, first 2 shown]
	s_wait_dscnt 0xa
	v_add_f64_e32 v[30:31], v[28:29], v[12:13]
	s_wait_dscnt 0x8
	v_add_f64_e32 v[12:13], v[20:21], v[24:25]
	v_add_f64_e32 v[24:25], v[14:15], v[36:37]
	s_wait_dscnt 0x6
	v_add_f64_e32 v[20:21], v[16:17], v[40:41]
	s_wait_dscnt 0x4
	v_dual_add_f64 v[14:15], v[22:23], v[38:39] :: v_dual_bitop2_b32 v22, 1, v1 bitop3:0x14
	s_wait_dscnt 0x2
	v_add_f64_e32 v[16:17], v[32:33], v[42:43]
	s_delay_alu instid0(VALU_DEP_2) | instskip(SKIP_3) | instid1(VALU_DEP_2)
	v_cmp_gt_i32_e32 vcc_lo, 32, v22
	s_wait_dscnt 0x0
	v_dual_add_f64 v[18:19], v[34:35], v[44:45] :: v_dual_cndmask_b32 v1, v1, v22, vcc_lo
	v_cmp_eq_u32_e32 vcc_lo, 31, v0
	v_lshlrev_b32_e32 v1, 2, v1
	ds_bpermute_b32 v22, v1, v10
	ds_bpermute_b32 v23, v1, v11
	ds_bpermute_b32 v42, v1, v30
	ds_bpermute_b32 v43, v1, v31
	ds_bpermute_b32 v28, v1, v12
	ds_bpermute_b32 v29, v1, v13
	ds_bpermute_b32 v40, v1, v24
	ds_bpermute_b32 v41, v1, v25
	ds_bpermute_b32 v38, v1, v20
	ds_bpermute_b32 v39, v1, v21
	ds_bpermute_b32 v32, v1, v14
	ds_bpermute_b32 v33, v1, v15
	ds_bpermute_b32 v34, v1, v16
	ds_bpermute_b32 v35, v1, v17
	ds_bpermute_b32 v36, v1, v18
	ds_bpermute_b32 v37, v1, v19
	s_and_b32 exec_lo, exec_lo, vcc_lo
	s_cbranch_execz .LBB58_8
; %bb.38:
	s_wait_dscnt 0xc
	v_add_f64_e32 v[0:1], v[30:31], v[42:43]
	s_wait_dscnt 0x8
	v_add_f64_e32 v[30:31], v[24:25], v[40:41]
	;; [unrolled: 2-line block ×4, first 2 shown]
	v_add_f64_e32 v[40:41], v[10:11], v[22:23]
	v_add_f64_e32 v[28:29], v[12:13], v[28:29]
	;; [unrolled: 1-line block ×4, first 2 shown]
	v_cmp_eq_f64_e32 vcc_lo, 0, v[2:3]
	v_cmp_eq_f64_e64 s2, 0, v[4:5]
	s_load_b64 s[0:1], s[0:1], 0x68
	v_mul_f64_e64 v[22:23], v[0:1], -v[8:9]
	v_mul_f64_e32 v[24:25], v[6:7], v[0:1]
	v_mul_f64_e64 v[18:19], v[30:31], -v[8:9]
	v_mul_f64_e32 v[20:21], v[6:7], v[30:31]
	;; [unrolled: 2-line block ×4, first 2 shown]
	v_lshlrev_b64_e32 v[0:1], 6, v[26:27]
	s_and_b32 s2, vcc_lo, s2
	v_fmac_f64_e32 v[22:23], v[6:7], v[40:41]
	v_fmac_f64_e32 v[24:25], v[8:9], v[40:41]
	;; [unrolled: 1-line block ×8, first 2 shown]
	s_and_saveexec_b32 s3, s2
	s_delay_alu instid0(SALU_CYCLE_1)
	s_xor_b32 s2, exec_lo, s3
	s_cbranch_execz .LBB58_40
; %bb.39:
	s_wait_kmcnt 0x0
	v_add_nc_u64_e32 v[0:1], s[0:1], v[0:1]
                                        ; implicit-def: $vgpr4_vgpr5
	s_clause 0x3
	global_store_b128 v[0:1], v[22:25], off
	global_store_b128 v[0:1], v[18:21], off offset:16
	global_store_b128 v[0:1], v[14:17], off offset:32
	;; [unrolled: 1-line block ×3, first 2 shown]
                                        ; implicit-def: $vgpr22_vgpr23
                                        ; implicit-def: $vgpr0_vgpr1
                                        ; implicit-def: $vgpr18_vgpr19
                                        ; implicit-def: $vgpr14_vgpr15
                                        ; implicit-def: $vgpr10_vgpr11
.LBB58_40:
	s_wait_xcnt 0x0
	s_and_not1_saveexec_b32 s2, s2
	s_cbranch_execz .LBB58_8
; %bb.41:
	s_wait_kmcnt 0x0
	v_add_nc_u64_e32 v[0:1], s[0:1], v[0:1]
	s_clause 0x3
	global_load_b128 v[6:9], v[0:1], off
	global_load_b128 v[26:29], v[0:1], off offset:16
	global_load_b128 v[30:33], v[0:1], off offset:32
	;; [unrolled: 1-line block ×3, first 2 shown]
	s_wait_loadcnt 0x3
	v_fmac_f64_e32 v[22:23], v[2:3], v[6:7]
	v_fmac_f64_e32 v[24:25], v[4:5], v[6:7]
	s_wait_loadcnt 0x2
	v_fmac_f64_e32 v[18:19], v[2:3], v[26:27]
	v_fmac_f64_e32 v[20:21], v[4:5], v[26:27]
	;; [unrolled: 3-line block ×4, first 2 shown]
	v_fma_f64 v[22:23], -v[4:5], v[8:9], v[22:23]
	v_fmac_f64_e32 v[24:25], v[2:3], v[8:9]
	v_fma_f64 v[18:19], -v[4:5], v[28:29], v[18:19]
	v_fmac_f64_e32 v[20:21], v[2:3], v[28:29]
	;; [unrolled: 2-line block ×4, first 2 shown]
	s_clause 0x3
	global_store_b128 v[0:1], v[22:25], off
	global_store_b128 v[0:1], v[18:21], off offset:16
	global_store_b128 v[0:1], v[14:17], off offset:32
	;; [unrolled: 1-line block ×3, first 2 shown]
	s_sendmsg sendmsg(MSG_DEALLOC_VGPRS)
	s_endpgm
	.section	.rodata,"a",@progbits
	.p2align	6, 0x0
	.amdhsa_kernel _ZN9rocsparseL18bsrxmvn_4x4_kernelILj128ELj32E21rocsparse_complex_numIdEllS2_S2_S2_EEvT3_20rocsparse_direction_NS_24const_host_device_scalarIT1_EES3_PKS3_PKT2_SC_S9_PKT4_PKT5_S7_PT6_21rocsparse_index_base_b
		.amdhsa_group_segment_fixed_size 0
		.amdhsa_private_segment_fixed_size 0
		.amdhsa_kernarg_size 120
		.amdhsa_user_sgpr_count 2
		.amdhsa_user_sgpr_dispatch_ptr 0
		.amdhsa_user_sgpr_queue_ptr 0
		.amdhsa_user_sgpr_kernarg_segment_ptr 1
		.amdhsa_user_sgpr_dispatch_id 0
		.amdhsa_user_sgpr_kernarg_preload_length 0
		.amdhsa_user_sgpr_kernarg_preload_offset 0
		.amdhsa_user_sgpr_private_segment_size 0
		.amdhsa_wavefront_size32 1
		.amdhsa_uses_dynamic_stack 0
		.amdhsa_enable_private_segment 0
		.amdhsa_system_sgpr_workgroup_id_x 1
		.amdhsa_system_sgpr_workgroup_id_y 0
		.amdhsa_system_sgpr_workgroup_id_z 0
		.amdhsa_system_sgpr_workgroup_info 0
		.amdhsa_system_vgpr_workitem_id 0
		.amdhsa_next_free_vgpr 178
		.amdhsa_next_free_sgpr 12
		.amdhsa_named_barrier_count 0
		.amdhsa_reserve_vcc 1
		.amdhsa_float_round_mode_32 0
		.amdhsa_float_round_mode_16_64 0
		.amdhsa_float_denorm_mode_32 3
		.amdhsa_float_denorm_mode_16_64 3
		.amdhsa_fp16_overflow 0
		.amdhsa_memory_ordered 1
		.amdhsa_forward_progress 1
		.amdhsa_inst_pref_size 72
		.amdhsa_round_robin_scheduling 0
		.amdhsa_exception_fp_ieee_invalid_op 0
		.amdhsa_exception_fp_denorm_src 0
		.amdhsa_exception_fp_ieee_div_zero 0
		.amdhsa_exception_fp_ieee_overflow 0
		.amdhsa_exception_fp_ieee_underflow 0
		.amdhsa_exception_fp_ieee_inexact 0
		.amdhsa_exception_int_div_zero 0
	.end_amdhsa_kernel
	.section	.text._ZN9rocsparseL18bsrxmvn_4x4_kernelILj128ELj32E21rocsparse_complex_numIdEllS2_S2_S2_EEvT3_20rocsparse_direction_NS_24const_host_device_scalarIT1_EES3_PKS3_PKT2_SC_S9_PKT4_PKT5_S7_PT6_21rocsparse_index_base_b,"axG",@progbits,_ZN9rocsparseL18bsrxmvn_4x4_kernelILj128ELj32E21rocsparse_complex_numIdEllS2_S2_S2_EEvT3_20rocsparse_direction_NS_24const_host_device_scalarIT1_EES3_PKS3_PKT2_SC_S9_PKT4_PKT5_S7_PT6_21rocsparse_index_base_b,comdat
.Lfunc_end58:
	.size	_ZN9rocsparseL18bsrxmvn_4x4_kernelILj128ELj32E21rocsparse_complex_numIdEllS2_S2_S2_EEvT3_20rocsparse_direction_NS_24const_host_device_scalarIT1_EES3_PKS3_PKT2_SC_S9_PKT4_PKT5_S7_PT6_21rocsparse_index_base_b, .Lfunc_end58-_ZN9rocsparseL18bsrxmvn_4x4_kernelILj128ELj32E21rocsparse_complex_numIdEllS2_S2_S2_EEvT3_20rocsparse_direction_NS_24const_host_device_scalarIT1_EES3_PKS3_PKT2_SC_S9_PKT4_PKT5_S7_PT6_21rocsparse_index_base_b
                                        ; -- End function
	.set _ZN9rocsparseL18bsrxmvn_4x4_kernelILj128ELj32E21rocsparse_complex_numIdEllS2_S2_S2_EEvT3_20rocsparse_direction_NS_24const_host_device_scalarIT1_EES3_PKS3_PKT2_SC_S9_PKT4_PKT5_S7_PT6_21rocsparse_index_base_b.num_vgpr, 178
	.set _ZN9rocsparseL18bsrxmvn_4x4_kernelILj128ELj32E21rocsparse_complex_numIdEllS2_S2_S2_EEvT3_20rocsparse_direction_NS_24const_host_device_scalarIT1_EES3_PKS3_PKT2_SC_S9_PKT4_PKT5_S7_PT6_21rocsparse_index_base_b.num_agpr, 0
	.set _ZN9rocsparseL18bsrxmvn_4x4_kernelILj128ELj32E21rocsparse_complex_numIdEllS2_S2_S2_EEvT3_20rocsparse_direction_NS_24const_host_device_scalarIT1_EES3_PKS3_PKT2_SC_S9_PKT4_PKT5_S7_PT6_21rocsparse_index_base_b.numbered_sgpr, 12
	.set _ZN9rocsparseL18bsrxmvn_4x4_kernelILj128ELj32E21rocsparse_complex_numIdEllS2_S2_S2_EEvT3_20rocsparse_direction_NS_24const_host_device_scalarIT1_EES3_PKS3_PKT2_SC_S9_PKT4_PKT5_S7_PT6_21rocsparse_index_base_b.num_named_barrier, 0
	.set _ZN9rocsparseL18bsrxmvn_4x4_kernelILj128ELj32E21rocsparse_complex_numIdEllS2_S2_S2_EEvT3_20rocsparse_direction_NS_24const_host_device_scalarIT1_EES3_PKS3_PKT2_SC_S9_PKT4_PKT5_S7_PT6_21rocsparse_index_base_b.private_seg_size, 0
	.set _ZN9rocsparseL18bsrxmvn_4x4_kernelILj128ELj32E21rocsparse_complex_numIdEllS2_S2_S2_EEvT3_20rocsparse_direction_NS_24const_host_device_scalarIT1_EES3_PKS3_PKT2_SC_S9_PKT4_PKT5_S7_PT6_21rocsparse_index_base_b.uses_vcc, 1
	.set _ZN9rocsparseL18bsrxmvn_4x4_kernelILj128ELj32E21rocsparse_complex_numIdEllS2_S2_S2_EEvT3_20rocsparse_direction_NS_24const_host_device_scalarIT1_EES3_PKS3_PKT2_SC_S9_PKT4_PKT5_S7_PT6_21rocsparse_index_base_b.uses_flat_scratch, 0
	.set _ZN9rocsparseL18bsrxmvn_4x4_kernelILj128ELj32E21rocsparse_complex_numIdEllS2_S2_S2_EEvT3_20rocsparse_direction_NS_24const_host_device_scalarIT1_EES3_PKS3_PKT2_SC_S9_PKT4_PKT5_S7_PT6_21rocsparse_index_base_b.has_dyn_sized_stack, 0
	.set _ZN9rocsparseL18bsrxmvn_4x4_kernelILj128ELj32E21rocsparse_complex_numIdEllS2_S2_S2_EEvT3_20rocsparse_direction_NS_24const_host_device_scalarIT1_EES3_PKS3_PKT2_SC_S9_PKT4_PKT5_S7_PT6_21rocsparse_index_base_b.has_recursion, 0
	.set _ZN9rocsparseL18bsrxmvn_4x4_kernelILj128ELj32E21rocsparse_complex_numIdEllS2_S2_S2_EEvT3_20rocsparse_direction_NS_24const_host_device_scalarIT1_EES3_PKS3_PKT2_SC_S9_PKT4_PKT5_S7_PT6_21rocsparse_index_base_b.has_indirect_call, 0
	.section	.AMDGPU.csdata,"",@progbits
; Kernel info:
; codeLenInByte = 9156
; TotalNumSgprs: 14
; NumVgprs: 178
; ScratchSize: 0
; MemoryBound: 1
; FloatMode: 240
; IeeeMode: 1
; LDSByteSize: 0 bytes/workgroup (compile time only)
; SGPRBlocks: 0
; VGPRBlocks: 11
; NumSGPRsForWavesPerEU: 14
; NumVGPRsForWavesPerEU: 178
; NamedBarCnt: 0
; Occupancy: 5
; WaveLimiterHint : 1
; COMPUTE_PGM_RSRC2:SCRATCH_EN: 0
; COMPUTE_PGM_RSRC2:USER_SGPR: 2
; COMPUTE_PGM_RSRC2:TRAP_HANDLER: 0
; COMPUTE_PGM_RSRC2:TGID_X_EN: 1
; COMPUTE_PGM_RSRC2:TGID_Y_EN: 0
; COMPUTE_PGM_RSRC2:TGID_Z_EN: 0
; COMPUTE_PGM_RSRC2:TIDIG_COMP_CNT: 0
	.section	.text._ZN9rocsparseL18bsrxmvn_4x4_kernelILj128ELj64E21rocsparse_complex_numIdEllS2_S2_S2_EEvT3_20rocsparse_direction_NS_24const_host_device_scalarIT1_EES3_PKS3_PKT2_SC_S9_PKT4_PKT5_S7_PT6_21rocsparse_index_base_b,"axG",@progbits,_ZN9rocsparseL18bsrxmvn_4x4_kernelILj128ELj64E21rocsparse_complex_numIdEllS2_S2_S2_EEvT3_20rocsparse_direction_NS_24const_host_device_scalarIT1_EES3_PKS3_PKT2_SC_S9_PKT4_PKT5_S7_PT6_21rocsparse_index_base_b,comdat
	.globl	_ZN9rocsparseL18bsrxmvn_4x4_kernelILj128ELj64E21rocsparse_complex_numIdEllS2_S2_S2_EEvT3_20rocsparse_direction_NS_24const_host_device_scalarIT1_EES3_PKS3_PKT2_SC_S9_PKT4_PKT5_S7_PT6_21rocsparse_index_base_b ; -- Begin function _ZN9rocsparseL18bsrxmvn_4x4_kernelILj128ELj64E21rocsparse_complex_numIdEllS2_S2_S2_EEvT3_20rocsparse_direction_NS_24const_host_device_scalarIT1_EES3_PKS3_PKT2_SC_S9_PKT4_PKT5_S7_PT6_21rocsparse_index_base_b
	.p2align	8
	.type	_ZN9rocsparseL18bsrxmvn_4x4_kernelILj128ELj64E21rocsparse_complex_numIdEllS2_S2_S2_EEvT3_20rocsparse_direction_NS_24const_host_device_scalarIT1_EES3_PKS3_PKT2_SC_S9_PKT4_PKT5_S7_PT6_21rocsparse_index_base_b,@function
_ZN9rocsparseL18bsrxmvn_4x4_kernelILj128ELj64E21rocsparse_complex_numIdEllS2_S2_S2_EEvT3_20rocsparse_direction_NS_24const_host_device_scalarIT1_EES3_PKS3_PKT2_SC_S9_PKT4_PKT5_S7_PT6_21rocsparse_index_base_b: ; @_ZN9rocsparseL18bsrxmvn_4x4_kernelILj128ELj64E21rocsparse_complex_numIdEllS2_S2_S2_EEvT3_20rocsparse_direction_NS_24const_host_device_scalarIT1_EES3_PKS3_PKT2_SC_S9_PKT4_PKT5_S7_PT6_21rocsparse_index_base_b
; %bb.0:
	s_clause 0x1
	s_load_b64 s[4:5], s[0:1], 0x70
	s_load_b64 s[2:3], s[0:1], 0x10
	v_mov_b32_e32 v1, 0
	s_add_nc_u64 s[6:7], s[0:1], 16
	s_load_b64 s[8:9], s[0:1], 0x58
	s_wait_kmcnt 0x0
	s_bitcmp1_b32 s5, 0
	s_cselect_b32 s3, s7, s3
	s_cselect_b32 s2, s6, s2
	flat_load_b128 v[6:9], v1, s[2:3]
	s_wait_xcnt 0x0
	s_add_nc_u64 s[2:3], s[0:1], 0x58
	s_delay_alu instid0(SALU_CYCLE_1)
	s_cselect_b32 s3, s3, s9
	s_cselect_b32 s2, s2, s8
	flat_load_b128 v[2:5], v1, s[2:3]
	s_wait_loadcnt_dscnt 0x101
	v_cmp_eq_f64_e32 vcc_lo, 0, v[6:7]
	s_wait_xcnt 0x0
	v_cmp_eq_f64_e64 s2, 0, v[8:9]
	s_and_b32 s5, vcc_lo, s2
	s_mov_b32 s2, -1
	s_and_saveexec_b32 s3, s5
	s_cbranch_execz .LBB59_2
; %bb.1:
	s_wait_loadcnt_dscnt 0x0
	v_cmp_neq_f64_e32 vcc_lo, 1.0, v[2:3]
	v_cmp_neq_f64_e64 s2, 0, v[4:5]
	s_or_b32 s2, vcc_lo, s2
	s_delay_alu instid0(SALU_CYCLE_1)
	s_or_not1_b32 s2, s2, exec_lo
.LBB59_2:
	s_or_b32 exec_lo, exec_lo, s3
	s_and_saveexec_b32 s3, s2
	s_cbranch_execz .LBB59_8
; %bb.3:
	s_load_b64 s[2:3], s[0:1], 0x28
	s_bfe_u32 s5, ttmp6, 0x4000c
	s_and_b32 s6, ttmp6, 15
	s_add_co_i32 s5, s5, 1
	s_getreg_b32 s7, hwreg(HW_REG_IB_STS2, 6, 4)
	s_mul_i32 s5, ttmp9, s5
	v_dual_lshrrev_b32 v1, 6, v0 :: v_dual_mov_b32 v11, 0
	s_add_co_i32 s6, s6, s5
	s_cmp_eq_u32 s7, 0
	s_cselect_b32 s5, ttmp9, s6
	s_mov_b32 s6, 0
	v_lshl_or_b32 v10, s5, 1, v1
	s_wait_kmcnt 0x0
	s_cmp_lg_u64 s[2:3], 0
	s_cbranch_scc0 .LBB59_9
; %bb.4:
	s_load_b64 s[6:7], s[0:1], 0x20
                                        ; implicit-def: $vgpr26_vgpr27
                                        ; implicit-def: $vgpr18_vgpr19
	s_wait_kmcnt 0x0
	v_cmp_gt_i64_e32 vcc_lo, s[6:7], v[10:11]
	s_mov_b32 s7, 0
	s_mov_b32 s6, 0
	s_and_saveexec_b32 s5, vcc_lo
	s_delay_alu instid0(SALU_CYCLE_1)
	s_xor_b32 s8, exec_lo, s5
	s_cbranch_execz .LBB59_6
; %bb.5:
	v_lshl_add_u64 v[12:13], v[10:11], 3, s[2:3]
	s_mov_b32 s5, 0
	s_mov_b32 s6, exec_lo
	v_mov_b64_e32 v[18:19], s[4:5]
	global_load_b64 v[12:13], v[12:13], off
	s_wait_loadcnt 0x0
	v_sub_nc_u64_e64 v[26:27], v[12:13], s[4:5]
.LBB59_6:
	s_or_b32 exec_lo, exec_lo, s8
	s_delay_alu instid0(SALU_CYCLE_1)
	s_and_b32 vcc_lo, exec_lo, s7
	s_cbranch_vccnz .LBB59_10
.LBB59_7:
	s_and_b32 exec_lo, exec_lo, s6
	s_cbranch_execnz .LBB59_13
.LBB59_8:
	s_sendmsg sendmsg(MSG_DEALLOC_VGPRS)
	s_endpgm
.LBB59_9:
                                        ; implicit-def: $vgpr26_vgpr27
                                        ; implicit-def: $vgpr18_vgpr19
	s_cbranch_execz .LBB59_7
.LBB59_10:
	s_load_b64 s[2:3], s[0:1], 0x0
	s_wait_kmcnt 0x0
	v_cmp_gt_i64_e32 vcc_lo, s[2:3], v[10:11]
	s_and_saveexec_b32 s2, vcc_lo
; %bb.11:
	s_mov_b32 s5, 0
	s_or_b32 s6, s6, exec_lo
; %bb.12:
	s_or_b32 exec_lo, exec_lo, s2
	v_mov_b64_e32 v[18:19], s[4:5]
	v_mov_b64_e32 v[26:27], v[10:11]
	s_and_b32 exec_lo, exec_lo, s6
	s_cbranch_execz .LBB59_8
.LBB59_13:
	s_load_b256 s[4:11], s[0:1], 0x30
	s_delay_alu instid0(VALU_DEP_1) | instskip(SKIP_3) | instid1(VALU_DEP_2)
	v_lshlrev_b64_e32 v[10:11], 3, v[26:27]
	v_dual_mov_b32 v1, 0 :: v_dual_bitop2_b32 v0, 63, v0 bitop3:0x40
	s_load_b32 s3, s[0:1], 0x8
	s_wait_kmcnt 0x0
	v_add_nc_u64_e32 v[12:13], s[4:5], v[10:11]
	v_add_nc_u64_e32 v[10:11], s[6:7], v[10:11]
	s_cmp_eq_u64 s[6:7], 0
	s_load_b64 s[4:5], s[0:1], 0x50
	s_cselect_b32 vcc_lo, -1, 0
	s_cmp_eq_u32 s3, 1
	global_load_b64 v[36:37], v[12:13], off
	s_wait_xcnt 0x0
	v_add_nc_u64_e32 v[12:13], 8, v[12:13]
	s_delay_alu instid0(VALU_DEP_1) | instskip(SKIP_3) | instid1(VALU_DEP_1)
	v_dual_cndmask_b32 v11, v11, v13 :: v_dual_cndmask_b32 v10, v10, v12
	global_load_b64 v[10:11], v[10:11], off
	s_wait_loadcnt 0x1
	v_sub_nc_u64_e32 v[12:13], v[36:37], v[18:19]
	v_add_nc_u64_e32 v[20:21], v[12:13], v[0:1]
	s_wait_loadcnt 0x0
	v_sub_nc_u64_e32 v[22:23], v[10:11], v[18:19]
	s_delay_alu instid0(VALU_DEP_2) | instskip(NEXT) | instid1(VALU_DEP_2)
	v_lshlrev_b64_e32 v[12:13], 8, v[20:21]
	v_cmp_lt_i64_e64 s2, v[20:21], v[22:23]
	s_delay_alu instid0(VALU_DEP_2)
	v_add_nc_u64_e32 v[24:25], s[10:11], v[12:13]
	s_cbranch_scc1 .LBB59_25
; %bb.14:
	v_mov_b64_e32 v[10:11], 0
	v_mov_b64_e32 v[34:35], 0
	;; [unrolled: 1-line block ×8, first 2 shown]
	s_and_saveexec_b32 s3, s2
	s_cbranch_execz .LBB59_24
; %bb.15:
	v_dual_mov_b32 v11, v1 :: v_dual_bitop2_b32 v10, 64, v0 bitop3:0x54
	v_sub_nc_u64_e32 v[12:13], v[18:19], v[0:1]
	v_not_b32_e32 v15, v37
	v_not_b32_e32 v14, v36
	v_mov_b64_e32 v[32:33], 0
	v_sub_nc_u64_e32 v[10:11], v[10:11], v[18:19]
	v_mov_b64_e32 v[16:17], 0
	v_mov_b64_e32 v[30:31], 0
	v_add_nc_u64_e32 v[12:13], v[12:13], v[14:15]
	v_mov_b64_e32 v[14:15], 0
	v_mov_b64_e32 v[28:29], 0
	;; [unrolled: 1-line block ×3, first 2 shown]
	v_add_nc_u64_e32 v[10:11], v[10:11], v[36:37]
	v_mov_b64_e32 v[38:39], v[24:25]
	v_mov_b64_e32 v[40:41], v[20:21]
	v_mov_b32_e32 v47, 0
	s_mov_b32 s6, exec_lo
	s_delay_alu instid0(VALU_DEP_4) | instskip(NEXT) | instid1(VALU_DEP_1)
	v_max_i64 v[10:11], v[10:11], v[22:23]
	v_add_nc_u64_e32 v[42:43], v[12:13], v[10:11]
	v_mov_b64_e32 v[12:13], 0
	v_mov_b64_e32 v[10:11], 0
	s_delay_alu instid0(VALU_DEP_3) | instskip(NEXT) | instid1(VALU_DEP_1)
	v_and_b32_e32 v46, 0xc0, v42
	v_cmpx_ne_u64_e32 0xc0, v[46:47]
	s_cbranch_execz .LBB59_19
; %bb.16:
	v_lshrrev_b32_e32 v10, 6, v42
	v_mov_b64_e32 v[34:35], 0
	v_mov_b64_e32 v[28:29], 0
	;; [unrolled: 1-line block ×4, first 2 shown]
	v_add_nc_u32_e32 v12, 1, v10
	v_mov_b64_e32 v[10:11], 0
	v_mov_b64_e32 v[32:33], 0
	;; [unrolled: 1-line block ×4, first 2 shown]
	v_and_b32_e32 v46, 3, v12
	v_mov_b64_e32 v[12:13], 0
	v_mov_b64_e32 v[38:39], v[24:25]
	v_lshl_add_u64 v[44:45], v[20:21], 3, s[8:9]
	s_mov_b32 s7, 0
	v_sub_nc_u64_e32 v[46:47], 0, v[46:47]
.LBB59_17:                              ; =>This Inner Loop Header: Depth=1
	global_load_b64 v[76:77], v[44:45], off
	s_clause 0x6
	global_load_b128 v[48:51], v[38:39], off offset:16
	global_load_b128 v[52:55], v[38:39], off
	global_load_b128 v[56:59], v[38:39], off offset:80
	global_load_b128 v[60:63], v[38:39], off offset:64
	;; [unrolled: 1-line block ×5, first 2 shown]
	v_add_nc_u64_e32 v[46:47], 1, v[46:47]
	v_add_nc_u64_e32 v[40:41], 64, v[40:41]
	s_wait_xcnt 0x7
	v_add_nc_u64_e32 v[44:45], 0x200, v[44:45]
	s_delay_alu instid0(VALU_DEP_3) | instskip(SKIP_3) | instid1(VALU_DEP_1)
	v_cmp_eq_u64_e32 vcc_lo, 0, v[46:47]
	s_or_b32 s7, vcc_lo, s7
	s_wait_loadcnt 0x7
	v_sub_nc_u64_e32 v[76:77], v[76:77], v[18:19]
	v_lshlrev_b64_e32 v[76:77], 6, v[76:77]
	s_wait_kmcnt 0x0
	s_delay_alu instid0(VALU_DEP_1)
	v_add_nc_u64_e32 v[128:129], s[4:5], v[76:77]
	global_load_b128 v[76:79], v[128:129], off
	global_load_b128 v[80:83], v[38:39], off offset:208
	global_load_b128 v[84:87], v[128:129], off offset:16
	s_clause 0x6
	global_load_b128 v[88:91], v[38:39], off offset:48
	global_load_b128 v[92:95], v[38:39], off offset:32
	;; [unrolled: 1-line block ×10, first 2 shown]
	s_wait_xcnt 0x1
	v_add_nc_u64_e32 v[38:39], 0x4000, v[38:39]
	s_wait_loadcnt 0xc
	v_fmac_f64_e32 v[34:35], v[52:53], v[76:77]
	v_fmac_f64_e32 v[10:11], v[54:55], v[76:77]
	v_fmac_f64_e32 v[32:33], v[60:61], v[76:77]
	v_fmac_f64_e32 v[14:15], v[62:63], v[76:77]
	v_fmac_f64_e32 v[30:31], v[68:69], v[76:77]
	v_fmac_f64_e32 v[16:17], v[70:71], v[76:77]
	v_fmac_f64_e32 v[28:29], v[72:73], v[76:77]
	v_fmac_f64_e32 v[12:13], v[74:75], v[76:77]
	v_fma_f64 v[34:35], -v[54:55], v[78:79], v[34:35]
	v_fmac_f64_e32 v[10:11], v[52:53], v[78:79]
	v_fma_f64 v[32:33], -v[62:63], v[78:79], v[32:33]
	v_fmac_f64_e32 v[14:15], v[60:61], v[78:79]
	v_fma_f64 v[30:31], -v[70:71], v[78:79], v[30:31]
	v_fmac_f64_e32 v[16:17], v[68:69], v[78:79]
	v_fma_f64 v[28:29], -v[74:75], v[78:79], v[28:29]
	v_fmac_f64_e32 v[12:13], v[72:73], v[78:79]
	s_wait_loadcnt 0xa
	v_fmac_f64_e32 v[34:35], v[48:49], v[84:85]
	v_fmac_f64_e32 v[10:11], v[50:51], v[84:85]
	v_fmac_f64_e32 v[32:33], v[56:57], v[84:85]
	v_fmac_f64_e32 v[14:15], v[58:59], v[84:85]
	v_fmac_f64_e32 v[30:31], v[64:65], v[84:85]
	v_fmac_f64_e32 v[16:17], v[66:67], v[84:85]
	v_fmac_f64_e32 v[28:29], v[80:81], v[84:85]
	v_fmac_f64_e32 v[12:13], v[82:83], v[84:85]
	v_fma_f64 v[34:35], -v[50:51], v[86:87], v[34:35]
	v_fmac_f64_e32 v[10:11], v[48:49], v[86:87]
	v_fma_f64 v[32:33], -v[58:59], v[86:87], v[32:33]
	v_fmac_f64_e32 v[14:15], v[56:57], v[86:87]
	v_fma_f64 v[30:31], -v[66:67], v[86:87], v[30:31]
	v_fmac_f64_e32 v[16:17], v[64:65], v[86:87]
	v_fma_f64 v[28:29], -v[82:83], v[86:87], v[28:29]
	v_fmac_f64_e32 v[12:13], v[80:81], v[86:87]
	;; [unrolled: 17-line block ×4, first 2 shown]
	s_and_not1_b32 exec_lo, exec_lo, s7
	s_cbranch_execnz .LBB59_17
; %bb.18:
	s_or_b32 exec_lo, exec_lo, s7
.LBB59_19:
	s_delay_alu instid0(SALU_CYCLE_1) | instskip(NEXT) | instid1(SALU_CYCLE_1)
	s_or_b32 exec_lo, exec_lo, s6
	s_mov_b32 s6, exec_lo
	v_cmpx_lt_u64_e32 0xbf, v[42:43]
	s_cbranch_execz .LBB59_23
; %bb.20:
	v_lshl_add_u64 v[42:43], v[40:41], 3, s[8:9]
	s_mov_b32 s7, 0
	s_delay_alu instid0(VALU_DEP_1)
	v_add_nc_u64_e32 v[42:43], 0x400, v[42:43]
.LBB59_21:                              ; =>This Inner Loop Header: Depth=1
	global_load_b64 v[156:157], v[42:43], off offset:-1024
	s_clause 0x13
	global_load_b128 v[44:47], v[38:39], off offset:48
	global_load_b128 v[48:51], v[38:39], off offset:32
	;; [unrolled: 1-line block ×3, first 2 shown]
	global_load_b128 v[56:59], v[38:39], off
	global_load_b128 v[60:63], v[38:39], off offset:112
	global_load_b128 v[64:67], v[38:39], off offset:96
	;; [unrolled: 1-line block ×16, first 2 shown]
	s_clause 0x2
	global_load_b64 v[164:165], v[42:43], off offset:-512
	global_load_b64 v[166:167], v[42:43], off
	global_load_b64 v[168:169], v[42:43], off offset:512
	s_clause 0x7
	global_load_b128 v[124:127], v[38:39], off offset:16496
	global_load_b128 v[128:131], v[38:39], off offset:16480
	;; [unrolled: 1-line block ×8, first 2 shown]
	v_add_nc_u64_e32 v[40:41], 0x100, v[40:41]
	s_wait_xcnt 0x8
	v_add_nc_u64_e32 v[42:43], 0x800, v[42:43]
	s_delay_alu instid0(VALU_DEP_2) | instskip(SKIP_3) | instid1(VALU_DEP_1)
	v_cmp_ge_i64_e32 vcc_lo, v[40:41], v[22:23]
	s_or_b32 s7, vcc_lo, s7
	s_wait_loadcnt 0x1f
	v_sub_nc_u64_e32 v[156:157], v[156:157], v[18:19]
	v_lshlrev_b64_e32 v[156:157], 6, v[156:157]
	s_wait_kmcnt 0x0
	s_delay_alu instid0(VALU_DEP_1)
	v_add_nc_u64_e32 v[170:171], s[4:5], v[156:157]
	s_clause 0x1
	global_load_b128 v[156:159], v[170:171], off
	global_load_b128 v[160:163], v[170:171], off offset:16
	s_wait_loadcnt 0xc
	v_sub_nc_u64_e32 v[164:165], v[164:165], v[18:19]
	s_delay_alu instid0(VALU_DEP_1) | instskip(NEXT) | instid1(VALU_DEP_1)
	v_lshlrev_b64_e32 v[164:165], 6, v[164:165]
	v_add_nc_u64_e32 v[164:165], s[4:5], v[164:165]
	s_wait_loadcnt 0x1
	v_fmac_f64_e32 v[34:35], v[56:57], v[156:157]
	v_fmac_f64_e32 v[10:11], v[58:59], v[156:157]
	;; [unrolled: 1-line block ×8, first 2 shown]
	v_fma_f64 v[172:173], -v[58:59], v[158:159], v[34:35]
	v_fmac_f64_e32 v[10:11], v[56:57], v[158:159]
	v_fma_f64 v[174:175], -v[74:75], v[158:159], v[32:33]
	v_fmac_f64_e32 v[14:15], v[72:73], v[158:159]
	;; [unrolled: 2-line block ×4, first 2 shown]
	s_clause 0x4
	global_load_b128 v[56:59], v[38:39], off offset:16624
	global_load_b128 v[32:35], v[38:39], off offset:16608
	;; [unrolled: 1-line block ×5, first 2 shown]
	s_wait_loadcnt 0x5
	v_fmac_f64_e32 v[172:173], v[52:53], v[160:161]
	v_fmac_f64_e32 v[10:11], v[54:55], v[160:161]
	;; [unrolled: 1-line block ×8, first 2 shown]
	v_fma_f64 v[172:173], -v[54:55], v[162:163], v[172:173]
	v_fmac_f64_e32 v[10:11], v[52:53], v[162:163]
	global_load_b128 v[52:55], v[38:39], off offset:32800
	v_fma_f64 v[174:175], -v[70:71], v[162:163], v[174:175]
	v_fmac_f64_e32 v[14:15], v[68:69], v[162:163]
	global_load_b128 v[68:71], v[38:39], off offset:32784
	;; [unrolled: 3-line block ×4, first 2 shown]
	s_clause 0x1
	global_load_b128 v[104:107], v[170:171], off offset:32
	global_load_b128 v[156:159], v[170:171], off offset:48
	s_wait_loadcnt 0x1
	v_fmac_f64_e32 v[172:173], v[48:49], v[104:105]
	v_fmac_f64_e32 v[10:11], v[50:51], v[104:105]
	;; [unrolled: 1-line block ×8, first 2 shown]
	v_fma_f64 v[162:163], -v[50:51], v[106:107], v[172:173]
	v_fmac_f64_e32 v[10:11], v[48:49], v[106:107]
	s_wait_xcnt 0x0
	v_fma_f64 v[170:171], -v[66:67], v[106:107], v[174:175]
	v_fmac_f64_e32 v[14:15], v[64:65], v[106:107]
	v_fma_f64 v[172:173], -v[82:83], v[106:107], v[176:177]
	v_fmac_f64_e32 v[16:17], v[80:81], v[106:107]
	v_fma_f64 v[160:161], -v[98:99], v[106:107], v[160:161]
	v_fmac_f64_e32 v[12:13], v[96:97], v[106:107]
	s_clause 0x4
	global_load_b128 v[48:51], v[38:39], off offset:32864
	global_load_b128 v[64:67], v[38:39], off offset:32848
	;; [unrolled: 1-line block ×5, first 2 shown]
	s_wait_loadcnt 0x5
	v_fmac_f64_e32 v[162:163], v[44:45], v[156:157]
	v_fmac_f64_e32 v[10:11], v[46:47], v[156:157]
	;; [unrolled: 1-line block ×8, first 2 shown]
	v_fma_f64 v[162:163], -v[46:47], v[158:159], v[162:163]
	v_fmac_f64_e32 v[10:11], v[44:45], v[158:159]
	global_load_b128 v[44:47], v[38:39], off offset:32912
	v_fma_f64 v[170:171], -v[62:63], v[158:159], v[170:171]
	v_fmac_f64_e32 v[14:15], v[60:61], v[158:159]
	global_load_b128 v[60:63], v[38:39], off offset:32896
	;; [unrolled: 3-line block ×3, first 2 shown]
	v_fma_f64 v[160:161], -v[94:95], v[158:159], v[160:161]
	v_fmac_f64_e32 v[12:13], v[92:93], v[158:159]
	s_clause 0x1
	global_load_b128 v[92:95], v[164:165], off
	global_load_b128 v[156:159], v[164:165], off offset:16
	s_wait_loadcnt 0x1
	v_fmac_f64_e32 v[170:171], v[136:137], v[92:93]
	v_fmac_f64_e32 v[14:15], v[138:139], v[92:93]
	;; [unrolled: 1-line block ×8, first 2 shown]
	v_fma_f64 v[170:171], -v[138:139], v[94:95], v[170:171]
	v_fmac_f64_e32 v[14:15], v[136:137], v[94:95]
	v_fma_f64 v[162:163], -v[122:123], v[94:95], v[162:163]
	v_fmac_f64_e32 v[10:11], v[120:121], v[94:95]
	s_clause 0x1
	global_load_b128 v[120:123], v[38:39], off offset:32992
	global_load_b128 v[136:139], v[38:39], off offset:32976
	v_fma_f64 v[172:173], -v[154:155], v[94:95], v[172:173]
	v_fmac_f64_e32 v[16:17], v[152:153], v[94:95]
	global_load_b128 v[152:155], v[38:39], off offset:32960
	v_fma_f64 v[160:161], -v[30:31], v[94:95], v[160:161]
	v_fmac_f64_e32 v[12:13], v[28:29], v[94:95]
	s_clause 0x1
	global_load_b128 v[28:31], v[38:39], off offset:49168
	global_load_b128 v[92:95], v[38:39], off offset:49152
	s_wait_loadcnt 0x5
	v_fmac_f64_e32 v[170:171], v[132:133], v[156:157]
	v_fmac_f64_e32 v[14:15], v[134:135], v[156:157]
	;; [unrolled: 1-line block ×8, first 2 shown]
	v_sub_nc_u64_e32 v[156:157], v[166:167], v[18:19]
	s_delay_alu instid0(VALU_DEP_1)
	v_lshlrev_b64_e32 v[156:157], 6, v[156:157]
	v_fma_f64 v[170:171], -v[134:135], v[158:159], v[170:171]
	v_fmac_f64_e32 v[14:15], v[132:133], v[158:159]
	global_load_b128 v[132:135], v[164:165], off offset:32
	v_fma_f64 v[162:163], -v[118:119], v[158:159], v[162:163]
	v_fmac_f64_e32 v[10:11], v[116:117], v[158:159]
	global_load_b128 v[116:119], v[38:39], off offset:49232
	;; [unrolled: 3-line block ×3, first 2 shown]
	s_wait_xcnt 0x0
	v_add_nc_u64_e32 v[164:165], s[4:5], v[156:157]
	v_fma_f64 v[160:161], -v[74:75], v[158:159], v[160:161]
	v_fmac_f64_e32 v[12:13], v[72:73], v[158:159]
	global_load_b128 v[72:75], v[38:39], off offset:49216
	global_load_b128 v[156:159], v[164:165], off
	s_wait_loadcnt 0x4
	v_fmac_f64_e32 v[162:163], v[112:113], v[132:133]
	v_fmac_f64_e32 v[10:11], v[114:115], v[132:133]
	;; [unrolled: 1-line block ×8, first 2 shown]
	v_fma_f64 v[162:163], -v[114:115], v[134:135], v[162:163]
	v_fmac_f64_e32 v[10:11], v[112:113], v[134:135]
	global_load_b128 v[112:115], v[164:165], off offset:16
	v_fma_f64 v[166:167], -v[130:131], v[134:135], v[170:171]
	v_fma_f64 v[170:171], -v[146:147], v[134:135], v[172:173]
	v_fmac_f64_e32 v[16:17], v[144:145], v[134:135]
	global_load_b128 v[144:147], v[164:165], off offset:32
	v_fmac_f64_e32 v[14:15], v[128:129], v[134:135]
	global_load_b128 v[128:131], v[38:39], off offset:49296
	v_fma_f64 v[172:173], -v[34:35], v[134:135], v[160:161]
	v_fmac_f64_e32 v[12:13], v[32:33], v[134:135]
	s_clause 0x1
	global_load_b128 v[32:35], v[38:39], off offset:49280
	global_load_b128 v[132:135], v[38:39], off offset:49360
	s_wait_loadcnt 0x7
	v_fmac_f64_e32 v[162:163], v[108:109], v[148:149]
	v_fmac_f64_e32 v[10:11], v[110:111], v[148:149]
	;; [unrolled: 1-line block ×8, first 2 shown]
	v_fma_f64 v[174:175], -v[110:111], v[150:151], v[162:163]
	v_fmac_f64_e32 v[10:11], v[108:109], v[150:151]
	global_load_b128 v[108:111], v[38:39], off offset:49344
	global_load_b128 v[160:163], v[164:165], off offset:48
	s_wait_xcnt 0x0
	v_sub_nc_u64_e32 v[164:165], v[168:169], v[18:19]
	v_fma_f64 v[166:167], -v[126:127], v[150:151], v[166:167]
	v_fma_f64 v[168:169], -v[142:143], v[150:151], v[170:171]
	v_fmac_f64_e32 v[16:17], v[140:141], v[150:151]
	v_fmac_f64_e32 v[14:15], v[124:125], v[150:151]
	global_load_b128 v[140:143], v[38:39], off offset:49200
	v_fma_f64 v[170:171], -v[58:59], v[150:151], v[172:173]
	v_lshlrev_b64_e32 v[164:165], 6, v[164:165]
	v_fmac_f64_e32 v[12:13], v[56:57], v[150:151]
	s_delay_alu instid0(VALU_DEP_2)
	v_add_nc_u64_e32 v[164:165], s[4:5], v[164:165]
	global_load_b128 v[124:127], v[164:165], off
	global_load_b128 v[56:59], v[38:39], off offset:49184
	global_load_b128 v[148:151], v[164:165], off offset:16
	s_wait_loadcnt 0xb
	v_fmac_f64_e32 v[174:175], v[84:85], v[156:157]
	v_fmac_f64_e32 v[10:11], v[86:87], v[156:157]
	;; [unrolled: 1-line block ×8, first 2 shown]
	v_fma_f64 v[172:173], -v[86:87], v[158:159], v[174:175]
	v_fmac_f64_e32 v[10:11], v[84:85], v[158:159]
	global_load_b128 v[84:87], v[38:39], off offset:49264
	v_fma_f64 v[166:167], -v[82:83], v[158:159], v[166:167]
	v_fma_f64 v[168:169], -v[62:63], v[158:159], v[168:169]
	v_fmac_f64_e32 v[16:17], v[60:61], v[158:159]
	v_fmac_f64_e32 v[14:15], v[80:81], v[158:159]
	global_load_b128 v[80:83], v[38:39], off offset:49248
	v_fma_f64 v[170:171], -v[154:155], v[158:159], v[170:171]
	global_load_b128 v[60:63], v[38:39], off offset:49328
	v_fmac_f64_e32 v[12:13], v[152:153], v[158:159]
	s_clause 0x1
	global_load_b128 v[152:155], v[38:39], off offset:49312
	global_load_b128 v[156:159], v[38:39], off offset:49376
	s_wait_loadcnt 0xf
	v_fmac_f64_e32 v[172:173], v[68:69], v[112:113]
	v_fmac_f64_e32 v[10:11], v[70:71], v[112:113]
	;; [unrolled: 1-line block ×8, first 2 shown]
	v_fma_f64 v[172:173], -v[70:71], v[114:115], v[172:173]
	v_fmac_f64_e32 v[10:11], v[68:69], v[114:115]
	global_load_b128 v[68:71], v[164:165], off offset:32
	v_fma_f64 v[112:113], -v[66:67], v[114:115], v[166:167]
	v_fmac_f64_e32 v[14:15], v[64:65], v[114:115]
	v_fma_f64 v[166:167], -v[46:47], v[114:115], v[168:169]
	v_fmac_f64_e32 v[16:17], v[44:45], v[114:115]
	;; [unrolled: 2-line block ×3, first 2 shown]
	global_load_b128 v[44:47], v[38:39], off offset:49392
	global_load_b128 v[64:67], v[164:165], off offset:48
	s_wait_xcnt 0x1
	v_add_nc_u64_e32 v[38:39], 0x10000, v[38:39]
	s_wait_loadcnt 0x11
	v_fmac_f64_e32 v[172:173], v[52:53], v[144:145]
	v_fmac_f64_e32 v[10:11], v[54:55], v[144:145]
	v_fmac_f64_e32 v[112:113], v[48:49], v[144:145]
	v_fmac_f64_e32 v[14:15], v[50:51], v[144:145]
	v_fmac_f64_e32 v[166:167], v[104:105], v[144:145]
	v_fmac_f64_e32 v[16:17], v[106:107], v[144:145]
	v_fmac_f64_e32 v[138:139], v[120:121], v[144:145]
	v_fmac_f64_e32 v[12:13], v[122:123], v[144:145]
	v_fma_f64 v[54:55], -v[54:55], v[146:147], v[172:173]
	v_fmac_f64_e32 v[10:11], v[52:53], v[146:147]
	v_fma_f64 v[50:51], -v[50:51], v[146:147], v[112:113]
	v_fmac_f64_e32 v[14:15], v[48:49], v[146:147]
	v_fma_f64 v[48:49], -v[106:107], v[146:147], v[166:167]
	v_fmac_f64_e32 v[16:17], v[104:105], v[146:147]
	v_fma_f64 v[52:53], -v[122:123], v[146:147], v[138:139]
	v_fmac_f64_e32 v[12:13], v[120:121], v[146:147]
	s_wait_loadcnt 0xc
	v_fmac_f64_e32 v[54:55], v[88:89], v[160:161]
	v_fmac_f64_e32 v[10:11], v[90:91], v[160:161]
	v_fmac_f64_e32 v[50:51], v[100:101], v[160:161]
	v_fmac_f64_e32 v[14:15], v[102:103], v[160:161]
	v_fmac_f64_e32 v[48:49], v[96:97], v[160:161]
	v_fmac_f64_e32 v[16:17], v[98:99], v[160:161]
	v_fmac_f64_e32 v[52:53], v[76:77], v[160:161]
	v_fmac_f64_e32 v[12:13], v[78:79], v[160:161]
	v_fma_f64 v[54:55], -v[90:91], v[162:163], v[54:55]
	v_fmac_f64_e32 v[10:11], v[88:89], v[162:163]
	v_fma_f64 v[50:51], -v[102:103], v[162:163], v[50:51]
	v_fmac_f64_e32 v[14:15], v[100:101], v[162:163]
	v_fma_f64 v[48:49], -v[98:99], v[162:163], v[48:49]
	v_fmac_f64_e32 v[16:17], v[96:97], v[162:163]
	v_fma_f64 v[52:53], -v[78:79], v[162:163], v[52:53]
	v_fmac_f64_e32 v[12:13], v[76:77], v[162:163]
	;; [unrolled: 17-line block ×6, first 2 shown]
	s_and_not1_b32 exec_lo, exec_lo, s7
	s_cbranch_execnz .LBB59_21
; %bb.22:
	s_or_b32 exec_lo, exec_lo, s7
.LBB59_23:
	s_delay_alu instid0(SALU_CYCLE_1)
	s_or_b32 exec_lo, exec_lo, s6
.LBB59_24:
	s_delay_alu instid0(SALU_CYCLE_1)
	s_or_b32 exec_lo, exec_lo, s3
	s_cbranch_execz .LBB59_26
	s_branch .LBB59_37
.LBB59_25:
                                        ; implicit-def: $vgpr10_vgpr11
                                        ; implicit-def: $vgpr34_vgpr35
                                        ; implicit-def: $vgpr28_vgpr29
                                        ; implicit-def: $vgpr12_vgpr13
                                        ; implicit-def: $vgpr30_vgpr31
                                        ; implicit-def: $vgpr16_vgpr17
                                        ; implicit-def: $vgpr32_vgpr33
                                        ; implicit-def: $vgpr14_vgpr15
.LBB59_26:
	v_mov_b64_e32 v[10:11], 0
	v_mov_b64_e32 v[34:35], 0
	;; [unrolled: 1-line block ×8, first 2 shown]
	s_and_saveexec_b32 s3, s2
	s_cbranch_execz .LBB59_36
; %bb.27:
	v_dual_mov_b32 v11, v1 :: v_dual_bitop2_b32 v10, 64, v0 bitop3:0x54
	v_sub_nc_u64_e32 v[12:13], v[18:19], v[0:1]
	v_not_b32_e32 v15, v37
	v_not_b32_e32 v14, v36
	v_mov_b64_e32 v[32:33], 0
	v_sub_nc_u64_e32 v[10:11], v[10:11], v[18:19]
	v_mov_b64_e32 v[16:17], 0
	v_mov_b64_e32 v[30:31], 0
	v_add_nc_u64_e32 v[12:13], v[12:13], v[14:15]
	v_mov_b64_e32 v[14:15], 0
	v_mov_b64_e32 v[28:29], 0
	;; [unrolled: 1-line block ×3, first 2 shown]
	v_add_nc_u64_e32 v[10:11], v[10:11], v[36:37]
	v_mov_b32_e32 v39, 0
	s_mov_b32 s2, exec_lo
	s_delay_alu instid0(VALU_DEP_2) | instskip(NEXT) | instid1(VALU_DEP_1)
	v_max_i64 v[10:11], v[10:11], v[22:23]
	v_add_nc_u64_e32 v[36:37], v[12:13], v[10:11]
	v_mov_b64_e32 v[12:13], 0
	v_mov_b64_e32 v[10:11], 0
	s_delay_alu instid0(VALU_DEP_3) | instskip(NEXT) | instid1(VALU_DEP_1)
	v_and_b32_e32 v38, 0xc0, v36
	v_cmpx_ne_u64_e32 0xc0, v[38:39]
	s_cbranch_execz .LBB59_31
; %bb.28:
	v_lshrrev_b32_e32 v1, 6, v36
	v_mov_b64_e32 v[10:11], 0
	v_mov_b64_e32 v[34:35], 0
	;; [unrolled: 1-line block ×4, first 2 shown]
	v_add_nc_u32_e32 v1, 1, v1
	v_mov_b64_e32 v[30:31], 0
	v_mov_b64_e32 v[16:17], 0
	;; [unrolled: 1-line block ×4, first 2 shown]
	v_and_b32_e32 v38, 3, v1
	v_lshl_add_u64 v[40:41], v[20:21], 3, s[8:9]
	s_mov_b32 s6, 0
	s_delay_alu instid0(VALU_DEP_2)
	v_sub_nc_u64_e32 v[38:39], 0, v[38:39]
.LBB59_29:                              ; =>This Inner Loop Header: Depth=1
	global_load_b64 v[58:59], v[40:41], off
	s_clause 0x3
	global_load_b128 v[42:45], v[24:25], off offset:48
	global_load_b128 v[46:49], v[24:25], off offset:32
	;; [unrolled: 1-line block ×3, first 2 shown]
	global_load_b128 v[54:57], v[24:25], off
	v_add_nc_u64_e32 v[38:39], 1, v[38:39]
	v_add_nc_u64_e32 v[20:21], 64, v[20:21]
	s_wait_xcnt 0x4
	v_add_nc_u64_e32 v[40:41], 0x200, v[40:41]
	s_delay_alu instid0(VALU_DEP_3) | instskip(SKIP_3) | instid1(VALU_DEP_1)
	v_cmp_eq_u64_e32 vcc_lo, 0, v[38:39]
	s_or_b32 s6, vcc_lo, s6
	s_wait_loadcnt 0x4
	v_sub_nc_u64_e32 v[58:59], v[58:59], v[18:19]
	v_lshlrev_b64_e32 v[58:59], 6, v[58:59]
	s_wait_kmcnt 0x0
	s_delay_alu instid0(VALU_DEP_1)
	v_add_nc_u64_e32 v[118:119], s[4:5], v[58:59]
	global_load_b128 v[58:61], v[118:119], off
	s_clause 0x3
	global_load_b128 v[62:65], v[24:25], off offset:112
	global_load_b128 v[66:69], v[24:25], off offset:96
	;; [unrolled: 1-line block ×5, first 2 shown]
	s_clause 0x3
	global_load_b128 v[82:85], v[24:25], off offset:176
	global_load_b128 v[86:89], v[24:25], off offset:160
	;; [unrolled: 1-line block ×4, first 2 shown]
	s_clause 0x1
	global_load_b128 v[98:101], v[118:119], off offset:32
	global_load_b128 v[102:105], v[118:119], off offset:48
	s_clause 0x3
	global_load_b128 v[106:109], v[24:25], off offset:192
	global_load_b128 v[110:113], v[24:25], off offset:208
	;; [unrolled: 1-line block ×3, first 2 shown]
	; meta instruction
	global_load_b128 v[118:121], v[24:25], off offset:240
	s_wait_xcnt 0x0
	v_add_nc_u64_e32 v[24:25], 0x4000, v[24:25]
	s_wait_loadcnt 0xf
	v_fmac_f64_e32 v[34:35], v[54:55], v[58:59]
	v_fmac_f64_e32 v[10:11], v[56:57], v[58:59]
	v_fmac_f64_e32 v[32:33], v[50:51], v[58:59]
	v_fmac_f64_e32 v[14:15], v[52:53], v[58:59]
	v_fmac_f64_e32 v[30:31], v[46:47], v[58:59]
	v_fmac_f64_e32 v[16:17], v[48:49], v[58:59]
	v_fmac_f64_e32 v[28:29], v[42:43], v[58:59]
	v_fmac_f64_e32 v[12:13], v[44:45], v[58:59]
	v_fma_f64 v[34:35], -v[56:57], v[60:61], v[34:35]
	v_fmac_f64_e32 v[10:11], v[54:55], v[60:61]
	v_fma_f64 v[32:33], -v[52:53], v[60:61], v[32:33]
	v_fmac_f64_e32 v[14:15], v[50:51], v[60:61]
	v_fma_f64 v[30:31], -v[48:49], v[60:61], v[30:31]
	v_fmac_f64_e32 v[16:17], v[46:47], v[60:61]
	v_fma_f64 v[28:29], -v[44:45], v[60:61], v[28:29]
	v_fmac_f64_e32 v[12:13], v[42:43], v[60:61]
	s_wait_loadcnt 0xa
	v_fmac_f64_e32 v[34:35], v[74:75], v[78:79]
	v_fmac_f64_e32 v[10:11], v[76:77], v[78:79]
	v_fmac_f64_e32 v[32:33], v[70:71], v[78:79]
	v_fmac_f64_e32 v[14:15], v[72:73], v[78:79]
	v_fmac_f64_e32 v[30:31], v[66:67], v[78:79]
	v_fmac_f64_e32 v[16:17], v[68:69], v[78:79]
	v_fmac_f64_e32 v[28:29], v[62:63], v[78:79]
	v_fmac_f64_e32 v[12:13], v[64:65], v[78:79]
	v_fma_f64 v[34:35], -v[76:77], v[80:81], v[34:35]
	v_fmac_f64_e32 v[10:11], v[74:75], v[80:81]
	v_fma_f64 v[32:33], -v[72:73], v[80:81], v[32:33]
	v_fmac_f64_e32 v[14:15], v[70:71], v[80:81]
	v_fma_f64 v[30:31], -v[68:69], v[80:81], v[30:31]
	v_fmac_f64_e32 v[16:17], v[66:67], v[80:81]
	v_fma_f64 v[28:29], -v[64:65], v[80:81], v[28:29]
	v_fmac_f64_e32 v[12:13], v[62:63], v[80:81]
	;; [unrolled: 17-line block ×3, first 2 shown]
	s_wait_loadcnt 0x3
	v_fmac_f64_e32 v[34:35], v[106:107], v[102:103]
	v_fmac_f64_e32 v[10:11], v[108:109], v[102:103]
	s_wait_loadcnt 0x2
	v_fmac_f64_e32 v[32:33], v[110:111], v[102:103]
	v_fmac_f64_e32 v[14:15], v[112:113], v[102:103]
	;; [unrolled: 3-line block ×4, first 2 shown]
	v_fma_f64 v[34:35], -v[108:109], v[104:105], v[34:35]
	v_fmac_f64_e32 v[10:11], v[106:107], v[104:105]
	v_fma_f64 v[32:33], -v[112:113], v[104:105], v[32:33]
	v_fmac_f64_e32 v[14:15], v[110:111], v[104:105]
	;; [unrolled: 2-line block ×4, first 2 shown]
	s_and_not1_b32 exec_lo, exec_lo, s6
	s_cbranch_execnz .LBB59_29
; %bb.30:
	s_or_b32 exec_lo, exec_lo, s6
.LBB59_31:
	s_delay_alu instid0(SALU_CYCLE_1) | instskip(NEXT) | instid1(SALU_CYCLE_1)
	s_or_b32 exec_lo, exec_lo, s2
	s_mov_b32 s2, exec_lo
	v_cmpx_lt_u64_e32 0xbf, v[36:37]
	s_cbranch_execz .LBB59_35
; %bb.32:
	v_lshl_add_u64 v[36:37], v[20:21], 3, s[8:9]
	s_mov_b32 s6, 0
	s_delay_alu instid0(VALU_DEP_1)
	v_add_nc_u64_e32 v[36:37], 0x400, v[36:37]
.LBB59_33:                              ; =>This Inner Loop Header: Depth=1
	global_load_b64 v[134:135], v[36:37], off offset:-1024
	s_clause 0xf
	global_load_b128 v[38:41], v[24:25], off offset:48
	global_load_b128 v[42:45], v[24:25], off offset:32
	;; [unrolled: 1-line block ×3, first 2 shown]
	global_load_b128 v[50:53], v[24:25], off
	global_load_b128 v[54:57], v[24:25], off offset:112
	global_load_b128 v[58:61], v[24:25], off offset:96
	;; [unrolled: 1-line block ×12, first 2 shown]
	s_clause 0x2
	global_load_b64 v[142:143], v[36:37], off offset:-512
	global_load_b64 v[144:145], v[36:37], off
	global_load_b64 v[146:147], v[36:37], off offset:512
	s_clause 0x7
	global_load_b128 v[102:105], v[24:25], off offset:16432
	global_load_b128 v[106:109], v[24:25], off offset:16416
	;; [unrolled: 1-line block ×8, first 2 shown]
	v_add_nc_u64_e32 v[20:21], 0x100, v[20:21]
	s_wait_xcnt 0x8
	v_add_nc_u64_e32 v[36:37], 0x800, v[36:37]
	s_delay_alu instid0(VALU_DEP_2) | instskip(SKIP_3) | instid1(VALU_DEP_1)
	v_cmp_ge_i64_e32 vcc_lo, v[20:21], v[22:23]
	s_or_b32 s6, vcc_lo, s6
	s_wait_loadcnt 0x1b
	v_sub_nc_u64_e32 v[134:135], v[134:135], v[18:19]
	v_lshlrev_b64_e32 v[134:135], 6, v[134:135]
	s_wait_kmcnt 0x0
	s_delay_alu instid0(VALU_DEP_1)
	v_add_nc_u64_e32 v[148:149], s[4:5], v[134:135]
	s_clause 0x1
	global_load_b128 v[134:137], v[148:149], off
	global_load_b128 v[138:141], v[148:149], off offset:16
	s_wait_loadcnt 0xc
	v_sub_nc_u64_e32 v[142:143], v[142:143], v[18:19]
	s_wait_loadcnt 0xb
	v_sub_nc_u64_e32 v[144:145], v[144:145], v[18:19]
	;; [unrolled: 2-line block ×3, first 2 shown]
	s_delay_alu instid0(VALU_DEP_3) | instskip(NEXT) | instid1(VALU_DEP_3)
	v_lshlrev_b64_e32 v[142:143], 6, v[142:143]
	v_lshlrev_b64_e32 v[144:145], 6, v[144:145]
	s_delay_alu instid0(VALU_DEP_2) | instskip(NEXT) | instid1(VALU_DEP_2)
	v_add_nc_u64_e32 v[142:143], s[4:5], v[142:143]
	v_add_nc_u64_e32 v[144:145], s[4:5], v[144:145]
	s_wait_loadcnt 0x1
	v_fmac_f64_e32 v[34:35], v[50:51], v[134:135]
	v_fmac_f64_e32 v[10:11], v[52:53], v[134:135]
	;; [unrolled: 1-line block ×8, first 2 shown]
	v_fma_f64 v[150:151], -v[52:53], v[136:137], v[34:35]
	v_fmac_f64_e32 v[10:11], v[50:51], v[136:137]
	v_fma_f64 v[152:153], -v[48:49], v[136:137], v[32:33]
	v_fmac_f64_e32 v[14:15], v[46:47], v[136:137]
	;; [unrolled: 2-line block ×4, first 2 shown]
	s_clause 0x5
	global_load_b128 v[50:53], v[24:25], off offset:16560
	global_load_b128 v[32:35], v[24:25], off offset:16544
	;; [unrolled: 1-line block ×6, first 2 shown]
	s_wait_loadcnt 0x6
	v_fmac_f64_e32 v[150:151], v[66:67], v[138:139]
	v_fmac_f64_e32 v[10:11], v[68:69], v[138:139]
	v_fmac_f64_e32 v[152:153], v[62:63], v[138:139]
	v_fmac_f64_e32 v[14:15], v[64:65], v[138:139]
	v_fmac_f64_e32 v[154:155], v[58:59], v[138:139]
	v_fmac_f64_e32 v[16:17], v[60:61], v[138:139]
	v_fmac_f64_e32 v[134:135], v[54:55], v[138:139]
	v_fmac_f64_e32 v[12:13], v[56:57], v[138:139]
	v_fma_f64 v[150:151], -v[68:69], v[140:141], v[150:151]
	v_fmac_f64_e32 v[10:11], v[66:67], v[140:141]
	v_fma_f64 v[152:153], -v[64:65], v[140:141], v[152:153]
	v_fmac_f64_e32 v[14:15], v[62:63], v[140:141]
	global_load_b128 v[62:65], v[24:25], off offset:16592
	v_fma_f64 v[154:155], -v[60:61], v[140:141], v[154:155]
	v_fmac_f64_e32 v[16:17], v[58:59], v[140:141]
	global_load_b128 v[58:61], v[24:25], off offset:16576
	;; [unrolled: 3-line block ×3, first 2 shown]
	s_clause 0x1
	global_load_b128 v[66:69], v[148:149], off offset:32
	global_load_b128 v[134:137], v[148:149], off offset:48
	s_wait_loadcnt 0x1
	v_fmac_f64_e32 v[150:151], v[82:83], v[66:67]
	v_fmac_f64_e32 v[10:11], v[84:85], v[66:67]
	;; [unrolled: 1-line block ×8, first 2 shown]
	v_fma_f64 v[140:141], -v[84:85], v[68:69], v[150:151]
	v_fmac_f64_e32 v[10:11], v[82:83], v[68:69]
	s_wait_xcnt 0x0
	v_fma_f64 v[148:149], -v[80:81], v[68:69], v[152:153]
	v_fmac_f64_e32 v[14:15], v[78:79], v[68:69]
	v_fma_f64 v[150:151], -v[76:77], v[68:69], v[154:155]
	v_fmac_f64_e32 v[16:17], v[74:75], v[68:69]
	v_fma_f64 v[138:139], -v[72:73], v[68:69], v[138:139]
	v_fmac_f64_e32 v[12:13], v[70:71], v[68:69]
	s_clause 0x4
	global_load_b128 v[82:85], v[24:25], off offset:32800
	global_load_b128 v[78:81], v[24:25], off offset:32784
	;; [unrolled: 1-line block ×5, first 2 shown]
	s_wait_loadcnt 0x5
	v_fmac_f64_e32 v[140:141], v[98:99], v[134:135]
	v_fmac_f64_e32 v[10:11], v[100:101], v[134:135]
	;; [unrolled: 1-line block ×8, first 2 shown]
	v_fma_f64 v[140:141], -v[100:101], v[136:137], v[140:141]
	v_fmac_f64_e32 v[10:11], v[98:99], v[136:137]
	global_load_b128 v[98:101], v[24:25], off offset:32848
	v_fma_f64 v[148:149], -v[96:97], v[136:137], v[148:149]
	v_fmac_f64_e32 v[14:15], v[94:95], v[136:137]
	global_load_b128 v[94:97], v[24:25], off offset:32832
	;; [unrolled: 3-line block ×3, first 2 shown]
	v_fma_f64 v[138:139], -v[88:89], v[136:137], v[138:139]
	v_fmac_f64_e32 v[12:13], v[86:87], v[136:137]
	s_clause 0x1
	global_load_b128 v[86:89], v[142:143], off
	global_load_b128 v[134:137], v[142:143], off offset:16
	s_wait_loadcnt 0x1
	v_fmac_f64_e32 v[140:141], v[114:115], v[86:87]
	v_fmac_f64_e32 v[10:11], v[116:117], v[86:87]
	;; [unrolled: 1-line block ×8, first 2 shown]
	v_fma_f64 v[140:141], -v[116:117], v[88:89], v[140:141]
	v_fmac_f64_e32 v[10:11], v[114:115], v[88:89]
	v_fma_f64 v[148:149], -v[112:113], v[88:89], v[148:149]
	v_fmac_f64_e32 v[14:15], v[110:111], v[88:89]
	;; [unrolled: 2-line block ×4, first 2 shown]
	s_clause 0x4
	global_load_b128 v[114:117], v[24:25], off offset:32928
	global_load_b128 v[110:113], v[24:25], off offset:32912
	;; [unrolled: 1-line block ×5, first 2 shown]
	s_wait_loadcnt 0x5
	v_fmac_f64_e32 v[140:141], v[130:131], v[134:135]
	v_fmac_f64_e32 v[10:11], v[132:133], v[134:135]
	;; [unrolled: 1-line block ×8, first 2 shown]
	v_fma_f64 v[140:141], -v[132:133], v[136:137], v[140:141]
	v_fmac_f64_e32 v[10:11], v[130:131], v[136:137]
	global_load_b128 v[130:133], v[24:25], off offset:32976
	v_fma_f64 v[148:149], -v[128:129], v[136:137], v[148:149]
	v_fmac_f64_e32 v[14:15], v[126:127], v[136:137]
	global_load_b128 v[126:129], v[24:25], off offset:32960
	;; [unrolled: 3-line block ×3, first 2 shown]
	v_fma_f64 v[138:139], -v[120:121], v[136:137], v[138:139]
	v_fmac_f64_e32 v[12:13], v[118:119], v[136:137]
	s_clause 0x1
	global_load_b128 v[118:121], v[142:143], off offset:32
	global_load_b128 v[134:137], v[142:143], off offset:48
	s_wait_loadcnt 0x1
	v_fmac_f64_e32 v[140:141], v[28:29], v[118:119]
	v_fmac_f64_e32 v[10:11], v[30:31], v[118:119]
	;; [unrolled: 1-line block ×8, first 2 shown]
	v_fma_f64 v[140:141], -v[30:31], v[120:121], v[140:141]
	v_fmac_f64_e32 v[10:11], v[28:29], v[120:121]
	s_wait_xcnt 0x0
	v_fma_f64 v[142:143], -v[44:45], v[120:121], v[148:149]
	v_fmac_f64_e32 v[14:15], v[42:43], v[120:121]
	v_fma_f64 v[148:149], -v[34:35], v[120:121], v[150:151]
	v_fmac_f64_e32 v[16:17], v[32:33], v[120:121]
	;; [unrolled: 2-line block ×3, first 2 shown]
	s_clause 0x4
	global_load_b128 v[28:31], v[24:25], off offset:49184
	global_load_b128 v[42:45], v[24:25], off offset:49168
	;; [unrolled: 1-line block ×5, first 2 shown]
	s_wait_loadcnt 0x5
	v_fmac_f64_e32 v[140:141], v[58:59], v[134:135]
	v_fmac_f64_e32 v[10:11], v[60:61], v[134:135]
	;; [unrolled: 1-line block ×8, first 2 shown]
	v_fma_f64 v[140:141], -v[60:61], v[136:137], v[140:141]
	v_fmac_f64_e32 v[10:11], v[58:59], v[136:137]
	global_load_b128 v[58:61], v[24:25], off offset:49232
	v_fma_f64 v[142:143], -v[64:65], v[136:137], v[142:143]
	v_fmac_f64_e32 v[14:15], v[62:63], v[136:137]
	global_load_b128 v[62:65], v[24:25], off offset:49216
	;; [unrolled: 3-line block ×3, first 2 shown]
	v_fma_f64 v[150:151], -v[40:41], v[136:137], v[138:139]
	v_fmac_f64_e32 v[12:13], v[38:39], v[136:137]
	s_clause 0x1
	global_load_b128 v[38:41], v[144:145], off
	global_load_b128 v[134:137], v[144:145], off offset:16
	s_wait_loadcnt 0x1
	v_fmac_f64_e32 v[140:141], v[74:75], v[38:39]
	v_fmac_f64_e32 v[10:11], v[76:77], v[38:39]
	;; [unrolled: 1-line block ×8, first 2 shown]
	v_fma_f64 v[152:153], -v[76:77], v[40:41], v[140:141]
	v_fmac_f64_e32 v[10:11], v[74:75], v[40:41]
	s_clause 0x1
	global_load_b128 v[74:77], v[144:145], off offset:32
	global_load_b128 v[138:141], v[144:145], off offset:48
	s_wait_xcnt 0x0
	v_lshlrev_b64_e32 v[144:145], 6, v[146:147]
	v_fma_f64 v[142:143], -v[80:81], v[40:41], v[142:143]
	v_fmac_f64_e32 v[14:15], v[78:79], v[40:41]
	global_load_b128 v[78:81], v[24:25], off offset:49312
	v_fma_f64 v[148:149], -v[84:85], v[40:41], v[148:149]
	v_fmac_f64_e32 v[16:17], v[82:83], v[40:41]
	global_load_b128 v[82:85], v[24:25], off offset:49296
	v_add_nc_u64_e32 v[144:145], s[4:5], v[144:145]
	v_fma_f64 v[146:147], -v[56:57], v[40:41], v[150:151]
	v_fmac_f64_e32 v[12:13], v[54:55], v[40:41]
	s_clause 0x1
	global_load_b128 v[38:41], v[144:145], off offset:16
	global_load_b128 v[54:57], v[144:145], off
	s_wait_loadcnt 0x6
	v_fmac_f64_e32 v[152:153], v[94:95], v[134:135]
	v_fmac_f64_e32 v[10:11], v[96:97], v[134:135]
	;; [unrolled: 1-line block ×8, first 2 shown]
	v_fma_f64 v[150:151], -v[96:97], v[136:137], v[152:153]
	v_fmac_f64_e32 v[10:11], v[94:95], v[136:137]
	global_load_b128 v[94:97], v[24:25], off offset:49280
	v_fma_f64 v[142:143], -v[100:101], v[136:137], v[142:143]
	v_fmac_f64_e32 v[14:15], v[98:99], v[136:137]
	global_load_b128 v[98:101], v[24:25], off offset:49360
	;; [unrolled: 3-line block ×3, first 2 shown]
	v_fma_f64 v[146:147], -v[68:69], v[136:137], v[146:147]
	v_fmac_f64_e32 v[12:13], v[66:67], v[136:137]
	s_clause 0x1
	global_load_b128 v[66:69], v[144:145], off offset:48
	global_load_b128 v[134:137], v[144:145], off offset:32
	s_wait_loadcnt 0xa
	v_fmac_f64_e32 v[150:151], v[106:107], v[74:75]
	v_fmac_f64_e32 v[10:11], v[108:109], v[74:75]
	;; [unrolled: 1-line block ×8, first 2 shown]
	s_wait_xcnt 0x0
	v_fma_f64 v[144:145], -v[108:109], v[76:77], v[150:151]
	v_fmac_f64_e32 v[10:11], v[106:107], v[76:77]
	global_load_b128 v[106:109], v[24:25], off offset:49376
	v_fma_f64 v[142:143], -v[112:113], v[76:77], v[142:143]
	v_fmac_f64_e32 v[14:15], v[110:111], v[76:77]
	global_load_b128 v[110:113], v[24:25], off offset:49392
	v_fma_f64 v[74:75], -v[116:117], v[76:77], v[148:149]
	v_fmac_f64_e32 v[16:17], v[114:115], v[76:77]
	v_fma_f64 v[92:93], -v[92:93], v[76:77], v[146:147]
	v_fmac_f64_e32 v[12:13], v[90:91], v[76:77]
	s_wait_xcnt 0x0
	v_add_nc_u64_e32 v[24:25], 0x10000, v[24:25]
	s_wait_loadcnt 0xb
	v_fmac_f64_e32 v[144:145], v[126:127], v[138:139]
	v_fmac_f64_e32 v[10:11], v[128:129], v[138:139]
	v_fmac_f64_e32 v[142:143], v[130:131], v[138:139]
	v_fmac_f64_e32 v[14:15], v[132:133], v[138:139]
	v_fmac_f64_e32 v[74:75], v[102:103], v[138:139]
	v_fmac_f64_e32 v[16:17], v[104:105], v[138:139]
	v_fmac_f64_e32 v[92:93], v[86:87], v[138:139]
	v_fmac_f64_e32 v[12:13], v[88:89], v[138:139]
	v_fma_f64 v[76:77], -v[128:129], v[140:141], v[144:145]
	v_fmac_f64_e32 v[10:11], v[126:127], v[140:141]
	v_fma_f64 v[90:91], -v[132:133], v[140:141], v[142:143]
	v_fmac_f64_e32 v[14:15], v[130:131], v[140:141]
	;; [unrolled: 2-line block ×4, first 2 shown]
	s_wait_loadcnt 0x7
	v_fmac_f64_e32 v[76:77], v[32:33], v[54:55]
	v_fmac_f64_e32 v[10:11], v[34:35], v[54:55]
	;; [unrolled: 1-line block ×8, first 2 shown]
	v_fma_f64 v[34:35], -v[34:35], v[56:57], v[76:77]
	v_fmac_f64_e32 v[10:11], v[32:33], v[56:57]
	v_fma_f64 v[32:33], -v[44:45], v[56:57], v[90:91]
	v_fmac_f64_e32 v[14:15], v[42:43], v[56:57]
	;; [unrolled: 2-line block ×4, first 2 shown]
	v_fmac_f64_e32 v[34:35], v[62:63], v[38:39]
	v_fmac_f64_e32 v[10:11], v[64:65], v[38:39]
	;; [unrolled: 1-line block ×8, first 2 shown]
	v_fma_f64 v[34:35], -v[64:65], v[40:41], v[34:35]
	v_fmac_f64_e32 v[10:11], v[62:63], v[40:41]
	v_fma_f64 v[32:33], -v[60:61], v[40:41], v[32:33]
	v_fmac_f64_e32 v[14:15], v[58:59], v[40:41]
	;; [unrolled: 2-line block ×4, first 2 shown]
	s_wait_loadcnt 0x2
	v_fmac_f64_e32 v[34:35], v[94:95], v[134:135]
	v_fmac_f64_e32 v[10:11], v[96:97], v[134:135]
	;; [unrolled: 1-line block ×8, first 2 shown]
	v_fma_f64 v[34:35], -v[96:97], v[136:137], v[34:35]
	v_fmac_f64_e32 v[10:11], v[94:95], v[136:137]
	v_fma_f64 v[32:33], -v[84:85], v[136:137], v[32:33]
	v_fmac_f64_e32 v[14:15], v[82:83], v[136:137]
	;; [unrolled: 2-line block ×4, first 2 shown]
	v_fmac_f64_e32 v[34:35], v[70:71], v[66:67]
	v_fmac_f64_e32 v[10:11], v[72:73], v[66:67]
	;; [unrolled: 1-line block ×4, first 2 shown]
	s_delay_alu instid0(VALU_DEP_4) | instskip(NEXT) | instid1(VALU_DEP_4)
	v_fma_f64 v[34:35], -v[72:73], v[68:69], v[34:35]
	v_fmac_f64_e32 v[10:11], v[70:71], v[68:69]
	s_wait_loadcnt 0x1
	v_fmac_f64_e32 v[30:31], v[106:107], v[66:67]
	v_fmac_f64_e32 v[16:17], v[108:109], v[66:67]
	v_fma_f64 v[32:33], -v[100:101], v[68:69], v[32:33]
	s_wait_loadcnt 0x0
	v_fmac_f64_e32 v[28:29], v[110:111], v[66:67]
	v_fmac_f64_e32 v[12:13], v[112:113], v[66:67]
	;; [unrolled: 1-line block ×3, first 2 shown]
	v_fma_f64 v[30:31], -v[108:109], v[68:69], v[30:31]
	v_fmac_f64_e32 v[16:17], v[106:107], v[68:69]
	v_fma_f64 v[28:29], -v[112:113], v[68:69], v[28:29]
	v_fmac_f64_e32 v[12:13], v[110:111], v[68:69]
	s_and_not1_b32 exec_lo, exec_lo, s6
	s_cbranch_execnz .LBB59_33
; %bb.34:
	s_or_b32 exec_lo, exec_lo, s6
.LBB59_35:
	s_delay_alu instid0(SALU_CYCLE_1)
	s_or_b32 exec_lo, exec_lo, s2
.LBB59_36:
	s_delay_alu instid0(SALU_CYCLE_1)
	s_or_b32 exec_lo, exec_lo, s3
.LBB59_37:
	v_mbcnt_lo_u32_b32 v1, -1, 0
	s_delay_alu instid0(VALU_DEP_1) | instskip(NEXT) | instid1(VALU_DEP_1)
	v_or_b32_e32 v18, 32, v1
	v_cmp_gt_i32_e32 vcc_lo, 32, v18
	v_cndmask_b32_e32 v18, v1, v18, vcc_lo
	s_delay_alu instid0(VALU_DEP_1)
	v_lshlrev_b32_e32 v43, 2, v18
	ds_bpermute_b32 v24, v43, v14
	ds_bpermute_b32 v25, v43, v15
	s_wait_dscnt 0x0
	v_add_f64_e32 v[14:15], v[14:15], v[24:25]
	ds_bpermute_b32 v18, v43, v34
	ds_bpermute_b32 v19, v43, v35
	;; [unrolled: 1-line block ×14, first 2 shown]
	s_wait_dscnt 0xc
	v_add_f64_e32 v[18:19], v[34:35], v[18:19]
	s_wait_dscnt 0xa
	v_add_f64_e32 v[10:11], v[10:11], v[20:21]
	;; [unrolled: 2-line block ×3, first 2 shown]
	s_wait_dscnt 0x6
	v_dual_add_f64 v[20:21], v[32:33], v[22:23] :: v_dual_bitop2_b32 v28, 16, v1 bitop3:0x14
	s_wait_dscnt 0x4
	v_add_f64_e32 v[22:23], v[30:31], v[36:37]
	s_delay_alu instid0(VALU_DEP_2) | instskip(SKIP_3) | instid1(VALU_DEP_1)
	v_cmp_gt_i32_e32 vcc_lo, 32, v28
	s_wait_dscnt 0x0
	v_add_f64_e32 v[12:13], v[12:13], v[42:43]
	v_cndmask_b32_e32 v28, v1, v28, vcc_lo
	v_dual_add_f64 v[16:17], v[16:17], v[38:39] :: v_dual_lshlrev_b32 v43, 2, v28
	ds_bpermute_b32 v34, v43, v14
	ds_bpermute_b32 v35, v43, v15
	;; [unrolled: 1-line block ×14, first 2 shown]
	s_wait_dscnt 0xa
	v_add_f64_e32 v[18:19], v[18:19], v[28:29]
	v_xor_b32_e32 v28, 8, v1
	ds_bpermute_b32 v42, v43, v12
	ds_bpermute_b32 v43, v43, v13
	s_wait_dscnt 0xa
	v_add_f64_e32 v[10:11], v[10:11], v[30:31]
	s_wait_dscnt 0x8
	v_add_f64_e32 v[24:25], v[24:25], v[40:41]
	v_cmp_gt_i32_e32 vcc_lo, 32, v28
	v_add_f64_e32 v[14:15], v[14:15], v[34:35]
	s_wait_dscnt 0x6
	v_add_f64_e32 v[20:21], v[20:21], v[32:33]
	s_wait_dscnt 0x4
	v_add_f64_e32 v[22:23], v[22:23], v[36:37]
	v_cndmask_b32_e32 v28, v1, v28, vcc_lo
	s_wait_dscnt 0x2
	v_add_f64_e32 v[16:17], v[16:17], v[38:39]
	s_wait_dscnt 0x0
	s_delay_alu instid0(VALU_DEP_2)
	v_dual_add_f64 v[12:13], v[12:13], v[42:43] :: v_dual_lshlrev_b32 v43, 2, v28
	ds_bpermute_b32 v28, v43, v18
	ds_bpermute_b32 v29, v43, v19
	;; [unrolled: 1-line block ×14, first 2 shown]
	s_wait_dscnt 0xc
	v_add_f64_e32 v[18:19], v[18:19], v[28:29]
	v_xor_b32_e32 v28, 4, v1
	ds_bpermute_b32 v42, v43, v12
	ds_bpermute_b32 v43, v43, v13
	v_cmp_gt_i32_e32 vcc_lo, 32, v28
	s_wait_dscnt 0xc
	v_add_f64_e32 v[10:11], v[10:11], v[30:31]
	s_wait_dscnt 0x8
	v_add_f64_e32 v[20:21], v[20:21], v[32:33]
	;; [unrolled: 2-line block ×4, first 2 shown]
	v_dual_add_f64 v[14:15], v[14:15], v[34:35] :: v_dual_cndmask_b32 v28, v1, v28, vcc_lo
	s_wait_dscnt 0x2
	v_add_f64_e32 v[16:17], v[16:17], v[38:39]
	s_wait_dscnt 0x0
	s_delay_alu instid0(VALU_DEP_2)
	v_dual_add_f64 v[12:13], v[12:13], v[42:43] :: v_dual_lshlrev_b32 v43, 2, v28
	ds_bpermute_b32 v28, v43, v18
	ds_bpermute_b32 v29, v43, v19
	;; [unrolled: 1-line block ×12, first 2 shown]
	s_wait_dscnt 0xa
	v_add_f64_e32 v[18:19], v[18:19], v[28:29]
	ds_bpermute_b32 v42, v43, v12
	s_wait_dscnt 0x9
	v_dual_add_f64 v[28:29], v[10:11], v[30:31] :: v_dual_bitop2_b32 v10, 2, v1 bitop3:0x14
	ds_bpermute_b32 v38, v43, v16
	ds_bpermute_b32 v39, v43, v17
	ds_bpermute_b32 v43, v43, v13
	s_wait_dscnt 0xa
	v_add_f64_e32 v[20:21], v[20:21], v[32:33]
	s_wait_dscnt 0x8
	v_add_f64_e32 v[22:23], v[22:23], v[36:37]
	;; [unrolled: 2-line block ×4, first 2 shown]
	v_cmp_gt_i32_e32 vcc_lo, 32, v10
	v_cndmask_b32_e32 v10, v1, v10, vcc_lo
	s_delay_alu instid0(VALU_DEP_1)
	v_lshlrev_b32_e32 v30, 2, v10
	s_wait_dscnt 0x1
	v_add_f64_e32 v[16:17], v[16:17], v[38:39]
	s_wait_dscnt 0x0
	v_add_f64_e32 v[34:35], v[12:13], v[42:43]
	ds_bpermute_b32 v10, v30, v18
	ds_bpermute_b32 v11, v30, v19
	;; [unrolled: 1-line block ×12, first 2 shown]
	s_wait_dscnt 0xa
	v_add_f64_e32 v[10:11], v[18:19], v[10:11]
	ds_bpermute_b32 v40, v30, v16
	ds_bpermute_b32 v41, v30, v17
	;; [unrolled: 1-line block ×4, first 2 shown]
	s_wait_dscnt 0xc
	v_add_f64_e32 v[30:31], v[28:29], v[12:13]
	s_wait_dscnt 0xa
	v_add_f64_e32 v[12:13], v[20:21], v[24:25]
	;; [unrolled: 2-line block ×3, first 2 shown]
	s_wait_dscnt 0x6
	v_dual_add_f64 v[14:15], v[22:23], v[38:39] :: v_dual_bitop2_b32 v22, 1, v1 bitop3:0x14
	s_delay_alu instid0(VALU_DEP_1)
	v_cmp_gt_i32_e32 vcc_lo, 32, v22
	v_cndmask_b32_e32 v1, v1, v22, vcc_lo
	v_cmp_eq_u32_e32 vcc_lo, 63, v0
	s_wait_dscnt 0x2
	v_add_f64_e32 v[20:21], v[16:17], v[40:41]
	v_add_f64_e32 v[16:17], v[32:33], v[42:43]
	s_wait_dscnt 0x0
	v_add_f64_e32 v[18:19], v[34:35], v[44:45]
	v_lshlrev_b32_e32 v1, 2, v1
	ds_bpermute_b32 v22, v1, v10
	ds_bpermute_b32 v23, v1, v11
	;; [unrolled: 1-line block ×16, first 2 shown]
	s_and_b32 exec_lo, exec_lo, vcc_lo
	s_cbranch_execz .LBB59_8
; %bb.38:
	s_wait_dscnt 0xc
	v_add_f64_e32 v[0:1], v[30:31], v[42:43]
	s_wait_dscnt 0x8
	v_add_f64_e32 v[30:31], v[24:25], v[40:41]
	;; [unrolled: 2-line block ×4, first 2 shown]
	v_add_f64_e32 v[40:41], v[10:11], v[22:23]
	v_add_f64_e32 v[28:29], v[12:13], v[28:29]
	;; [unrolled: 1-line block ×4, first 2 shown]
	v_cmp_eq_f64_e32 vcc_lo, 0, v[2:3]
	v_cmp_eq_f64_e64 s2, 0, v[4:5]
	s_load_b64 s[0:1], s[0:1], 0x68
	v_mul_f64_e64 v[22:23], v[0:1], -v[8:9]
	v_mul_f64_e32 v[24:25], v[6:7], v[0:1]
	v_mul_f64_e64 v[18:19], v[30:31], -v[8:9]
	v_mul_f64_e32 v[20:21], v[6:7], v[30:31]
	;; [unrolled: 2-line block ×4, first 2 shown]
	v_lshlrev_b64_e32 v[0:1], 6, v[26:27]
	s_and_b32 s2, vcc_lo, s2
	v_fmac_f64_e32 v[22:23], v[6:7], v[40:41]
	v_fmac_f64_e32 v[24:25], v[8:9], v[40:41]
	;; [unrolled: 1-line block ×8, first 2 shown]
	s_and_saveexec_b32 s3, s2
	s_delay_alu instid0(SALU_CYCLE_1)
	s_xor_b32 s2, exec_lo, s3
	s_cbranch_execz .LBB59_40
; %bb.39:
	s_wait_kmcnt 0x0
	v_add_nc_u64_e32 v[0:1], s[0:1], v[0:1]
                                        ; implicit-def: $vgpr4_vgpr5
	s_clause 0x3
	global_store_b128 v[0:1], v[22:25], off
	global_store_b128 v[0:1], v[18:21], off offset:16
	global_store_b128 v[0:1], v[14:17], off offset:32
	;; [unrolled: 1-line block ×3, first 2 shown]
                                        ; implicit-def: $vgpr22_vgpr23
                                        ; implicit-def: $vgpr0_vgpr1
                                        ; implicit-def: $vgpr18_vgpr19
                                        ; implicit-def: $vgpr14_vgpr15
                                        ; implicit-def: $vgpr10_vgpr11
.LBB59_40:
	s_wait_xcnt 0x0
	s_and_not1_saveexec_b32 s2, s2
	s_cbranch_execz .LBB59_8
; %bb.41:
	s_wait_kmcnt 0x0
	v_add_nc_u64_e32 v[0:1], s[0:1], v[0:1]
	s_clause 0x3
	global_load_b128 v[6:9], v[0:1], off
	global_load_b128 v[26:29], v[0:1], off offset:16
	global_load_b128 v[30:33], v[0:1], off offset:32
	;; [unrolled: 1-line block ×3, first 2 shown]
	s_wait_loadcnt 0x3
	v_fmac_f64_e32 v[22:23], v[2:3], v[6:7]
	v_fmac_f64_e32 v[24:25], v[4:5], v[6:7]
	s_wait_loadcnt 0x2
	v_fmac_f64_e32 v[18:19], v[2:3], v[26:27]
	v_fmac_f64_e32 v[20:21], v[4:5], v[26:27]
	s_wait_loadcnt 0x1
	v_fmac_f64_e32 v[14:15], v[2:3], v[30:31]
	v_fmac_f64_e32 v[16:17], v[4:5], v[30:31]
	s_wait_loadcnt 0x0
	v_fmac_f64_e32 v[10:11], v[2:3], v[34:35]
	v_fmac_f64_e32 v[12:13], v[4:5], v[34:35]
	v_fma_f64 v[22:23], -v[4:5], v[8:9], v[22:23]
	v_fmac_f64_e32 v[24:25], v[2:3], v[8:9]
	v_fma_f64 v[18:19], -v[4:5], v[28:29], v[18:19]
	v_fmac_f64_e32 v[20:21], v[2:3], v[28:29]
	;; [unrolled: 2-line block ×4, first 2 shown]
	s_clause 0x3
	global_store_b128 v[0:1], v[22:25], off
	global_store_b128 v[0:1], v[18:21], off offset:16
	global_store_b128 v[0:1], v[14:17], off offset:32
	global_store_b128 v[0:1], v[10:13], off offset:48
	s_sendmsg sendmsg(MSG_DEALLOC_VGPRS)
	s_endpgm
	.section	.rodata,"a",@progbits
	.p2align	6, 0x0
	.amdhsa_kernel _ZN9rocsparseL18bsrxmvn_4x4_kernelILj128ELj64E21rocsparse_complex_numIdEllS2_S2_S2_EEvT3_20rocsparse_direction_NS_24const_host_device_scalarIT1_EES3_PKS3_PKT2_SC_S9_PKT4_PKT5_S7_PT6_21rocsparse_index_base_b
		.amdhsa_group_segment_fixed_size 0
		.amdhsa_private_segment_fixed_size 0
		.amdhsa_kernarg_size 120
		.amdhsa_user_sgpr_count 2
		.amdhsa_user_sgpr_dispatch_ptr 0
		.amdhsa_user_sgpr_queue_ptr 0
		.amdhsa_user_sgpr_kernarg_segment_ptr 1
		.amdhsa_user_sgpr_dispatch_id 0
		.amdhsa_user_sgpr_kernarg_preload_length 0
		.amdhsa_user_sgpr_kernarg_preload_offset 0
		.amdhsa_user_sgpr_private_segment_size 0
		.amdhsa_wavefront_size32 1
		.amdhsa_uses_dynamic_stack 0
		.amdhsa_enable_private_segment 0
		.amdhsa_system_sgpr_workgroup_id_x 1
		.amdhsa_system_sgpr_workgroup_id_y 0
		.amdhsa_system_sgpr_workgroup_id_z 0
		.amdhsa_system_sgpr_workgroup_info 0
		.amdhsa_system_vgpr_workitem_id 0
		.amdhsa_next_free_vgpr 178
		.amdhsa_next_free_sgpr 12
		.amdhsa_named_barrier_count 0
		.amdhsa_reserve_vcc 1
		.amdhsa_float_round_mode_32 0
		.amdhsa_float_round_mode_16_64 0
		.amdhsa_float_denorm_mode_32 3
		.amdhsa_float_denorm_mode_16_64 3
		.amdhsa_fp16_overflow 0
		.amdhsa_memory_ordered 1
		.amdhsa_forward_progress 1
		.amdhsa_inst_pref_size 74
		.amdhsa_round_robin_scheduling 0
		.amdhsa_exception_fp_ieee_invalid_op 0
		.amdhsa_exception_fp_denorm_src 0
		.amdhsa_exception_fp_ieee_div_zero 0
		.amdhsa_exception_fp_ieee_overflow 0
		.amdhsa_exception_fp_ieee_underflow 0
		.amdhsa_exception_fp_ieee_inexact 0
		.amdhsa_exception_int_div_zero 0
	.end_amdhsa_kernel
	.section	.text._ZN9rocsparseL18bsrxmvn_4x4_kernelILj128ELj64E21rocsparse_complex_numIdEllS2_S2_S2_EEvT3_20rocsparse_direction_NS_24const_host_device_scalarIT1_EES3_PKS3_PKT2_SC_S9_PKT4_PKT5_S7_PT6_21rocsparse_index_base_b,"axG",@progbits,_ZN9rocsparseL18bsrxmvn_4x4_kernelILj128ELj64E21rocsparse_complex_numIdEllS2_S2_S2_EEvT3_20rocsparse_direction_NS_24const_host_device_scalarIT1_EES3_PKS3_PKT2_SC_S9_PKT4_PKT5_S7_PT6_21rocsparse_index_base_b,comdat
.Lfunc_end59:
	.size	_ZN9rocsparseL18bsrxmvn_4x4_kernelILj128ELj64E21rocsparse_complex_numIdEllS2_S2_S2_EEvT3_20rocsparse_direction_NS_24const_host_device_scalarIT1_EES3_PKS3_PKT2_SC_S9_PKT4_PKT5_S7_PT6_21rocsparse_index_base_b, .Lfunc_end59-_ZN9rocsparseL18bsrxmvn_4x4_kernelILj128ELj64E21rocsparse_complex_numIdEllS2_S2_S2_EEvT3_20rocsparse_direction_NS_24const_host_device_scalarIT1_EES3_PKS3_PKT2_SC_S9_PKT4_PKT5_S7_PT6_21rocsparse_index_base_b
                                        ; -- End function
	.set _ZN9rocsparseL18bsrxmvn_4x4_kernelILj128ELj64E21rocsparse_complex_numIdEllS2_S2_S2_EEvT3_20rocsparse_direction_NS_24const_host_device_scalarIT1_EES3_PKS3_PKT2_SC_S9_PKT4_PKT5_S7_PT6_21rocsparse_index_base_b.num_vgpr, 178
	.set _ZN9rocsparseL18bsrxmvn_4x4_kernelILj128ELj64E21rocsparse_complex_numIdEllS2_S2_S2_EEvT3_20rocsparse_direction_NS_24const_host_device_scalarIT1_EES3_PKS3_PKT2_SC_S9_PKT4_PKT5_S7_PT6_21rocsparse_index_base_b.num_agpr, 0
	.set _ZN9rocsparseL18bsrxmvn_4x4_kernelILj128ELj64E21rocsparse_complex_numIdEllS2_S2_S2_EEvT3_20rocsparse_direction_NS_24const_host_device_scalarIT1_EES3_PKS3_PKT2_SC_S9_PKT4_PKT5_S7_PT6_21rocsparse_index_base_b.numbered_sgpr, 12
	.set _ZN9rocsparseL18bsrxmvn_4x4_kernelILj128ELj64E21rocsparse_complex_numIdEllS2_S2_S2_EEvT3_20rocsparse_direction_NS_24const_host_device_scalarIT1_EES3_PKS3_PKT2_SC_S9_PKT4_PKT5_S7_PT6_21rocsparse_index_base_b.num_named_barrier, 0
	.set _ZN9rocsparseL18bsrxmvn_4x4_kernelILj128ELj64E21rocsparse_complex_numIdEllS2_S2_S2_EEvT3_20rocsparse_direction_NS_24const_host_device_scalarIT1_EES3_PKS3_PKT2_SC_S9_PKT4_PKT5_S7_PT6_21rocsparse_index_base_b.private_seg_size, 0
	.set _ZN9rocsparseL18bsrxmvn_4x4_kernelILj128ELj64E21rocsparse_complex_numIdEllS2_S2_S2_EEvT3_20rocsparse_direction_NS_24const_host_device_scalarIT1_EES3_PKS3_PKT2_SC_S9_PKT4_PKT5_S7_PT6_21rocsparse_index_base_b.uses_vcc, 1
	.set _ZN9rocsparseL18bsrxmvn_4x4_kernelILj128ELj64E21rocsparse_complex_numIdEllS2_S2_S2_EEvT3_20rocsparse_direction_NS_24const_host_device_scalarIT1_EES3_PKS3_PKT2_SC_S9_PKT4_PKT5_S7_PT6_21rocsparse_index_base_b.uses_flat_scratch, 0
	.set _ZN9rocsparseL18bsrxmvn_4x4_kernelILj128ELj64E21rocsparse_complex_numIdEllS2_S2_S2_EEvT3_20rocsparse_direction_NS_24const_host_device_scalarIT1_EES3_PKS3_PKT2_SC_S9_PKT4_PKT5_S7_PT6_21rocsparse_index_base_b.has_dyn_sized_stack, 0
	.set _ZN9rocsparseL18bsrxmvn_4x4_kernelILj128ELj64E21rocsparse_complex_numIdEllS2_S2_S2_EEvT3_20rocsparse_direction_NS_24const_host_device_scalarIT1_EES3_PKS3_PKT2_SC_S9_PKT4_PKT5_S7_PT6_21rocsparse_index_base_b.has_recursion, 0
	.set _ZN9rocsparseL18bsrxmvn_4x4_kernelILj128ELj64E21rocsparse_complex_numIdEllS2_S2_S2_EEvT3_20rocsparse_direction_NS_24const_host_device_scalarIT1_EES3_PKS3_PKT2_SC_S9_PKT4_PKT5_S7_PT6_21rocsparse_index_base_b.has_indirect_call, 0
	.section	.AMDGPU.csdata,"",@progbits
; Kernel info:
; codeLenInByte = 9364
; TotalNumSgprs: 14
; NumVgprs: 178
; ScratchSize: 0
; MemoryBound: 1
; FloatMode: 240
; IeeeMode: 1
; LDSByteSize: 0 bytes/workgroup (compile time only)
; SGPRBlocks: 0
; VGPRBlocks: 11
; NumSGPRsForWavesPerEU: 14
; NumVGPRsForWavesPerEU: 178
; NamedBarCnt: 0
; Occupancy: 5
; WaveLimiterHint : 1
; COMPUTE_PGM_RSRC2:SCRATCH_EN: 0
; COMPUTE_PGM_RSRC2:USER_SGPR: 2
; COMPUTE_PGM_RSRC2:TRAP_HANDLER: 0
; COMPUTE_PGM_RSRC2:TGID_X_EN: 1
; COMPUTE_PGM_RSRC2:TGID_Y_EN: 0
; COMPUTE_PGM_RSRC2:TGID_Z_EN: 0
; COMPUTE_PGM_RSRC2:TIDIG_COMP_CNT: 0
	.section	.text._ZN9rocsparseL18bsrxmvn_4x4_kernelILj128ELj4EiiiaaiEEvT3_20rocsparse_direction_NS_24const_host_device_scalarIT1_EES1_PKS1_PKT2_SA_S7_PKT4_PKT5_S5_PT6_21rocsparse_index_base_b,"axG",@progbits,_ZN9rocsparseL18bsrxmvn_4x4_kernelILj128ELj4EiiiaaiEEvT3_20rocsparse_direction_NS_24const_host_device_scalarIT1_EES1_PKS1_PKT2_SA_S7_PKT4_PKT5_S5_PT6_21rocsparse_index_base_b,comdat
	.globl	_ZN9rocsparseL18bsrxmvn_4x4_kernelILj128ELj4EiiiaaiEEvT3_20rocsparse_direction_NS_24const_host_device_scalarIT1_EES1_PKS1_PKT2_SA_S7_PKT4_PKT5_S5_PT6_21rocsparse_index_base_b ; -- Begin function _ZN9rocsparseL18bsrxmvn_4x4_kernelILj128ELj4EiiiaaiEEvT3_20rocsparse_direction_NS_24const_host_device_scalarIT1_EES1_PKS1_PKT2_SA_S7_PKT4_PKT5_S5_PT6_21rocsparse_index_base_b
	.p2align	8
	.type	_ZN9rocsparseL18bsrxmvn_4x4_kernelILj128ELj4EiiiaaiEEvT3_20rocsparse_direction_NS_24const_host_device_scalarIT1_EES1_PKS1_PKT2_SA_S7_PKT4_PKT5_S5_PT6_21rocsparse_index_base_b,@function
_ZN9rocsparseL18bsrxmvn_4x4_kernelILj128ELj4EiiiaaiEEvT3_20rocsparse_direction_NS_24const_host_device_scalarIT1_EES1_PKS1_PKT2_SA_S7_PKT4_PKT5_S5_PT6_21rocsparse_index_base_b: ; @_ZN9rocsparseL18bsrxmvn_4x4_kernelILj128ELj4EiiiaaiEEvT3_20rocsparse_direction_NS_24const_host_device_scalarIT1_EES1_PKS1_PKT2_SA_S7_PKT4_PKT5_S5_PT6_21rocsparse_index_base_b
; %bb.0:
	s_clause 0x1
	s_load_b64 s[12:13], s[0:1], 0x58
	s_load_b64 s[4:5], s[0:1], 0x8
	s_mov_b32 s7, -1
	s_wait_kmcnt 0x0
	s_bitcmp1_b32 s13, 0
                                        ; implicit-def: $sgpr13
	s_cselect_b32 s2, -1, 0
	s_delay_alu instid0(SALU_CYCLE_1) | instskip(NEXT) | instid1(SALU_CYCLE_1)
	s_xor_b32 s6, s2, -1
	s_and_b32 vcc_lo, exec_lo, s6
	s_cbranch_vccnz .LBB60_4
; %bb.1:
	s_load_b64 s[2:3], s[0:1], 0x48
	s_and_not1_b32 vcc_lo, exec_lo, s7
	s_cbranch_vccz .LBB60_5
.LBB60_2:
	s_and_b32 vcc_lo, exec_lo, s6
	s_cbranch_vccz .LBB60_6
.LBB60_3:
	s_wait_kmcnt 0x0
	s_load_b32 s14, s[2:3], 0x0
	s_wait_xcnt 0x0
	s_cbranch_execz .LBB60_7
	s_branch .LBB60_8
.LBB60_4:
	s_load_b32 s13, s[4:5], 0x0
	s_load_b64 s[2:3], s[0:1], 0x48
	s_cbranch_execnz .LBB60_2
.LBB60_5:
	s_wait_kmcnt 0x0
	s_mov_b32 s13, s4
	s_and_b32 vcc_lo, exec_lo, s6
	s_cbranch_vccnz .LBB60_3
.LBB60_6:
	s_wait_kmcnt 0x0
                                        ; implicit-def: $sgpr14
.LBB60_7:
	s_wait_kmcnt 0x0
	s_mov_b32 s14, s2
.LBB60_8:
	s_cmp_lg_u32 s13, 0
	s_mov_b32 s6, 0
	s_cselect_b32 s2, -1, 0
	s_wait_kmcnt 0x0
	s_cmp_lg_u32 s14, 1
	s_cselect_b32 s3, -1, 0
	s_delay_alu instid0(SALU_CYCLE_1) | instskip(NEXT) | instid1(SALU_CYCLE_1)
	s_or_b32 s2, s2, s3
	s_and_not1_b32 vcc_lo, exec_lo, s2
	s_cbranch_vccnz .LBB60_14
; %bb.9:
	s_clause 0x1
	s_load_b64 s[4:5], s[0:1], 0x18
	s_load_b64 s[2:3], s[0:1], 0x0
	s_bfe_u32 s7, ttmp6, 0x4000c
	s_and_b32 s8, ttmp6, 15
	s_add_co_i32 s7, s7, 1
	s_getreg_b32 s9, hwreg(HW_REG_IB_STS2, 6, 4)
	s_mul_i32 s7, ttmp9, s7
	v_lshrrev_b32_e32 v1, 2, v0
	s_add_co_i32 s8, s8, s7
	s_cmp_eq_u32 s9, 0
	s_cselect_b32 s7, ttmp9, s8
	s_delay_alu instid0(VALU_DEP_1) | instid1(SALU_CYCLE_1)
	v_lshl_or_b32 v4, s7, 5, v1
	s_wait_kmcnt 0x0
	s_cmp_lg_u64 s[4:5], 0
	s_cbranch_scc0 .LBB60_15
; %bb.10:
	s_load_b32 s6, s[0:1], 0x10
	s_mov_b32 s7, 0
                                        ; implicit-def: $vgpr1
	s_wait_kmcnt 0x0
	v_cmp_gt_i32_e32 vcc_lo, s6, v4
	s_mov_b32 s6, 0
	s_and_saveexec_b32 s8, vcc_lo
	s_delay_alu instid0(SALU_CYCLE_1)
	s_xor_b32 s8, exec_lo, s8
	s_cbranch_execz .LBB60_12
; %bb.11:
	global_load_b32 v1, v4, s[4:5] scale_offset
	s_mov_b32 s6, exec_lo
	s_wait_loadcnt 0x0
	v_subrev_nc_u32_e32 v1, s12, v1
.LBB60_12:
	s_or_b32 exec_lo, exec_lo, s8
	s_delay_alu instid0(SALU_CYCLE_1)
	s_and_b32 vcc_lo, exec_lo, s7
	s_cbranch_vccz .LBB60_16
.LBB60_13:
	v_cmp_gt_i32_e32 vcc_lo, s2, v4
	s_and_not1_b32 s2, s6, exec_lo
	s_and_b32 s4, vcc_lo, exec_lo
	s_delay_alu instid0(SALU_CYCLE_1) | instskip(NEXT) | instid1(SALU_CYCLE_1)
	s_or_b32 s6, s2, s4
	s_and_saveexec_b32 s2, s6
	s_cbranch_execnz .LBB60_17
.LBB60_14:
	s_endpgm
.LBB60_15:
                                        ; implicit-def: $vgpr1
	s_cbranch_execnz .LBB60_13
.LBB60_16:
	s_delay_alu instid0(VALU_DEP_1)
	v_mov_b32_e32 v4, v1
	s_and_saveexec_b32 s2, s6
	s_cbranch_execz .LBB60_14
.LBB60_17:
	s_load_b256 s[4:11], s[0:1], 0x20
	s_wait_kmcnt 0x0
	s_cmp_eq_u64 s[6:7], 0
	global_load_b32 v13, v4, s[4:5] scale_offset
	s_cselect_b32 vcc_lo, -1, 0
	v_ashrrev_i32_e32 v5, 31, v4
	s_cmp_eq_u32 s3, 1
	s_delay_alu instid0(VALU_DEP_1) | instskip(SKIP_1) | instid1(VALU_DEP_2)
	v_lshlrev_b64_e32 v[2:3], 2, v[4:5]
	v_and_b32_e32 v5, 3, v0
	v_add_nc_u64_e32 v[6:7], s[4:5], v[2:3]
	v_add_nc_u64_e32 v[2:3], s[6:7], v[2:3]
	s_wait_xcnt 0x0
	s_load_b64 s[4:5], s[0:1], 0x40
	s_delay_alu instid0(VALU_DEP_2) | instskip(NEXT) | instid1(VALU_DEP_1)
	v_add_nc_u64_e32 v[6:7], 4, v[6:7]
	v_dual_cndmask_b32 v3, v3, v7 :: v_dual_cndmask_b32 v2, v2, v6
	global_load_b32 v2, v[2:3], off
	s_wait_loadcnt 0x1
	v_subrev_nc_u32_e32 v0, s12, v13
	s_delay_alu instid0(VALU_DEP_1) | instskip(NEXT) | instid1(VALU_DEP_1)
	v_add_nc_u32_e32 v0, v0, v5
	v_ashrrev_i32_e32 v1, 31, v0
	s_wait_loadcnt 0x0
	v_subrev_nc_u32_e32 v12, s12, v2
	s_delay_alu instid0(VALU_DEP_2) | instskip(NEXT) | instid1(VALU_DEP_2)
	v_lshl_add_u64 v[2:3], v[0:1], 4, s[10:11]
	v_cmp_lt_i32_e64 s2, v0, v12
	s_cbranch_scc1 .LBB60_29
; %bb.18:
	v_dual_mov_b32 v7, 0 :: v_dual_mov_b32 v6, 0
	v_dual_mov_b32 v9, 0 :: v_dual_mov_b32 v8, 0
	s_and_saveexec_b32 s3, s2
	s_cbranch_execz .LBB60_28
; %bb.19:
	v_add_nc_u32_e32 v1, v13, v5
	v_not_b32_e32 v6, v13
	v_mov_b64_e32 v[8:9], 0
	s_delay_alu instid0(VALU_DEP_3) | instskip(NEXT) | instid1(VALU_DEP_1)
	v_subrev_nc_u32_e32 v1, s12, v1
	v_add_max_i32_e64 v1, v1, 4, v12
	s_delay_alu instid0(VALU_DEP_1) | instskip(SKIP_1) | instid1(VALU_DEP_2)
	v_add3_u32 v1, s12, v1, v6
	v_mov_b64_e32 v[6:7], 0
	v_dual_mov_b32 v1, v0 :: v_dual_sub_nc_u32 v14, v1, v5
	s_delay_alu instid0(VALU_DEP_1) | instskip(NEXT) | instid1(VALU_DEP_1)
	v_and_b32_e32 v10, 12, v14
	v_cmp_ne_u32_e32 vcc_lo, 12, v10
	v_mov_b64_e32 v[10:11], v[2:3]
	s_and_saveexec_b32 s6, vcc_lo
	s_cbranch_execz .LBB60_23
; %bb.20:
	v_dual_mov_b32 v8, 0 :: v_dual_lshrrev_b32 v1, 2, v14
	v_mov_b64_e32 v[10:11], v[2:3]
	s_mov_b32 s7, 0
	s_delay_alu instid0(VALU_DEP_2) | instskip(NEXT) | instid1(VALU_DEP_1)
	v_dual_mov_b32 v9, 0 :: v_dual_add_nc_u32 v1, 1, v1
	v_dual_mov_b32 v6, 0 :: v_dual_bitop2_b32 v1, 3, v1 bitop3:0x40
	s_delay_alu instid0(VALU_DEP_1)
	v_dual_mov_b32 v7, 0 :: v_dual_sub_nc_u32 v15, 0, v1
	v_mov_b32_e32 v1, v0
.LBB60_21:                              ; =>This Inner Loop Header: Depth=1
	global_load_b32 v16, v1, s[8:9] scale_offset
	s_wait_xcnt 0x0
	v_add_nc_u32_e32 v1, 4, v1
	v_add_co_u32 v15, s10, v15, 1
	s_or_b32 s7, s10, s7
	s_wait_loadcnt 0x0
	v_subrev_nc_u32_e32 v20, s12, v16
	global_load_b128 v[16:19], v[10:11], off
	s_wait_kmcnt 0x0
	global_load_b32 v21, v20, s[4:5] scale_offset
	s_wait_xcnt 0x1
	v_add_nc_u64_e32 v[10:11], 64, v[10:11]
	s_wait_loadcnt 0x0
	v_dot4_i32_iu8 v9, v21, v17, v9 neg_lo:[1,1,0]
	v_dot4_i32_iu8 v8, v21, v16, v8 neg_lo:[1,1,0]
	;; [unrolled: 1-line block ×4, first 2 shown]
	s_and_not1_b32 exec_lo, exec_lo, s7
	s_cbranch_execnz .LBB60_21
; %bb.22:
	s_or_b32 exec_lo, exec_lo, s7
.LBB60_23:
	s_delay_alu instid0(SALU_CYCLE_1) | instskip(NEXT) | instid1(SALU_CYCLE_1)
	s_or_b32 exec_lo, exec_lo, s6
	s_mov_b32 s6, exec_lo
	v_cmpx_lt_u32_e32 11, v14
	s_cbranch_execz .LBB60_27
; %bb.24:
	s_mov_b32 s7, 0
.LBB60_25:                              ; =>This Inner Loop Header: Depth=1
	s_clause 0x3
	global_load_b32 v26, v1, s[8:9] scale_offset
	global_load_b32 v27, v1, s[8:9] offset:16 scale_offset
	global_load_b32 v28, v1, s[8:9] offset:32 scale_offset
	;; [unrolled: 1-line block ×3, first 2 shown]
	s_clause 0x2
	global_load_b128 v[14:17], v[10:11], off
	global_load_b128 v[18:21], v[10:11], off offset:64
	global_load_b128 v[22:25], v[10:11], off offset:128
	s_wait_xcnt 0x3
	v_add_nc_u32_e32 v1, 16, v1
	s_delay_alu instid0(VALU_DEP_1)
	v_cmp_ge_i32_e32 vcc_lo, v1, v12
	s_or_b32 s7, vcc_lo, s7
	s_wait_loadcnt 0x6
	v_subrev_nc_u32_e32 v26, s12, v26
	s_wait_loadcnt 0x5
	v_subrev_nc_u32_e32 v27, s12, v27
	;; [unrolled: 2-line block ×4, first 2 shown]
	s_wait_kmcnt 0x0
	s_clause 0x2
	global_load_b32 v30, v26, s[4:5] scale_offset
	global_load_b32 v32, v27, s[4:5] scale_offset
	;; [unrolled: 1-line block ×3, first 2 shown]
	global_load_b128 v[26:29], v[10:11], off offset:192
	global_load_b32 v35, v33, s[4:5] scale_offset
	s_wait_xcnt 0x1
	v_add_nc_u64_e32 v[10:11], 0x100, v[10:11]
	s_wait_loadcnt 0x4
	v_dot4_i32_iu8 v9, v30, v15, v9 neg_lo:[1,1,0]
	v_dot4_i32_iu8 v8, v30, v14, v8 neg_lo:[1,1,0]
	v_dot4_i32_iu8 v7, v30, v17, v7 neg_lo:[1,1,0]
	v_dot4_i32_iu8 v6, v30, v16, v6 neg_lo:[1,1,0]
	s_wait_loadcnt 0x3
	v_dot4_i32_iu8 v9, v32, v19, v9 neg_lo:[1,1,0]
	v_dot4_i32_iu8 v8, v32, v18, v8 neg_lo:[1,1,0]
	v_dot4_i32_iu8 v7, v32, v21, v7 neg_lo:[1,1,0]
	v_dot4_i32_iu8 v6, v32, v20, v6 neg_lo:[1,1,0]
	;; [unrolled: 5-line block ×4, first 2 shown]
	s_and_not1_b32 exec_lo, exec_lo, s7
	s_cbranch_execnz .LBB60_25
; %bb.26:
	s_or_b32 exec_lo, exec_lo, s7
.LBB60_27:
	s_delay_alu instid0(SALU_CYCLE_1)
	s_or_b32 exec_lo, exec_lo, s6
.LBB60_28:
	s_delay_alu instid0(SALU_CYCLE_1)
	s_or_b32 exec_lo, exec_lo, s3
	s_cbranch_execz .LBB60_30
	s_branch .LBB60_41
.LBB60_29:
                                        ; implicit-def: $vgpr7
                                        ; implicit-def: $vgpr9
.LBB60_30:
	v_dual_mov_b32 v7, 0 :: v_dual_mov_b32 v6, 0
	v_dual_mov_b32 v9, 0 :: v_dual_mov_b32 v8, 0
	s_and_saveexec_b32 s3, s2
	s_cbranch_execz .LBB60_40
; %bb.31:
	v_add_nc_u32_e32 v1, v13, v5
	v_not_b32_e32 v6, v13
	v_mov_b64_e32 v[8:9], 0
	s_mov_b32 s2, exec_lo
	s_delay_alu instid0(VALU_DEP_3) | instskip(NEXT) | instid1(VALU_DEP_1)
	v_subrev_nc_u32_e32 v1, s12, v1
	v_add_max_i32_e64 v1, v1, 4, v12
	s_delay_alu instid0(VALU_DEP_1) | instskip(SKIP_1) | instid1(VALU_DEP_2)
	v_add3_u32 v1, s12, v1, v6
	v_mov_b64_e32 v[6:7], 0
	v_sub_nc_u32_e32 v1, v1, v5
	s_delay_alu instid0(VALU_DEP_1) | instskip(NEXT) | instid1(VALU_DEP_1)
	v_and_b32_e32 v10, 12, v1
	v_cmpx_ne_u32_e32 12, v10
	s_cbranch_execz .LBB60_35
; %bb.32:
	v_dual_lshrrev_b32 v6, 2, v1 :: v_dual_mov_b32 v8, 0
	s_mov_b32 s6, 0
	s_delay_alu instid0(VALU_DEP_1) | instskip(NEXT) | instid1(VALU_DEP_1)
	v_dual_mov_b32 v9, 0 :: v_dual_add_nc_u32 v6, 1, v6
	v_dual_mov_b32 v6, 0 :: v_dual_bitop2_b32 v7, 3, v6 bitop3:0x40
	s_delay_alu instid0(VALU_DEP_1)
	v_dual_mov_b32 v7, 0 :: v_dual_sub_nc_u32 v10, 0, v7
.LBB60_33:                              ; =>This Inner Loop Header: Depth=1
	global_load_b32 v11, v0, s[8:9] scale_offset
	global_load_b128 v[14:17], v[2:3], off
	s_wait_xcnt 0x0
	v_add_nc_u64_e32 v[2:3], 64, v[2:3]
	v_add_co_u32 v10, s7, v10, 1
	s_or_b32 s6, s7, s6
	s_wait_loadcnt 0x1
	v_subrev_nc_u32_e32 v11, s12, v11
	s_wait_loadcnt 0x0
	v_perm_b32 v13, v15, v14, 0xc0c0501
	v_perm_b32 v18, v17, v16, 0x5010c0c
	;; [unrolled: 1-line block ×4, first 2 shown]
	s_wait_kmcnt 0x0
	global_load_b32 v11, v11, s[4:5] scale_offset
	v_perm_b32 v21, v15, v14, 0xc0c0703
	v_perm_b32 v22, v17, v16, 0x7030c0c
	;; [unrolled: 1-line block ×4, first 2 shown]
	v_dual_add_nc_u32 v0, 4, v0 :: v_dual_bitop2_b32 v13, v18, v13 bitop3:0x54
	v_or_b32_e32 v16, v20, v19
	v_or_b32_e32 v17, v22, v21
	s_delay_alu instid0(VALU_DEP_4)
	v_or_b32_e32 v14, v15, v14
	s_wait_loadcnt 0x0
	v_dot4_i32_iu8 v9, v11, v13, v9 neg_lo:[1,1,0]
	v_dot4_i32_iu8 v8, v11, v16, v8 neg_lo:[1,1,0]
	;; [unrolled: 1-line block ×4, first 2 shown]
	s_and_not1_b32 exec_lo, exec_lo, s6
	s_cbranch_execnz .LBB60_33
; %bb.34:
	s_or_b32 exec_lo, exec_lo, s6
.LBB60_35:
	s_delay_alu instid0(SALU_CYCLE_1) | instskip(NEXT) | instid1(SALU_CYCLE_1)
	s_or_b32 exec_lo, exec_lo, s2
	s_mov_b32 s2, exec_lo
	v_cmpx_lt_u32_e32 11, v1
	s_cbranch_execz .LBB60_39
; %bb.36:
	s_mov_b32 s6, 0
.LBB60_37:                              ; =>This Inner Loop Header: Depth=1
	s_clause 0x3
	global_load_b32 v1, v0, s[8:9] scale_offset
	global_load_b32 v10, v0, s[8:9] offset:16 scale_offset
	global_load_b32 v11, v0, s[8:9] offset:32 scale_offset
	global_load_b32 v13, v0, s[8:9] offset:48 scale_offset
	s_clause 0x3
	global_load_b128 v[14:17], v[2:3], off
	global_load_b128 v[18:21], v[2:3], off offset:64
	global_load_b128 v[22:25], v[2:3], off offset:128
	;; [unrolled: 1-line block ×3, first 2 shown]
	s_wait_xcnt 0x0
	v_add_nc_u64_e32 v[2:3], 0x100, v[2:3]
	s_wait_loadcnt 0x7
	v_subrev_nc_u32_e32 v1, s12, v1
	s_wait_loadcnt 0x6
	v_subrev_nc_u32_e32 v10, s12, v10
	s_wait_loadcnt 0x5
	v_subrev_nc_u32_e32 v11, s12, v11
	s_wait_loadcnt 0x4
	v_subrev_nc_u32_e32 v13, s12, v13
	s_wait_loadcnt 0x3
	v_perm_b32 v32, v15, v14, 0xc0c0501
	s_wait_kmcnt 0x0
	s_clause 0x3
	global_load_b32 v1, v1, s[4:5] scale_offset
	global_load_b32 v10, v10, s[4:5] scale_offset
	;; [unrolled: 1-line block ×4, first 2 shown]
	s_wait_xcnt 0x1
	v_perm_b32 v11, v15, v14, 0xc0c0400
	s_wait_xcnt 0x0
	v_perm_b32 v13, v17, v16, 0x4000c0c
	v_perm_b32 v33, v17, v16, 0x5010c0c
	;; [unrolled: 1-line block ×6, first 2 shown]
	v_dual_add_nc_u32 v0, 16, v0 :: v_dual_bitop2_b32 v11, v13, v11 bitop3:0x54
	s_wait_loadcnt 0x6
	v_perm_b32 v16, v19, v18, 0xc0c0501
	v_perm_b32 v17, v21, v20, 0x5010c0c
	v_perm_b32 v36, v19, v18, 0xc0c0400
	v_perm_b32 v37, v21, v20, 0x4000c0c
	v_perm_b32 v38, v19, v18, 0xc0c0703
	v_perm_b32 v39, v21, v20, 0x7030c0c
	v_perm_b32 v18, v19, v18, 0xc0c0602
	v_perm_b32 v19, v21, v20, 0x6020c0c
	s_wait_loadcnt 0x5
	v_perm_b32 v20, v23, v22, 0xc0c0400
	v_perm_b32 v21, v25, v24, 0x4000c0c
	v_perm_b32 v40, v23, v22, 0xc0c0501
	v_perm_b32 v41, v25, v24, 0x5010c0c
	v_perm_b32 v42, v23, v22, 0xc0c0602
	v_perm_b32 v43, v25, v24, 0x6020c0c
	v_perm_b32 v22, v23, v22, 0xc0c0703
	v_perm_b32 v23, v25, v24, 0x7030c0c
	;; [unrolled: 9-line block ×3, first 2 shown]
	v_or_b32_e32 v13, v33, v32
	v_or_b32_e32 v28, v35, v34
	;; [unrolled: 1-line block ×13, first 2 shown]
	v_cmp_ge_i32_e32 vcc_lo, v0, v12
	s_or_b32 s6, vcc_lo, s6
	s_wait_loadcnt 0x3
	v_dot4_i32_iu8 v9, v1, v13, v9 neg_lo:[1,1,0]
	v_dot4_i32_iu8 v8, v1, v11, v8 neg_lo:[1,1,0]
	;; [unrolled: 1-line block ×4, first 2 shown]
	v_or_b32_e32 v6, v47, v46
	s_wait_loadcnt 0x2
	v_dot4_i32_iu8 v9, v10, v15, v9 neg_lo:[1,1,0]
	v_dot4_i32_iu8 v8, v10, v16, v8 neg_lo:[1,1,0]
	;; [unrolled: 1-line block ×4, first 2 shown]
	v_or_b32_e32 v10, v27, v26
	s_wait_loadcnt 0x1
	v_dot4_i32_iu8 v9, v30, v20, v9 neg_lo:[1,1,0]
	v_dot4_i32_iu8 v8, v30, v19, v8 neg_lo:[1,1,0]
	;; [unrolled: 1-line block ×4, first 2 shown]
	s_wait_loadcnt 0x0
	v_dot4_i32_iu8 v9, v31, v23, v9 neg_lo:[1,1,0]
	v_dot4_i32_iu8 v8, v31, v24, v8 neg_lo:[1,1,0]
	;; [unrolled: 1-line block ×4, first 2 shown]
	s_and_not1_b32 exec_lo, exec_lo, s6
	s_cbranch_execnz .LBB60_37
; %bb.38:
	s_or_b32 exec_lo, exec_lo, s6
.LBB60_39:
	s_delay_alu instid0(SALU_CYCLE_1)
	s_or_b32 exec_lo, exec_lo, s2
.LBB60_40:
	s_delay_alu instid0(SALU_CYCLE_1)
	s_or_b32 exec_lo, exec_lo, s3
.LBB60_41:
	v_mbcnt_lo_u32_b32 v0, -1, 0
	s_mov_b32 s2, -1
	s_delay_alu instid0(VALU_DEP_1) | instskip(NEXT) | instid1(VALU_DEP_1)
	v_xor_b32_e32 v1, 2, v0
	v_cmp_gt_i32_e32 vcc_lo, 32, v1
	v_cndmask_b32_e32 v1, v0, v1, vcc_lo
	s_delay_alu instid0(VALU_DEP_1)
	v_lshlrev_b32_e32 v1, 2, v1
	ds_bpermute_b32 v2, v1, v8
	ds_bpermute_b32 v3, v1, v9
	;; [unrolled: 1-line block ×4, first 2 shown]
	v_xor_b32_e32 v1, 1, v0
	s_delay_alu instid0(VALU_DEP_1)
	v_cmp_gt_i32_e32 vcc_lo, 32, v1
	v_cndmask_b32_e32 v0, v0, v1, vcc_lo
	v_cmp_eq_u32_e32 vcc_lo, 3, v5
	s_wait_dscnt 0x3
	v_add_nc_u32_e32 v1, v2, v8
	s_wait_dscnt 0x2
	v_dual_lshlrev_b32 v12, 2, v0 :: v_dual_add_nc_u32 v0, v3, v9
	s_wait_dscnt 0x0
	v_dual_add_nc_u32 v3, v10, v6 :: v_dual_add_nc_u32 v2, v11, v7
	ds_bpermute_b32 v8, v12, v1
	ds_bpermute_b32 v9, v12, v0
	;; [unrolled: 1-line block ×4, first 2 shown]
	s_and_b32 exec_lo, exec_lo, vcc_lo
	s_cbranch_execz .LBB60_14
; %bb.42:
	s_load_b64 s[0:1], s[0:1], 0x50
	s_wait_dscnt 0x2
	v_dual_add_nc_u32 v1, v8, v1 :: v_dual_add_nc_u32 v5, v9, v0
	s_wait_dscnt 0x0
	v_dual_add_nc_u32 v3, v6, v3 :: v_dual_add_nc_u32 v6, v7, v2
	v_lshlrev_b32_e32 v4, 2, v4
	s_delay_alu instid0(VALU_DEP_3) | instskip(SKIP_1) | instid1(VALU_DEP_4)
	v_mul_lo_u32 v0, v1, s13
	v_mul_lo_u32 v1, v5, s13
	;; [unrolled: 1-line block ×4, first 2 shown]
	s_cmp_eq_u32 s14, 0
	s_cbranch_scc1 .LBB60_44
; %bb.43:
	v_ashrrev_i32_e32 v5, 31, v4
	s_mov_b32 s2, 0
	s_wait_kmcnt 0x0
	s_delay_alu instid0(VALU_DEP_1)
	v_lshl_add_u64 v[10:11], v[4:5], 2, s[0:1]
	global_load_b128 v[6:9], v[10:11], off
	s_wait_loadcnt 0x0
	v_mad_u32 v7, v7, s14, v1
	v_mad_u32 v6, v6, s14, v0
	;; [unrolled: 1-line block ×4, first 2 shown]
	global_store_b128 v[10:11], v[6:9], off
.LBB60_44:
	s_and_not1_b32 vcc_lo, exec_lo, s2
	s_cbranch_vccnz .LBB60_14
; %bb.45:
	v_ashrrev_i32_e32 v5, 31, v4
	s_wait_kmcnt 0x0
	s_delay_alu instid0(VALU_DEP_1)
	v_lshl_add_u64 v[4:5], v[4:5], 2, s[0:1]
	global_store_b128 v[4:5], v[0:3], off
	s_endpgm
	.section	.rodata,"a",@progbits
	.p2align	6, 0x0
	.amdhsa_kernel _ZN9rocsparseL18bsrxmvn_4x4_kernelILj128ELj4EiiiaaiEEvT3_20rocsparse_direction_NS_24const_host_device_scalarIT1_EES1_PKS1_PKT2_SA_S7_PKT4_PKT5_S5_PT6_21rocsparse_index_base_b
		.amdhsa_group_segment_fixed_size 0
		.amdhsa_private_segment_fixed_size 0
		.amdhsa_kernarg_size 96
		.amdhsa_user_sgpr_count 2
		.amdhsa_user_sgpr_dispatch_ptr 0
		.amdhsa_user_sgpr_queue_ptr 0
		.amdhsa_user_sgpr_kernarg_segment_ptr 1
		.amdhsa_user_sgpr_dispatch_id 0
		.amdhsa_user_sgpr_kernarg_preload_length 0
		.amdhsa_user_sgpr_kernarg_preload_offset 0
		.amdhsa_user_sgpr_private_segment_size 0
		.amdhsa_wavefront_size32 1
		.amdhsa_uses_dynamic_stack 0
		.amdhsa_enable_private_segment 0
		.amdhsa_system_sgpr_workgroup_id_x 1
		.amdhsa_system_sgpr_workgroup_id_y 0
		.amdhsa_system_sgpr_workgroup_id_z 0
		.amdhsa_system_sgpr_workgroup_info 0
		.amdhsa_system_vgpr_workitem_id 0
		.amdhsa_next_free_vgpr 48
		.amdhsa_next_free_sgpr 15
		.amdhsa_named_barrier_count 0
		.amdhsa_reserve_vcc 1
		.amdhsa_float_round_mode_32 0
		.amdhsa_float_round_mode_16_64 0
		.amdhsa_float_denorm_mode_32 3
		.amdhsa_float_denorm_mode_16_64 3
		.amdhsa_fp16_overflow 0
		.amdhsa_memory_ordered 1
		.amdhsa_forward_progress 1
		.amdhsa_inst_pref_size 23
		.amdhsa_round_robin_scheduling 0
		.amdhsa_exception_fp_ieee_invalid_op 0
		.amdhsa_exception_fp_denorm_src 0
		.amdhsa_exception_fp_ieee_div_zero 0
		.amdhsa_exception_fp_ieee_overflow 0
		.amdhsa_exception_fp_ieee_underflow 0
		.amdhsa_exception_fp_ieee_inexact 0
		.amdhsa_exception_int_div_zero 0
	.end_amdhsa_kernel
	.section	.text._ZN9rocsparseL18bsrxmvn_4x4_kernelILj128ELj4EiiiaaiEEvT3_20rocsparse_direction_NS_24const_host_device_scalarIT1_EES1_PKS1_PKT2_SA_S7_PKT4_PKT5_S5_PT6_21rocsparse_index_base_b,"axG",@progbits,_ZN9rocsparseL18bsrxmvn_4x4_kernelILj128ELj4EiiiaaiEEvT3_20rocsparse_direction_NS_24const_host_device_scalarIT1_EES1_PKS1_PKT2_SA_S7_PKT4_PKT5_S5_PT6_21rocsparse_index_base_b,comdat
.Lfunc_end60:
	.size	_ZN9rocsparseL18bsrxmvn_4x4_kernelILj128ELj4EiiiaaiEEvT3_20rocsparse_direction_NS_24const_host_device_scalarIT1_EES1_PKS1_PKT2_SA_S7_PKT4_PKT5_S5_PT6_21rocsparse_index_base_b, .Lfunc_end60-_ZN9rocsparseL18bsrxmvn_4x4_kernelILj128ELj4EiiiaaiEEvT3_20rocsparse_direction_NS_24const_host_device_scalarIT1_EES1_PKS1_PKT2_SA_S7_PKT4_PKT5_S5_PT6_21rocsparse_index_base_b
                                        ; -- End function
	.set _ZN9rocsparseL18bsrxmvn_4x4_kernelILj128ELj4EiiiaaiEEvT3_20rocsparse_direction_NS_24const_host_device_scalarIT1_EES1_PKS1_PKT2_SA_S7_PKT4_PKT5_S5_PT6_21rocsparse_index_base_b.num_vgpr, 48
	.set _ZN9rocsparseL18bsrxmvn_4x4_kernelILj128ELj4EiiiaaiEEvT3_20rocsparse_direction_NS_24const_host_device_scalarIT1_EES1_PKS1_PKT2_SA_S7_PKT4_PKT5_S5_PT6_21rocsparse_index_base_b.num_agpr, 0
	.set _ZN9rocsparseL18bsrxmvn_4x4_kernelILj128ELj4EiiiaaiEEvT3_20rocsparse_direction_NS_24const_host_device_scalarIT1_EES1_PKS1_PKT2_SA_S7_PKT4_PKT5_S5_PT6_21rocsparse_index_base_b.numbered_sgpr, 15
	.set _ZN9rocsparseL18bsrxmvn_4x4_kernelILj128ELj4EiiiaaiEEvT3_20rocsparse_direction_NS_24const_host_device_scalarIT1_EES1_PKS1_PKT2_SA_S7_PKT4_PKT5_S5_PT6_21rocsparse_index_base_b.num_named_barrier, 0
	.set _ZN9rocsparseL18bsrxmvn_4x4_kernelILj128ELj4EiiiaaiEEvT3_20rocsparse_direction_NS_24const_host_device_scalarIT1_EES1_PKS1_PKT2_SA_S7_PKT4_PKT5_S5_PT6_21rocsparse_index_base_b.private_seg_size, 0
	.set _ZN9rocsparseL18bsrxmvn_4x4_kernelILj128ELj4EiiiaaiEEvT3_20rocsparse_direction_NS_24const_host_device_scalarIT1_EES1_PKS1_PKT2_SA_S7_PKT4_PKT5_S5_PT6_21rocsparse_index_base_b.uses_vcc, 1
	.set _ZN9rocsparseL18bsrxmvn_4x4_kernelILj128ELj4EiiiaaiEEvT3_20rocsparse_direction_NS_24const_host_device_scalarIT1_EES1_PKS1_PKT2_SA_S7_PKT4_PKT5_S5_PT6_21rocsparse_index_base_b.uses_flat_scratch, 0
	.set _ZN9rocsparseL18bsrxmvn_4x4_kernelILj128ELj4EiiiaaiEEvT3_20rocsparse_direction_NS_24const_host_device_scalarIT1_EES1_PKS1_PKT2_SA_S7_PKT4_PKT5_S5_PT6_21rocsparse_index_base_b.has_dyn_sized_stack, 0
	.set _ZN9rocsparseL18bsrxmvn_4x4_kernelILj128ELj4EiiiaaiEEvT3_20rocsparse_direction_NS_24const_host_device_scalarIT1_EES1_PKS1_PKT2_SA_S7_PKT4_PKT5_S5_PT6_21rocsparse_index_base_b.has_recursion, 0
	.set _ZN9rocsparseL18bsrxmvn_4x4_kernelILj128ELj4EiiiaaiEEvT3_20rocsparse_direction_NS_24const_host_device_scalarIT1_EES1_PKS1_PKT2_SA_S7_PKT4_PKT5_S5_PT6_21rocsparse_index_base_b.has_indirect_call, 0
	.section	.AMDGPU.csdata,"",@progbits
; Kernel info:
; codeLenInByte = 2932
; TotalNumSgprs: 17
; NumVgprs: 48
; ScratchSize: 0
; MemoryBound: 0
; FloatMode: 240
; IeeeMode: 1
; LDSByteSize: 0 bytes/workgroup (compile time only)
; SGPRBlocks: 0
; VGPRBlocks: 2
; NumSGPRsForWavesPerEU: 17
; NumVGPRsForWavesPerEU: 48
; NamedBarCnt: 0
; Occupancy: 16
; WaveLimiterHint : 1
; COMPUTE_PGM_RSRC2:SCRATCH_EN: 0
; COMPUTE_PGM_RSRC2:USER_SGPR: 2
; COMPUTE_PGM_RSRC2:TRAP_HANDLER: 0
; COMPUTE_PGM_RSRC2:TGID_X_EN: 1
; COMPUTE_PGM_RSRC2:TGID_Y_EN: 0
; COMPUTE_PGM_RSRC2:TGID_Z_EN: 0
; COMPUTE_PGM_RSRC2:TIDIG_COMP_CNT: 0
	.section	.text._ZN9rocsparseL18bsrxmvn_4x4_kernelILj128ELj8EiiiaaiEEvT3_20rocsparse_direction_NS_24const_host_device_scalarIT1_EES1_PKS1_PKT2_SA_S7_PKT4_PKT5_S5_PT6_21rocsparse_index_base_b,"axG",@progbits,_ZN9rocsparseL18bsrxmvn_4x4_kernelILj128ELj8EiiiaaiEEvT3_20rocsparse_direction_NS_24const_host_device_scalarIT1_EES1_PKS1_PKT2_SA_S7_PKT4_PKT5_S5_PT6_21rocsparse_index_base_b,comdat
	.globl	_ZN9rocsparseL18bsrxmvn_4x4_kernelILj128ELj8EiiiaaiEEvT3_20rocsparse_direction_NS_24const_host_device_scalarIT1_EES1_PKS1_PKT2_SA_S7_PKT4_PKT5_S5_PT6_21rocsparse_index_base_b ; -- Begin function _ZN9rocsparseL18bsrxmvn_4x4_kernelILj128ELj8EiiiaaiEEvT3_20rocsparse_direction_NS_24const_host_device_scalarIT1_EES1_PKS1_PKT2_SA_S7_PKT4_PKT5_S5_PT6_21rocsparse_index_base_b
	.p2align	8
	.type	_ZN9rocsparseL18bsrxmvn_4x4_kernelILj128ELj8EiiiaaiEEvT3_20rocsparse_direction_NS_24const_host_device_scalarIT1_EES1_PKS1_PKT2_SA_S7_PKT4_PKT5_S5_PT6_21rocsparse_index_base_b,@function
_ZN9rocsparseL18bsrxmvn_4x4_kernelILj128ELj8EiiiaaiEEvT3_20rocsparse_direction_NS_24const_host_device_scalarIT1_EES1_PKS1_PKT2_SA_S7_PKT4_PKT5_S5_PT6_21rocsparse_index_base_b: ; @_ZN9rocsparseL18bsrxmvn_4x4_kernelILj128ELj8EiiiaaiEEvT3_20rocsparse_direction_NS_24const_host_device_scalarIT1_EES1_PKS1_PKT2_SA_S7_PKT4_PKT5_S5_PT6_21rocsparse_index_base_b
; %bb.0:
	s_clause 0x1
	s_load_b64 s[12:13], s[0:1], 0x58
	s_load_b64 s[4:5], s[0:1], 0x8
	s_mov_b32 s7, -1
	s_wait_kmcnt 0x0
	s_bitcmp1_b32 s13, 0
                                        ; implicit-def: $sgpr13
	s_cselect_b32 s2, -1, 0
	s_delay_alu instid0(SALU_CYCLE_1) | instskip(NEXT) | instid1(SALU_CYCLE_1)
	s_xor_b32 s6, s2, -1
	s_and_b32 vcc_lo, exec_lo, s6
	s_cbranch_vccnz .LBB61_4
; %bb.1:
	s_load_b64 s[2:3], s[0:1], 0x48
	s_and_not1_b32 vcc_lo, exec_lo, s7
	s_cbranch_vccz .LBB61_5
.LBB61_2:
	s_and_b32 vcc_lo, exec_lo, s6
	s_cbranch_vccz .LBB61_6
.LBB61_3:
	s_wait_kmcnt 0x0
	s_load_b32 s14, s[2:3], 0x0
	s_wait_xcnt 0x0
	s_cbranch_execz .LBB61_7
	s_branch .LBB61_8
.LBB61_4:
	s_load_b32 s13, s[4:5], 0x0
	s_load_b64 s[2:3], s[0:1], 0x48
	s_cbranch_execnz .LBB61_2
.LBB61_5:
	s_wait_kmcnt 0x0
	s_mov_b32 s13, s4
	s_and_b32 vcc_lo, exec_lo, s6
	s_cbranch_vccnz .LBB61_3
.LBB61_6:
	s_wait_kmcnt 0x0
                                        ; implicit-def: $sgpr14
.LBB61_7:
	s_wait_kmcnt 0x0
	s_mov_b32 s14, s2
.LBB61_8:
	s_cmp_lg_u32 s13, 0
	s_mov_b32 s6, 0
	s_cselect_b32 s2, -1, 0
	s_wait_kmcnt 0x0
	s_cmp_lg_u32 s14, 1
	s_cselect_b32 s3, -1, 0
	s_delay_alu instid0(SALU_CYCLE_1) | instskip(NEXT) | instid1(SALU_CYCLE_1)
	s_or_b32 s2, s2, s3
	s_and_not1_b32 vcc_lo, exec_lo, s2
	s_cbranch_vccnz .LBB61_14
; %bb.9:
	s_clause 0x1
	s_load_b64 s[4:5], s[0:1], 0x18
	s_load_b64 s[2:3], s[0:1], 0x0
	s_bfe_u32 s7, ttmp6, 0x4000c
	s_and_b32 s8, ttmp6, 15
	s_add_co_i32 s7, s7, 1
	s_getreg_b32 s9, hwreg(HW_REG_IB_STS2, 6, 4)
	s_mul_i32 s7, ttmp9, s7
	v_lshrrev_b32_e32 v1, 3, v0
	s_add_co_i32 s8, s8, s7
	s_cmp_eq_u32 s9, 0
	s_cselect_b32 s7, ttmp9, s8
	s_delay_alu instid0(VALU_DEP_1) | instid1(SALU_CYCLE_1)
	v_lshl_or_b32 v4, s7, 4, v1
	s_wait_kmcnt 0x0
	s_cmp_lg_u64 s[4:5], 0
	s_cbranch_scc0 .LBB61_15
; %bb.10:
	s_load_b32 s6, s[0:1], 0x10
	s_mov_b32 s7, 0
                                        ; implicit-def: $vgpr1
	s_wait_kmcnt 0x0
	v_cmp_gt_i32_e32 vcc_lo, s6, v4
	s_mov_b32 s6, 0
	s_and_saveexec_b32 s8, vcc_lo
	s_delay_alu instid0(SALU_CYCLE_1)
	s_xor_b32 s8, exec_lo, s8
	s_cbranch_execz .LBB61_12
; %bb.11:
	global_load_b32 v1, v4, s[4:5] scale_offset
	s_mov_b32 s6, exec_lo
	s_wait_loadcnt 0x0
	v_subrev_nc_u32_e32 v1, s12, v1
.LBB61_12:
	s_or_b32 exec_lo, exec_lo, s8
	s_delay_alu instid0(SALU_CYCLE_1)
	s_and_b32 vcc_lo, exec_lo, s7
	s_cbranch_vccz .LBB61_16
.LBB61_13:
	v_cmp_gt_i32_e32 vcc_lo, s2, v4
	s_and_not1_b32 s2, s6, exec_lo
	s_and_b32 s4, vcc_lo, exec_lo
	s_delay_alu instid0(SALU_CYCLE_1) | instskip(NEXT) | instid1(SALU_CYCLE_1)
	s_or_b32 s6, s2, s4
	s_and_saveexec_b32 s2, s6
	s_cbranch_execnz .LBB61_17
.LBB61_14:
	s_endpgm
.LBB61_15:
                                        ; implicit-def: $vgpr1
	s_cbranch_execnz .LBB61_13
.LBB61_16:
	s_delay_alu instid0(VALU_DEP_1)
	v_mov_b32_e32 v4, v1
	s_and_saveexec_b32 s2, s6
	s_cbranch_execz .LBB61_14
.LBB61_17:
	s_load_b256 s[4:11], s[0:1], 0x20
	s_wait_kmcnt 0x0
	s_cmp_eq_u64 s[6:7], 0
	global_load_b32 v13, v4, s[4:5] scale_offset
	s_cselect_b32 vcc_lo, -1, 0
	v_ashrrev_i32_e32 v5, 31, v4
	s_cmp_eq_u32 s3, 1
	s_delay_alu instid0(VALU_DEP_1) | instskip(SKIP_1) | instid1(VALU_DEP_2)
	v_lshlrev_b64_e32 v[2:3], 2, v[4:5]
	v_and_b32_e32 v5, 7, v0
	v_add_nc_u64_e32 v[6:7], s[4:5], v[2:3]
	v_add_nc_u64_e32 v[2:3], s[6:7], v[2:3]
	s_wait_xcnt 0x0
	s_load_b64 s[4:5], s[0:1], 0x40
	s_delay_alu instid0(VALU_DEP_2) | instskip(NEXT) | instid1(VALU_DEP_1)
	v_add_nc_u64_e32 v[6:7], 4, v[6:7]
	v_dual_cndmask_b32 v3, v3, v7 :: v_dual_cndmask_b32 v2, v2, v6
	global_load_b32 v2, v[2:3], off
	s_wait_loadcnt 0x1
	v_subrev_nc_u32_e32 v0, s12, v13
	s_delay_alu instid0(VALU_DEP_1) | instskip(NEXT) | instid1(VALU_DEP_1)
	v_add_nc_u32_e32 v0, v0, v5
	v_ashrrev_i32_e32 v1, 31, v0
	s_wait_loadcnt 0x0
	v_subrev_nc_u32_e32 v12, s12, v2
	s_delay_alu instid0(VALU_DEP_2) | instskip(NEXT) | instid1(VALU_DEP_2)
	v_lshl_add_u64 v[2:3], v[0:1], 4, s[10:11]
	v_cmp_lt_i32_e64 s2, v0, v12
	s_cbranch_scc1 .LBB61_29
; %bb.18:
	v_dual_mov_b32 v7, 0 :: v_dual_mov_b32 v6, 0
	v_dual_mov_b32 v9, 0 :: v_dual_mov_b32 v8, 0
	s_and_saveexec_b32 s3, s2
	s_cbranch_execz .LBB61_28
; %bb.19:
	v_add_nc_u32_e32 v1, v13, v5
	v_not_b32_e32 v6, v13
	v_mov_b64_e32 v[8:9], 0
	s_delay_alu instid0(VALU_DEP_3) | instskip(NEXT) | instid1(VALU_DEP_1)
	v_subrev_nc_u32_e32 v1, s12, v1
	v_add_max_i32_e64 v1, v1, 8, v12
	s_delay_alu instid0(VALU_DEP_1) | instskip(SKIP_1) | instid1(VALU_DEP_2)
	v_add3_u32 v1, s12, v1, v6
	v_mov_b64_e32 v[6:7], 0
	v_dual_mov_b32 v1, v0 :: v_dual_sub_nc_u32 v14, v1, v5
	s_delay_alu instid0(VALU_DEP_1) | instskip(NEXT) | instid1(VALU_DEP_1)
	v_and_b32_e32 v10, 24, v14
	v_cmp_ne_u32_e32 vcc_lo, 24, v10
	v_mov_b64_e32 v[10:11], v[2:3]
	s_and_saveexec_b32 s6, vcc_lo
	s_cbranch_execz .LBB61_23
; %bb.20:
	v_dual_mov_b32 v8, 0 :: v_dual_lshrrev_b32 v1, 3, v14
	v_mov_b64_e32 v[10:11], v[2:3]
	s_mov_b32 s7, 0
	s_delay_alu instid0(VALU_DEP_2) | instskip(NEXT) | instid1(VALU_DEP_1)
	v_dual_mov_b32 v9, 0 :: v_dual_add_nc_u32 v1, 1, v1
	v_dual_mov_b32 v6, 0 :: v_dual_bitop2_b32 v1, 3, v1 bitop3:0x40
	s_delay_alu instid0(VALU_DEP_1)
	v_dual_mov_b32 v7, 0 :: v_dual_sub_nc_u32 v15, 0, v1
	v_mov_b32_e32 v1, v0
.LBB61_21:                              ; =>This Inner Loop Header: Depth=1
	global_load_b32 v16, v1, s[8:9] scale_offset
	s_wait_xcnt 0x0
	v_add_nc_u32_e32 v1, 8, v1
	v_add_co_u32 v15, s10, v15, 1
	s_or_b32 s7, s10, s7
	s_wait_loadcnt 0x0
	v_subrev_nc_u32_e32 v20, s12, v16
	global_load_b128 v[16:19], v[10:11], off
	s_wait_kmcnt 0x0
	global_load_b32 v21, v20, s[4:5] scale_offset
	s_wait_xcnt 0x1
	v_add_nc_u64_e32 v[10:11], 0x80, v[10:11]
	s_wait_loadcnt 0x0
	v_dot4_i32_iu8 v9, v21, v17, v9 neg_lo:[1,1,0]
	v_dot4_i32_iu8 v8, v21, v16, v8 neg_lo:[1,1,0]
	;; [unrolled: 1-line block ×4, first 2 shown]
	s_and_not1_b32 exec_lo, exec_lo, s7
	s_cbranch_execnz .LBB61_21
; %bb.22:
	s_or_b32 exec_lo, exec_lo, s7
.LBB61_23:
	s_delay_alu instid0(SALU_CYCLE_1) | instskip(NEXT) | instid1(SALU_CYCLE_1)
	s_or_b32 exec_lo, exec_lo, s6
	s_mov_b32 s6, exec_lo
	v_cmpx_lt_u32_e32 23, v14
	s_cbranch_execz .LBB61_27
; %bb.24:
	s_mov_b32 s7, 0
.LBB61_25:                              ; =>This Inner Loop Header: Depth=1
	s_clause 0x3
	global_load_b32 v26, v1, s[8:9] scale_offset
	global_load_b32 v27, v1, s[8:9] offset:32 scale_offset
	global_load_b32 v28, v1, s[8:9] offset:64 scale_offset
	;; [unrolled: 1-line block ×3, first 2 shown]
	s_clause 0x2
	global_load_b128 v[14:17], v[10:11], off
	global_load_b128 v[18:21], v[10:11], off offset:128
	global_load_b128 v[22:25], v[10:11], off offset:256
	s_wait_xcnt 0x3
	v_add_nc_u32_e32 v1, 32, v1
	s_delay_alu instid0(VALU_DEP_1)
	v_cmp_ge_i32_e32 vcc_lo, v1, v12
	s_or_b32 s7, vcc_lo, s7
	s_wait_loadcnt 0x6
	v_subrev_nc_u32_e32 v26, s12, v26
	s_wait_loadcnt 0x5
	v_subrev_nc_u32_e32 v27, s12, v27
	;; [unrolled: 2-line block ×4, first 2 shown]
	s_wait_kmcnt 0x0
	s_clause 0x2
	global_load_b32 v30, v26, s[4:5] scale_offset
	global_load_b32 v32, v27, s[4:5] scale_offset
	;; [unrolled: 1-line block ×3, first 2 shown]
	global_load_b128 v[26:29], v[10:11], off offset:384
	global_load_b32 v35, v33, s[4:5] scale_offset
	s_wait_xcnt 0x1
	v_add_nc_u64_e32 v[10:11], 0x200, v[10:11]
	s_wait_loadcnt 0x4
	v_dot4_i32_iu8 v9, v30, v15, v9 neg_lo:[1,1,0]
	v_dot4_i32_iu8 v8, v30, v14, v8 neg_lo:[1,1,0]
	v_dot4_i32_iu8 v7, v30, v17, v7 neg_lo:[1,1,0]
	v_dot4_i32_iu8 v6, v30, v16, v6 neg_lo:[1,1,0]
	s_wait_loadcnt 0x3
	v_dot4_i32_iu8 v9, v32, v19, v9 neg_lo:[1,1,0]
	v_dot4_i32_iu8 v8, v32, v18, v8 neg_lo:[1,1,0]
	v_dot4_i32_iu8 v7, v32, v21, v7 neg_lo:[1,1,0]
	v_dot4_i32_iu8 v6, v32, v20, v6 neg_lo:[1,1,0]
	;; [unrolled: 5-line block ×4, first 2 shown]
	s_and_not1_b32 exec_lo, exec_lo, s7
	s_cbranch_execnz .LBB61_25
; %bb.26:
	s_or_b32 exec_lo, exec_lo, s7
.LBB61_27:
	s_delay_alu instid0(SALU_CYCLE_1)
	s_or_b32 exec_lo, exec_lo, s6
.LBB61_28:
	s_delay_alu instid0(SALU_CYCLE_1)
	s_or_b32 exec_lo, exec_lo, s3
	s_cbranch_execz .LBB61_30
	s_branch .LBB61_41
.LBB61_29:
                                        ; implicit-def: $vgpr7
                                        ; implicit-def: $vgpr9
.LBB61_30:
	v_dual_mov_b32 v7, 0 :: v_dual_mov_b32 v6, 0
	v_dual_mov_b32 v9, 0 :: v_dual_mov_b32 v8, 0
	s_and_saveexec_b32 s3, s2
	s_cbranch_execz .LBB61_40
; %bb.31:
	v_add_nc_u32_e32 v1, v13, v5
	v_not_b32_e32 v6, v13
	v_mov_b64_e32 v[8:9], 0
	s_mov_b32 s2, exec_lo
	s_delay_alu instid0(VALU_DEP_3) | instskip(NEXT) | instid1(VALU_DEP_1)
	v_subrev_nc_u32_e32 v1, s12, v1
	v_add_max_i32_e64 v1, v1, 8, v12
	s_delay_alu instid0(VALU_DEP_1) | instskip(SKIP_1) | instid1(VALU_DEP_2)
	v_add3_u32 v1, s12, v1, v6
	v_mov_b64_e32 v[6:7], 0
	v_sub_nc_u32_e32 v1, v1, v5
	s_delay_alu instid0(VALU_DEP_1) | instskip(NEXT) | instid1(VALU_DEP_1)
	v_and_b32_e32 v10, 24, v1
	v_cmpx_ne_u32_e32 24, v10
	s_cbranch_execz .LBB61_35
; %bb.32:
	v_dual_lshrrev_b32 v6, 3, v1 :: v_dual_mov_b32 v8, 0
	s_mov_b32 s6, 0
	s_delay_alu instid0(VALU_DEP_1) | instskip(NEXT) | instid1(VALU_DEP_1)
	v_dual_mov_b32 v9, 0 :: v_dual_add_nc_u32 v6, 1, v6
	v_dual_mov_b32 v6, 0 :: v_dual_bitop2_b32 v7, 3, v6 bitop3:0x40
	s_delay_alu instid0(VALU_DEP_1)
	v_dual_mov_b32 v7, 0 :: v_dual_sub_nc_u32 v10, 0, v7
.LBB61_33:                              ; =>This Inner Loop Header: Depth=1
	global_load_b32 v11, v0, s[8:9] scale_offset
	global_load_b128 v[14:17], v[2:3], off
	s_wait_xcnt 0x0
	v_add_nc_u64_e32 v[2:3], 0x80, v[2:3]
	v_add_co_u32 v10, s7, v10, 1
	s_or_b32 s6, s7, s6
	s_wait_loadcnt 0x1
	v_subrev_nc_u32_e32 v11, s12, v11
	s_wait_loadcnt 0x0
	v_perm_b32 v13, v15, v14, 0xc0c0501
	v_perm_b32 v18, v17, v16, 0x5010c0c
	v_perm_b32 v19, v15, v14, 0xc0c0400
	v_perm_b32 v20, v17, v16, 0x4000c0c
	s_wait_kmcnt 0x0
	global_load_b32 v11, v11, s[4:5] scale_offset
	v_perm_b32 v21, v15, v14, 0xc0c0703
	v_perm_b32 v22, v17, v16, 0x7030c0c
	;; [unrolled: 1-line block ×4, first 2 shown]
	v_dual_add_nc_u32 v0, 8, v0 :: v_dual_bitop2_b32 v13, v18, v13 bitop3:0x54
	v_or_b32_e32 v16, v20, v19
	v_or_b32_e32 v17, v22, v21
	s_delay_alu instid0(VALU_DEP_4)
	v_or_b32_e32 v14, v15, v14
	s_wait_loadcnt 0x0
	v_dot4_i32_iu8 v9, v11, v13, v9 neg_lo:[1,1,0]
	v_dot4_i32_iu8 v8, v11, v16, v8 neg_lo:[1,1,0]
	;; [unrolled: 1-line block ×4, first 2 shown]
	s_and_not1_b32 exec_lo, exec_lo, s6
	s_cbranch_execnz .LBB61_33
; %bb.34:
	s_or_b32 exec_lo, exec_lo, s6
.LBB61_35:
	s_delay_alu instid0(SALU_CYCLE_1) | instskip(NEXT) | instid1(SALU_CYCLE_1)
	s_or_b32 exec_lo, exec_lo, s2
	s_mov_b32 s2, exec_lo
	v_cmpx_lt_u32_e32 23, v1
	s_cbranch_execz .LBB61_39
; %bb.36:
	s_mov_b32 s6, 0
.LBB61_37:                              ; =>This Inner Loop Header: Depth=1
	s_clause 0x3
	global_load_b32 v1, v0, s[8:9] scale_offset
	global_load_b32 v10, v0, s[8:9] offset:32 scale_offset
	global_load_b32 v11, v0, s[8:9] offset:64 scale_offset
	;; [unrolled: 1-line block ×3, first 2 shown]
	s_clause 0x3
	global_load_b128 v[14:17], v[2:3], off
	global_load_b128 v[18:21], v[2:3], off offset:128
	global_load_b128 v[22:25], v[2:3], off offset:256
	global_load_b128 v[26:29], v[2:3], off offset:384
	s_wait_xcnt 0x0
	v_add_nc_u64_e32 v[2:3], 0x200, v[2:3]
	s_wait_loadcnt 0x7
	v_subrev_nc_u32_e32 v1, s12, v1
	s_wait_loadcnt 0x6
	v_subrev_nc_u32_e32 v10, s12, v10
	;; [unrolled: 2-line block ×4, first 2 shown]
	s_wait_loadcnt 0x3
	v_perm_b32 v32, v15, v14, 0xc0c0501
	s_wait_kmcnt 0x0
	s_clause 0x3
	global_load_b32 v1, v1, s[4:5] scale_offset
	global_load_b32 v10, v10, s[4:5] scale_offset
	;; [unrolled: 1-line block ×4, first 2 shown]
	s_wait_xcnt 0x1
	v_perm_b32 v11, v15, v14, 0xc0c0400
	s_wait_xcnt 0x0
	v_perm_b32 v13, v17, v16, 0x4000c0c
	v_perm_b32 v33, v17, v16, 0x5010c0c
	;; [unrolled: 1-line block ×6, first 2 shown]
	v_dual_add_nc_u32 v0, 32, v0 :: v_dual_bitop2_b32 v11, v13, v11 bitop3:0x54
	s_wait_loadcnt 0x6
	v_perm_b32 v16, v19, v18, 0xc0c0501
	v_perm_b32 v17, v21, v20, 0x5010c0c
	v_perm_b32 v36, v19, v18, 0xc0c0400
	v_perm_b32 v37, v21, v20, 0x4000c0c
	v_perm_b32 v38, v19, v18, 0xc0c0703
	v_perm_b32 v39, v21, v20, 0x7030c0c
	v_perm_b32 v18, v19, v18, 0xc0c0602
	v_perm_b32 v19, v21, v20, 0x6020c0c
	s_wait_loadcnt 0x5
	v_perm_b32 v20, v23, v22, 0xc0c0400
	v_perm_b32 v21, v25, v24, 0x4000c0c
	v_perm_b32 v40, v23, v22, 0xc0c0501
	v_perm_b32 v41, v25, v24, 0x5010c0c
	v_perm_b32 v42, v23, v22, 0xc0c0602
	v_perm_b32 v43, v25, v24, 0x6020c0c
	v_perm_b32 v22, v23, v22, 0xc0c0703
	v_perm_b32 v23, v25, v24, 0x7030c0c
	;; [unrolled: 9-line block ×3, first 2 shown]
	v_or_b32_e32 v13, v33, v32
	v_or_b32_e32 v28, v35, v34
	;; [unrolled: 1-line block ×13, first 2 shown]
	v_cmp_ge_i32_e32 vcc_lo, v0, v12
	s_or_b32 s6, vcc_lo, s6
	s_wait_loadcnt 0x3
	v_dot4_i32_iu8 v9, v1, v13, v9 neg_lo:[1,1,0]
	v_dot4_i32_iu8 v8, v1, v11, v8 neg_lo:[1,1,0]
	;; [unrolled: 1-line block ×4, first 2 shown]
	v_or_b32_e32 v6, v47, v46
	s_wait_loadcnt 0x2
	v_dot4_i32_iu8 v9, v10, v15, v9 neg_lo:[1,1,0]
	v_dot4_i32_iu8 v8, v10, v16, v8 neg_lo:[1,1,0]
	;; [unrolled: 1-line block ×4, first 2 shown]
	v_or_b32_e32 v10, v27, v26
	s_wait_loadcnt 0x1
	v_dot4_i32_iu8 v9, v30, v20, v9 neg_lo:[1,1,0]
	v_dot4_i32_iu8 v8, v30, v19, v8 neg_lo:[1,1,0]
	;; [unrolled: 1-line block ×4, first 2 shown]
	s_wait_loadcnt 0x0
	v_dot4_i32_iu8 v9, v31, v23, v9 neg_lo:[1,1,0]
	v_dot4_i32_iu8 v8, v31, v24, v8 neg_lo:[1,1,0]
	;; [unrolled: 1-line block ×4, first 2 shown]
	s_and_not1_b32 exec_lo, exec_lo, s6
	s_cbranch_execnz .LBB61_37
; %bb.38:
	s_or_b32 exec_lo, exec_lo, s6
.LBB61_39:
	s_delay_alu instid0(SALU_CYCLE_1)
	s_or_b32 exec_lo, exec_lo, s2
.LBB61_40:
	s_delay_alu instid0(SALU_CYCLE_1)
	s_or_b32 exec_lo, exec_lo, s3
.LBB61_41:
	v_mbcnt_lo_u32_b32 v0, -1, 0
	s_mov_b32 s2, -1
	s_delay_alu instid0(VALU_DEP_1) | instskip(SKIP_1) | instid1(VALU_DEP_1)
	v_xor_b32_e32 v11, 2, v0
	v_xor_b32_e32 v1, 4, v0
	v_cmp_gt_i32_e32 vcc_lo, 32, v1
	v_cndmask_b32_e32 v1, v0, v1, vcc_lo
	s_delay_alu instid0(VALU_DEP_4) | instskip(SKIP_1) | instid1(VALU_DEP_1)
	v_cmp_gt_i32_e32 vcc_lo, 32, v11
	v_cndmask_b32_e32 v11, v0, v11, vcc_lo
	v_dual_lshlrev_b32 v11, 2, v11 :: v_dual_lshlrev_b32 v1, 2, v1
	ds_bpermute_b32 v2, v1, v8
	s_wait_dscnt 0x0
	v_add_nc_u32_e32 v2, v2, v8
	ds_bpermute_b32 v3, v1, v9
	ds_bpermute_b32 v10, v1, v6
	;; [unrolled: 1-line block ×3, first 2 shown]
	s_wait_dscnt 0x1
	v_dual_add_nc_u32 v3, v3, v9 :: v_dual_add_nc_u32 v6, v10, v6
	s_wait_dscnt 0x0
	v_add_nc_u32_e32 v7, v1, v7
	ds_bpermute_b32 v1, v11, v2
	ds_bpermute_b32 v8, v11, v3
	;; [unrolled: 1-line block ×4, first 2 shown]
	s_wait_dscnt 0x3
	v_dual_add_nc_u32 v1, v1, v2 :: v_dual_bitop2_b32 v11, 1, v0 bitop3:0x14
	s_delay_alu instid0(VALU_DEP_1) | instskip(SKIP_4) | instid1(VALU_DEP_2)
	v_cmp_gt_i32_e32 vcc_lo, 32, v11
	s_wait_dscnt 0x0
	v_add_nc_u32_e32 v2, v10, v7
	v_cndmask_b32_e32 v0, v0, v11, vcc_lo
	v_cmp_eq_u32_e32 vcc_lo, 7, v5
	v_dual_lshlrev_b32 v11, 2, v0 :: v_dual_add_nc_u32 v0, v8, v3
	v_add_nc_u32_e32 v3, v9, v6
	ds_bpermute_b32 v8, v11, v1
	ds_bpermute_b32 v9, v11, v0
	;; [unrolled: 1-line block ×4, first 2 shown]
	s_and_b32 exec_lo, exec_lo, vcc_lo
	s_cbranch_execz .LBB61_14
; %bb.42:
	s_load_b64 s[0:1], s[0:1], 0x50
	s_wait_dscnt 0x2
	v_dual_add_nc_u32 v1, v8, v1 :: v_dual_add_nc_u32 v5, v9, v0
	s_wait_dscnt 0x0
	v_dual_add_nc_u32 v3, v6, v3 :: v_dual_add_nc_u32 v6, v7, v2
	v_lshlrev_b32_e32 v4, 2, v4
	s_delay_alu instid0(VALU_DEP_3) | instskip(SKIP_1) | instid1(VALU_DEP_4)
	v_mul_lo_u32 v0, v1, s13
	v_mul_lo_u32 v1, v5, s13
	;; [unrolled: 1-line block ×4, first 2 shown]
	s_cmp_eq_u32 s14, 0
	s_cbranch_scc1 .LBB61_44
; %bb.43:
	v_ashrrev_i32_e32 v5, 31, v4
	s_mov_b32 s2, 0
	s_wait_kmcnt 0x0
	s_delay_alu instid0(VALU_DEP_1)
	v_lshl_add_u64 v[10:11], v[4:5], 2, s[0:1]
	global_load_b128 v[6:9], v[10:11], off
	s_wait_loadcnt 0x0
	v_mad_u32 v7, v7, s14, v1
	v_mad_u32 v6, v6, s14, v0
	;; [unrolled: 1-line block ×4, first 2 shown]
	global_store_b128 v[10:11], v[6:9], off
.LBB61_44:
	s_and_not1_b32 vcc_lo, exec_lo, s2
	s_cbranch_vccnz .LBB61_14
; %bb.45:
	v_ashrrev_i32_e32 v5, 31, v4
	s_wait_kmcnt 0x0
	s_delay_alu instid0(VALU_DEP_1)
	v_lshl_add_u64 v[4:5], v[4:5], 2, s[0:1]
	global_store_b128 v[4:5], v[0:3], off
	s_endpgm
	.section	.rodata,"a",@progbits
	.p2align	6, 0x0
	.amdhsa_kernel _ZN9rocsparseL18bsrxmvn_4x4_kernelILj128ELj8EiiiaaiEEvT3_20rocsparse_direction_NS_24const_host_device_scalarIT1_EES1_PKS1_PKT2_SA_S7_PKT4_PKT5_S5_PT6_21rocsparse_index_base_b
		.amdhsa_group_segment_fixed_size 0
		.amdhsa_private_segment_fixed_size 0
		.amdhsa_kernarg_size 96
		.amdhsa_user_sgpr_count 2
		.amdhsa_user_sgpr_dispatch_ptr 0
		.amdhsa_user_sgpr_queue_ptr 0
		.amdhsa_user_sgpr_kernarg_segment_ptr 1
		.amdhsa_user_sgpr_dispatch_id 0
		.amdhsa_user_sgpr_kernarg_preload_length 0
		.amdhsa_user_sgpr_kernarg_preload_offset 0
		.amdhsa_user_sgpr_private_segment_size 0
		.amdhsa_wavefront_size32 1
		.amdhsa_uses_dynamic_stack 0
		.amdhsa_enable_private_segment 0
		.amdhsa_system_sgpr_workgroup_id_x 1
		.amdhsa_system_sgpr_workgroup_id_y 0
		.amdhsa_system_sgpr_workgroup_id_z 0
		.amdhsa_system_sgpr_workgroup_info 0
		.amdhsa_system_vgpr_workitem_id 0
		.amdhsa_next_free_vgpr 48
		.amdhsa_next_free_sgpr 15
		.amdhsa_named_barrier_count 0
		.amdhsa_reserve_vcc 1
		.amdhsa_float_round_mode_32 0
		.amdhsa_float_round_mode_16_64 0
		.amdhsa_float_denorm_mode_32 3
		.amdhsa_float_denorm_mode_16_64 3
		.amdhsa_fp16_overflow 0
		.amdhsa_memory_ordered 1
		.amdhsa_forward_progress 1
		.amdhsa_inst_pref_size 24
		.amdhsa_round_robin_scheduling 0
		.amdhsa_exception_fp_ieee_invalid_op 0
		.amdhsa_exception_fp_denorm_src 0
		.amdhsa_exception_fp_ieee_div_zero 0
		.amdhsa_exception_fp_ieee_overflow 0
		.amdhsa_exception_fp_ieee_underflow 0
		.amdhsa_exception_fp_ieee_inexact 0
		.amdhsa_exception_int_div_zero 0
	.end_amdhsa_kernel
	.section	.text._ZN9rocsparseL18bsrxmvn_4x4_kernelILj128ELj8EiiiaaiEEvT3_20rocsparse_direction_NS_24const_host_device_scalarIT1_EES1_PKS1_PKT2_SA_S7_PKT4_PKT5_S5_PT6_21rocsparse_index_base_b,"axG",@progbits,_ZN9rocsparseL18bsrxmvn_4x4_kernelILj128ELj8EiiiaaiEEvT3_20rocsparse_direction_NS_24const_host_device_scalarIT1_EES1_PKS1_PKT2_SA_S7_PKT4_PKT5_S5_PT6_21rocsparse_index_base_b,comdat
.Lfunc_end61:
	.size	_ZN9rocsparseL18bsrxmvn_4x4_kernelILj128ELj8EiiiaaiEEvT3_20rocsparse_direction_NS_24const_host_device_scalarIT1_EES1_PKS1_PKT2_SA_S7_PKT4_PKT5_S5_PT6_21rocsparse_index_base_b, .Lfunc_end61-_ZN9rocsparseL18bsrxmvn_4x4_kernelILj128ELj8EiiiaaiEEvT3_20rocsparse_direction_NS_24const_host_device_scalarIT1_EES1_PKS1_PKT2_SA_S7_PKT4_PKT5_S5_PT6_21rocsparse_index_base_b
                                        ; -- End function
	.set _ZN9rocsparseL18bsrxmvn_4x4_kernelILj128ELj8EiiiaaiEEvT3_20rocsparse_direction_NS_24const_host_device_scalarIT1_EES1_PKS1_PKT2_SA_S7_PKT4_PKT5_S5_PT6_21rocsparse_index_base_b.num_vgpr, 48
	.set _ZN9rocsparseL18bsrxmvn_4x4_kernelILj128ELj8EiiiaaiEEvT3_20rocsparse_direction_NS_24const_host_device_scalarIT1_EES1_PKS1_PKT2_SA_S7_PKT4_PKT5_S5_PT6_21rocsparse_index_base_b.num_agpr, 0
	.set _ZN9rocsparseL18bsrxmvn_4x4_kernelILj128ELj8EiiiaaiEEvT3_20rocsparse_direction_NS_24const_host_device_scalarIT1_EES1_PKS1_PKT2_SA_S7_PKT4_PKT5_S5_PT6_21rocsparse_index_base_b.numbered_sgpr, 15
	.set _ZN9rocsparseL18bsrxmvn_4x4_kernelILj128ELj8EiiiaaiEEvT3_20rocsparse_direction_NS_24const_host_device_scalarIT1_EES1_PKS1_PKT2_SA_S7_PKT4_PKT5_S5_PT6_21rocsparse_index_base_b.num_named_barrier, 0
	.set _ZN9rocsparseL18bsrxmvn_4x4_kernelILj128ELj8EiiiaaiEEvT3_20rocsparse_direction_NS_24const_host_device_scalarIT1_EES1_PKS1_PKT2_SA_S7_PKT4_PKT5_S5_PT6_21rocsparse_index_base_b.private_seg_size, 0
	.set _ZN9rocsparseL18bsrxmvn_4x4_kernelILj128ELj8EiiiaaiEEvT3_20rocsparse_direction_NS_24const_host_device_scalarIT1_EES1_PKS1_PKT2_SA_S7_PKT4_PKT5_S5_PT6_21rocsparse_index_base_b.uses_vcc, 1
	.set _ZN9rocsparseL18bsrxmvn_4x4_kernelILj128ELj8EiiiaaiEEvT3_20rocsparse_direction_NS_24const_host_device_scalarIT1_EES1_PKS1_PKT2_SA_S7_PKT4_PKT5_S5_PT6_21rocsparse_index_base_b.uses_flat_scratch, 0
	.set _ZN9rocsparseL18bsrxmvn_4x4_kernelILj128ELj8EiiiaaiEEvT3_20rocsparse_direction_NS_24const_host_device_scalarIT1_EES1_PKS1_PKT2_SA_S7_PKT4_PKT5_S5_PT6_21rocsparse_index_base_b.has_dyn_sized_stack, 0
	.set _ZN9rocsparseL18bsrxmvn_4x4_kernelILj128ELj8EiiiaaiEEvT3_20rocsparse_direction_NS_24const_host_device_scalarIT1_EES1_PKS1_PKT2_SA_S7_PKT4_PKT5_S5_PT6_21rocsparse_index_base_b.has_recursion, 0
	.set _ZN9rocsparseL18bsrxmvn_4x4_kernelILj128ELj8EiiiaaiEEvT3_20rocsparse_direction_NS_24const_host_device_scalarIT1_EES1_PKS1_PKT2_SA_S7_PKT4_PKT5_S5_PT6_21rocsparse_index_base_b.has_indirect_call, 0
	.section	.AMDGPU.csdata,"",@progbits
; Kernel info:
; codeLenInByte = 3020
; TotalNumSgprs: 17
; NumVgprs: 48
; ScratchSize: 0
; MemoryBound: 0
; FloatMode: 240
; IeeeMode: 1
; LDSByteSize: 0 bytes/workgroup (compile time only)
; SGPRBlocks: 0
; VGPRBlocks: 2
; NumSGPRsForWavesPerEU: 17
; NumVGPRsForWavesPerEU: 48
; NamedBarCnt: 0
; Occupancy: 16
; WaveLimiterHint : 1
; COMPUTE_PGM_RSRC2:SCRATCH_EN: 0
; COMPUTE_PGM_RSRC2:USER_SGPR: 2
; COMPUTE_PGM_RSRC2:TRAP_HANDLER: 0
; COMPUTE_PGM_RSRC2:TGID_X_EN: 1
; COMPUTE_PGM_RSRC2:TGID_Y_EN: 0
; COMPUTE_PGM_RSRC2:TGID_Z_EN: 0
; COMPUTE_PGM_RSRC2:TIDIG_COMP_CNT: 0
	.section	.text._ZN9rocsparseL18bsrxmvn_4x4_kernelILj128ELj16EiiiaaiEEvT3_20rocsparse_direction_NS_24const_host_device_scalarIT1_EES1_PKS1_PKT2_SA_S7_PKT4_PKT5_S5_PT6_21rocsparse_index_base_b,"axG",@progbits,_ZN9rocsparseL18bsrxmvn_4x4_kernelILj128ELj16EiiiaaiEEvT3_20rocsparse_direction_NS_24const_host_device_scalarIT1_EES1_PKS1_PKT2_SA_S7_PKT4_PKT5_S5_PT6_21rocsparse_index_base_b,comdat
	.globl	_ZN9rocsparseL18bsrxmvn_4x4_kernelILj128ELj16EiiiaaiEEvT3_20rocsparse_direction_NS_24const_host_device_scalarIT1_EES1_PKS1_PKT2_SA_S7_PKT4_PKT5_S5_PT6_21rocsparse_index_base_b ; -- Begin function _ZN9rocsparseL18bsrxmvn_4x4_kernelILj128ELj16EiiiaaiEEvT3_20rocsparse_direction_NS_24const_host_device_scalarIT1_EES1_PKS1_PKT2_SA_S7_PKT4_PKT5_S5_PT6_21rocsparse_index_base_b
	.p2align	8
	.type	_ZN9rocsparseL18bsrxmvn_4x4_kernelILj128ELj16EiiiaaiEEvT3_20rocsparse_direction_NS_24const_host_device_scalarIT1_EES1_PKS1_PKT2_SA_S7_PKT4_PKT5_S5_PT6_21rocsparse_index_base_b,@function
_ZN9rocsparseL18bsrxmvn_4x4_kernelILj128ELj16EiiiaaiEEvT3_20rocsparse_direction_NS_24const_host_device_scalarIT1_EES1_PKS1_PKT2_SA_S7_PKT4_PKT5_S5_PT6_21rocsparse_index_base_b: ; @_ZN9rocsparseL18bsrxmvn_4x4_kernelILj128ELj16EiiiaaiEEvT3_20rocsparse_direction_NS_24const_host_device_scalarIT1_EES1_PKS1_PKT2_SA_S7_PKT4_PKT5_S5_PT6_21rocsparse_index_base_b
; %bb.0:
	s_clause 0x1
	s_load_b64 s[12:13], s[0:1], 0x58
	s_load_b64 s[4:5], s[0:1], 0x8
	s_mov_b32 s7, -1
	s_wait_kmcnt 0x0
	s_bitcmp1_b32 s13, 0
                                        ; implicit-def: $sgpr13
	s_cselect_b32 s2, -1, 0
	s_delay_alu instid0(SALU_CYCLE_1) | instskip(NEXT) | instid1(SALU_CYCLE_1)
	s_xor_b32 s6, s2, -1
	s_and_b32 vcc_lo, exec_lo, s6
	s_cbranch_vccnz .LBB62_4
; %bb.1:
	s_load_b64 s[2:3], s[0:1], 0x48
	s_and_not1_b32 vcc_lo, exec_lo, s7
	s_cbranch_vccz .LBB62_5
.LBB62_2:
	s_and_b32 vcc_lo, exec_lo, s6
	s_cbranch_vccz .LBB62_6
.LBB62_3:
	s_wait_kmcnt 0x0
	s_load_b32 s14, s[2:3], 0x0
	s_wait_xcnt 0x0
	s_cbranch_execz .LBB62_7
	s_branch .LBB62_8
.LBB62_4:
	s_load_b32 s13, s[4:5], 0x0
	s_load_b64 s[2:3], s[0:1], 0x48
	s_cbranch_execnz .LBB62_2
.LBB62_5:
	s_wait_kmcnt 0x0
	s_mov_b32 s13, s4
	s_and_b32 vcc_lo, exec_lo, s6
	s_cbranch_vccnz .LBB62_3
.LBB62_6:
	s_wait_kmcnt 0x0
                                        ; implicit-def: $sgpr14
.LBB62_7:
	s_wait_kmcnt 0x0
	s_mov_b32 s14, s2
.LBB62_8:
	s_cmp_lg_u32 s13, 0
	s_mov_b32 s6, 0
	s_cselect_b32 s2, -1, 0
	s_wait_kmcnt 0x0
	s_cmp_lg_u32 s14, 1
	s_cselect_b32 s3, -1, 0
	s_delay_alu instid0(SALU_CYCLE_1) | instskip(NEXT) | instid1(SALU_CYCLE_1)
	s_or_b32 s2, s2, s3
	s_and_not1_b32 vcc_lo, exec_lo, s2
	s_cbranch_vccnz .LBB62_14
; %bb.9:
	s_clause 0x1
	s_load_b64 s[4:5], s[0:1], 0x18
	s_load_b64 s[2:3], s[0:1], 0x0
	s_bfe_u32 s7, ttmp6, 0x4000c
	s_and_b32 s8, ttmp6, 15
	s_add_co_i32 s7, s7, 1
	s_getreg_b32 s9, hwreg(HW_REG_IB_STS2, 6, 4)
	s_mul_i32 s7, ttmp9, s7
	v_lshrrev_b32_e32 v1, 4, v0
	s_add_co_i32 s8, s8, s7
	s_cmp_eq_u32 s9, 0
	s_cselect_b32 s7, ttmp9, s8
	s_delay_alu instid0(VALU_DEP_1) | instid1(SALU_CYCLE_1)
	v_lshl_or_b32 v4, s7, 3, v1
	s_wait_kmcnt 0x0
	s_cmp_lg_u64 s[4:5], 0
	s_cbranch_scc0 .LBB62_15
; %bb.10:
	s_load_b32 s6, s[0:1], 0x10
	s_mov_b32 s7, 0
                                        ; implicit-def: $vgpr1
	s_wait_kmcnt 0x0
	v_cmp_gt_i32_e32 vcc_lo, s6, v4
	s_mov_b32 s6, 0
	s_and_saveexec_b32 s8, vcc_lo
	s_delay_alu instid0(SALU_CYCLE_1)
	s_xor_b32 s8, exec_lo, s8
	s_cbranch_execz .LBB62_12
; %bb.11:
	global_load_b32 v1, v4, s[4:5] scale_offset
	s_mov_b32 s6, exec_lo
	s_wait_loadcnt 0x0
	v_subrev_nc_u32_e32 v1, s12, v1
.LBB62_12:
	s_or_b32 exec_lo, exec_lo, s8
	s_delay_alu instid0(SALU_CYCLE_1)
	s_and_b32 vcc_lo, exec_lo, s7
	s_cbranch_vccz .LBB62_16
.LBB62_13:
	v_cmp_gt_i32_e32 vcc_lo, s2, v4
	s_and_not1_b32 s2, s6, exec_lo
	s_and_b32 s4, vcc_lo, exec_lo
	s_delay_alu instid0(SALU_CYCLE_1) | instskip(NEXT) | instid1(SALU_CYCLE_1)
	s_or_b32 s6, s2, s4
	s_and_saveexec_b32 s2, s6
	s_cbranch_execnz .LBB62_17
.LBB62_14:
	s_endpgm
.LBB62_15:
                                        ; implicit-def: $vgpr1
	s_cbranch_execnz .LBB62_13
.LBB62_16:
	s_delay_alu instid0(VALU_DEP_1)
	v_mov_b32_e32 v4, v1
	s_and_saveexec_b32 s2, s6
	s_cbranch_execz .LBB62_14
.LBB62_17:
	s_load_b256 s[4:11], s[0:1], 0x20
	s_wait_kmcnt 0x0
	s_cmp_eq_u64 s[6:7], 0
	global_load_b32 v13, v4, s[4:5] scale_offset
	s_cselect_b32 vcc_lo, -1, 0
	v_ashrrev_i32_e32 v5, 31, v4
	s_cmp_eq_u32 s3, 1
	s_delay_alu instid0(VALU_DEP_1) | instskip(SKIP_1) | instid1(VALU_DEP_2)
	v_lshlrev_b64_e32 v[2:3], 2, v[4:5]
	v_and_b32_e32 v5, 15, v0
	v_add_nc_u64_e32 v[6:7], s[4:5], v[2:3]
	v_add_nc_u64_e32 v[2:3], s[6:7], v[2:3]
	s_wait_xcnt 0x0
	s_load_b64 s[4:5], s[0:1], 0x40
	s_delay_alu instid0(VALU_DEP_2) | instskip(NEXT) | instid1(VALU_DEP_1)
	v_add_nc_u64_e32 v[6:7], 4, v[6:7]
	v_dual_cndmask_b32 v3, v3, v7 :: v_dual_cndmask_b32 v2, v2, v6
	global_load_b32 v1, v[2:3], off
	s_wait_loadcnt 0x1
	v_subrev_nc_u32_e32 v0, s12, v13
	s_delay_alu instid0(VALU_DEP_1) | instskip(NEXT) | instid1(VALU_DEP_1)
	v_add_nc_u32_e32 v6, v0, v5
	v_ashrrev_i32_e32 v7, 31, v6
	s_delay_alu instid0(VALU_DEP_1) | instskip(SKIP_2) | instid1(VALU_DEP_1)
	v_lshl_add_u64 v[8:9], v[6:7], 4, s[10:11]
	s_wait_loadcnt 0x0
	v_subrev_nc_u32_e32 v12, s12, v1
	v_cmp_lt_i32_e64 s2, v6, v12
	s_cbranch_scc1 .LBB62_29
; %bb.18:
	v_dual_mov_b32 v3, 0 :: v_dual_mov_b32 v2, 0
	v_dual_mov_b32 v1, 0 :: v_dual_mov_b32 v0, 0
	s_and_saveexec_b32 s3, s2
	s_cbranch_execz .LBB62_28
; %bb.19:
	v_add_nc_u32_e32 v0, v13, v5
	v_not_b32_e32 v1, v13
	s_mov_b32 s7, 0
	s_delay_alu instid0(VALU_DEP_2) | instskip(NEXT) | instid1(VALU_DEP_1)
	v_subrev_nc_u32_e32 v0, s12, v0
	v_add_max_i32_e64 v0, v0, 16, v12
	s_delay_alu instid0(VALU_DEP_1) | instskip(NEXT) | instid1(VALU_DEP_1)
	v_add3_u32 v0, s12, v0, v1
	v_dual_sub_nc_u32 v14, v0, v5 :: v_dual_mov_b32 v0, 0
	s_delay_alu instid0(VALU_DEP_1) | instskip(NEXT) | instid1(VALU_DEP_2)
	v_dual_mov_b32 v7, v6 :: v_dual_bitop2_b32 v10, 48, v14 bitop3:0x40
	v_dual_mov_b32 v1, v0 :: v_dual_mov_b32 v2, v0
	v_mov_b32_e32 v3, v0
	s_delay_alu instid0(VALU_DEP_3)
	v_cmp_ne_u32_e32 vcc_lo, 48, v10
	v_mov_b64_e32 v[10:11], v[8:9]
	s_and_saveexec_b32 s6, vcc_lo
	s_cbranch_execz .LBB62_23
; %bb.20:
	v_dual_mov_b32 v2, 0 :: v_dual_lshrrev_b32 v1, 4, v14
	v_mov_b64_e32 v[10:11], v[8:9]
	s_delay_alu instid0(VALU_DEP_2) | instskip(NEXT) | instid1(VALU_DEP_1)
	v_dual_mov_b32 v3, 0 :: v_dual_add_nc_u32 v1, 1, v1
	v_dual_mov_b32 v1, 0 :: v_dual_bitop2_b32 v7, 3, v1 bitop3:0x40
	s_delay_alu instid0(VALU_DEP_1)
	v_dual_sub_nc_u32 v15, 0, v7 :: v_dual_mov_b32 v7, v6
.LBB62_21:                              ; =>This Inner Loop Header: Depth=1
	global_load_b32 v16, v7, s[8:9] scale_offset
	s_wait_xcnt 0x0
	v_add_nc_u32_e32 v7, 16, v7
	v_add_co_u32 v15, s10, v15, 1
	s_or_b32 s7, s10, s7
	s_wait_loadcnt 0x0
	v_subrev_nc_u32_e32 v20, s12, v16
	global_load_b128 v[16:19], v[10:11], off
	s_wait_kmcnt 0x0
	global_load_b32 v21, v20, s[4:5] scale_offset
	s_wait_xcnt 0x1
	v_add_nc_u64_e32 v[10:11], 0x100, v[10:11]
	s_wait_loadcnt 0x0
	v_dot4_i32_iu8 v3, v21, v19, v3 neg_lo:[1,1,0]
	v_dot4_i32_iu8 v2, v21, v18, v2 neg_lo:[1,1,0]
	;; [unrolled: 1-line block ×4, first 2 shown]
	s_and_not1_b32 exec_lo, exec_lo, s7
	s_cbranch_execnz .LBB62_21
; %bb.22:
	s_or_b32 exec_lo, exec_lo, s7
.LBB62_23:
	s_delay_alu instid0(SALU_CYCLE_1) | instskip(NEXT) | instid1(SALU_CYCLE_1)
	s_or_b32 exec_lo, exec_lo, s6
	s_mov_b32 s6, exec_lo
	v_cmpx_lt_u32_e32 47, v14
	s_cbranch_execz .LBB62_27
; %bb.24:
	s_mov_b32 s7, 0
.LBB62_25:                              ; =>This Inner Loop Header: Depth=1
	s_clause 0x3
	global_load_b32 v26, v7, s[8:9] scale_offset
	global_load_b32 v27, v7, s[8:9] offset:64 scale_offset
	global_load_b32 v28, v7, s[8:9] offset:128 scale_offset
	;; [unrolled: 1-line block ×3, first 2 shown]
	s_clause 0x2
	global_load_b128 v[14:17], v[10:11], off
	global_load_b128 v[18:21], v[10:11], off offset:256
	global_load_b128 v[22:25], v[10:11], off offset:512
	s_wait_xcnt 0x3
	v_add_nc_u32_e32 v7, 64, v7
	s_delay_alu instid0(VALU_DEP_1)
	v_cmp_ge_i32_e32 vcc_lo, v7, v12
	s_or_b32 s7, vcc_lo, s7
	s_wait_loadcnt 0x6
	v_subrev_nc_u32_e32 v26, s12, v26
	s_wait_loadcnt 0x5
	v_subrev_nc_u32_e32 v27, s12, v27
	;; [unrolled: 2-line block ×4, first 2 shown]
	s_wait_kmcnt 0x0
	s_clause 0x2
	global_load_b32 v30, v26, s[4:5] scale_offset
	global_load_b32 v32, v27, s[4:5] scale_offset
	;; [unrolled: 1-line block ×3, first 2 shown]
	global_load_b128 v[26:29], v[10:11], off offset:768
	global_load_b32 v35, v33, s[4:5] scale_offset
	s_wait_xcnt 0x1
	v_add_nc_u64_e32 v[10:11], 0x400, v[10:11]
	s_wait_loadcnt 0x4
	v_dot4_i32_iu8 v3, v30, v17, v3 neg_lo:[1,1,0]
	v_dot4_i32_iu8 v2, v30, v16, v2 neg_lo:[1,1,0]
	v_dot4_i32_iu8 v1, v30, v15, v1 neg_lo:[1,1,0]
	v_dot4_i32_iu8 v0, v30, v14, v0 neg_lo:[1,1,0]
	s_wait_loadcnt 0x3
	v_dot4_i32_iu8 v3, v32, v21, v3 neg_lo:[1,1,0]
	v_dot4_i32_iu8 v2, v32, v20, v2 neg_lo:[1,1,0]
	v_dot4_i32_iu8 v1, v32, v19, v1 neg_lo:[1,1,0]
	v_dot4_i32_iu8 v0, v32, v18, v0 neg_lo:[1,1,0]
	s_wait_loadcnt 0x2
	v_dot4_i32_iu8 v3, v34, v25, v3 neg_lo:[1,1,0]
	v_dot4_i32_iu8 v2, v34, v24, v2 neg_lo:[1,1,0]
	v_dot4_i32_iu8 v1, v34, v23, v1 neg_lo:[1,1,0]
	v_dot4_i32_iu8 v0, v34, v22, v0 neg_lo:[1,1,0]
	s_wait_loadcnt 0x0
	v_dot4_i32_iu8 v3, v35, v29, v3 neg_lo:[1,1,0]
	v_dot4_i32_iu8 v2, v35, v28, v2 neg_lo:[1,1,0]
	v_dot4_i32_iu8 v1, v35, v27, v1 neg_lo:[1,1,0]
	v_dot4_i32_iu8 v0, v35, v26, v0 neg_lo:[1,1,0]
	s_and_not1_b32 exec_lo, exec_lo, s7
	s_cbranch_execnz .LBB62_25
; %bb.26:
	s_or_b32 exec_lo, exec_lo, s7
.LBB62_27:
	s_delay_alu instid0(SALU_CYCLE_1)
	s_or_b32 exec_lo, exec_lo, s6
.LBB62_28:
	s_delay_alu instid0(SALU_CYCLE_1)
	s_or_b32 exec_lo, exec_lo, s3
	s_cbranch_execz .LBB62_30
	s_branch .LBB62_41
.LBB62_29:
                                        ; implicit-def: $vgpr3
                                        ; implicit-def: $vgpr0
                                        ; implicit-def: $vgpr1
                                        ; implicit-def: $vgpr2
.LBB62_30:
	v_dual_mov_b32 v3, 0 :: v_dual_mov_b32 v2, 0
	v_dual_mov_b32 v1, 0 :: v_dual_mov_b32 v0, 0
	s_and_saveexec_b32 s3, s2
	s_cbranch_execz .LBB62_40
; %bb.31:
	v_add_nc_u32_e32 v0, v13, v5
	v_not_b32_e32 v1, v13
	s_mov_b32 s6, 0
	s_delay_alu instid0(VALU_DEP_2) | instskip(NEXT) | instid1(VALU_DEP_1)
	v_subrev_nc_u32_e32 v0, s12, v0
	v_add_max_i32_e64 v0, v0, 16, v12
	s_delay_alu instid0(VALU_DEP_1) | instskip(NEXT) | instid1(VALU_DEP_1)
	v_add3_u32 v0, s12, v0, v1
	v_dual_mov_b32 v0, 0 :: v_dual_sub_nc_u32 v7, v0, v5
	s_delay_alu instid0(VALU_DEP_1) | instskip(SKIP_1) | instid1(VALU_DEP_2)
	v_dual_mov_b32 v1, v0 :: v_dual_bitop2_b32 v3, 48, v7 bitop3:0x40
	v_mov_b32_e32 v2, v0
	v_cmp_ne_u32_e32 vcc_lo, 48, v3
	v_mov_b32_e32 v3, v0
	s_and_saveexec_b32 s2, vcc_lo
	s_cbranch_execz .LBB62_35
; %bb.32:
	v_dual_mov_b32 v2, 0 :: v_dual_lshrrev_b32 v1, 4, v7
	s_delay_alu instid0(VALU_DEP_1) | instskip(NEXT) | instid1(VALU_DEP_1)
	v_add_nc_u32_e32 v1, 1, v1
	v_dual_mov_b32 v1, 0 :: v_dual_bitop2_b32 v3, 3, v1 bitop3:0x40
	s_delay_alu instid0(VALU_DEP_1)
	v_dual_mov_b32 v3, 0 :: v_dual_sub_nc_u32 v10, 0, v3
.LBB62_33:                              ; =>This Inner Loop Header: Depth=1
	global_load_b32 v11, v6, s[8:9] scale_offset
	global_load_b128 v[14:17], v[8:9], off
	s_wait_xcnt 0x0
	v_add_nc_u64_e32 v[8:9], 0x100, v[8:9]
	v_add_co_u32 v10, s7, v10, 1
	s_or_b32 s6, s7, s6
	s_wait_loadcnt 0x1
	v_subrev_nc_u32_e32 v11, s12, v11
	s_wait_loadcnt 0x0
	v_perm_b32 v13, v15, v14, 0xc0c0703
	v_perm_b32 v18, v17, v16, 0x7030c0c
	;; [unrolled: 1-line block ×4, first 2 shown]
	s_wait_kmcnt 0x0
	global_load_b32 v11, v11, s[4:5] scale_offset
	v_perm_b32 v21, v15, v14, 0xc0c0501
	v_perm_b32 v22, v17, v16, 0x5010c0c
	;; [unrolled: 1-line block ×4, first 2 shown]
	v_dual_add_nc_u32 v6, 16, v6 :: v_dual_bitop2_b32 v13, v18, v13 bitop3:0x54
	v_or_b32_e32 v16, v20, v19
	v_or_b32_e32 v17, v22, v21
	s_delay_alu instid0(VALU_DEP_4)
	v_or_b32_e32 v14, v15, v14
	s_wait_loadcnt 0x0
	v_dot4_i32_iu8 v3, v11, v13, v3 neg_lo:[1,1,0]
	v_dot4_i32_iu8 v2, v11, v16, v2 neg_lo:[1,1,0]
	;; [unrolled: 1-line block ×4, first 2 shown]
	s_and_not1_b32 exec_lo, exec_lo, s6
	s_cbranch_execnz .LBB62_33
; %bb.34:
	s_or_b32 exec_lo, exec_lo, s6
.LBB62_35:
	s_delay_alu instid0(SALU_CYCLE_1) | instskip(NEXT) | instid1(SALU_CYCLE_1)
	s_or_b32 exec_lo, exec_lo, s2
	s_mov_b32 s2, exec_lo
	v_cmpx_lt_u32_e32 47, v7
	s_cbranch_execz .LBB62_39
; %bb.36:
	s_mov_b32 s6, 0
.LBB62_37:                              ; =>This Inner Loop Header: Depth=1
	s_clause 0x3
	global_load_b32 v7, v6, s[8:9] scale_offset
	global_load_b32 v10, v6, s[8:9] offset:64 scale_offset
	global_load_b32 v11, v6, s[8:9] offset:128 scale_offset
	;; [unrolled: 1-line block ×3, first 2 shown]
	s_clause 0x3
	global_load_b128 v[14:17], v[8:9], off
	global_load_b128 v[18:21], v[8:9], off offset:256
	global_load_b128 v[22:25], v[8:9], off offset:512
	;; [unrolled: 1-line block ×3, first 2 shown]
	s_wait_xcnt 0x0
	v_add_nc_u64_e32 v[8:9], 0x400, v[8:9]
	s_wait_loadcnt 0x7
	v_subrev_nc_u32_e32 v7, s12, v7
	s_wait_loadcnt 0x6
	v_subrev_nc_u32_e32 v10, s12, v10
	;; [unrolled: 2-line block ×4, first 2 shown]
	s_wait_loadcnt 0x3
	v_perm_b32 v32, v15, v14, 0xc0c0501
	s_wait_kmcnt 0x0
	s_clause 0x3
	global_load_b32 v7, v7, s[4:5] scale_offset
	global_load_b32 v10, v10, s[4:5] scale_offset
	;; [unrolled: 1-line block ×4, first 2 shown]
	s_wait_xcnt 0x1
	v_perm_b32 v11, v15, v14, 0xc0c0400
	s_wait_xcnt 0x0
	v_perm_b32 v13, v17, v16, 0x4000c0c
	v_perm_b32 v33, v17, v16, 0x5010c0c
	;; [unrolled: 1-line block ×6, first 2 shown]
	v_dual_add_nc_u32 v6, 64, v6 :: v_dual_bitop2_b32 v11, v13, v11 bitop3:0x54
	s_wait_loadcnt 0x6
	v_perm_b32 v16, v19, v18, 0xc0c0703
	v_perm_b32 v17, v21, v20, 0x7030c0c
	v_perm_b32 v36, v19, v18, 0xc0c0602
	v_perm_b32 v37, v21, v20, 0x6020c0c
	v_perm_b32 v38, v19, v18, 0xc0c0501
	v_perm_b32 v39, v21, v20, 0x5010c0c
	v_perm_b32 v18, v19, v18, 0xc0c0400
	v_perm_b32 v19, v21, v20, 0x4000c0c
	s_wait_loadcnt 0x5
	v_perm_b32 v20, v23, v22, 0xc0c0400
	v_perm_b32 v21, v25, v24, 0x4000c0c
	v_perm_b32 v40, v23, v22, 0xc0c0501
	v_perm_b32 v41, v25, v24, 0x5010c0c
	v_perm_b32 v42, v23, v22, 0xc0c0602
	v_perm_b32 v43, v25, v24, 0x6020c0c
	v_perm_b32 v22, v23, v22, 0xc0c0703
	v_perm_b32 v23, v25, v24, 0x7030c0c
	;; [unrolled: 9-line block ×3, first 2 shown]
	v_or_b32_e32 v13, v33, v32
	v_or_b32_e32 v28, v35, v34
	;; [unrolled: 1-line block ×13, first 2 shown]
	v_cmp_ge_i32_e32 vcc_lo, v6, v12
	s_or_b32 s6, vcc_lo, s6
	s_wait_loadcnt 0x3
	v_dot4_i32_iu8 v3, v7, v14, v3 neg_lo:[1,1,0]
	v_dot4_i32_iu8 v2, v7, v28, v2 neg_lo:[1,1,0]
	v_dot4_i32_iu8 v1, v7, v13, v1 neg_lo:[1,1,0]
	v_dot4_i32_iu8 v0, v7, v11, v0 neg_lo:[1,1,0]
	v_or_b32_e32 v7, v47, v46
	s_wait_loadcnt 0x2
	v_dot4_i32_iu8 v3, v10, v15, v3 neg_lo:[1,1,0]
	v_dot4_i32_iu8 v2, v10, v16, v2 neg_lo:[1,1,0]
	;; [unrolled: 1-line block ×4, first 2 shown]
	v_or_b32_e32 v10, v27, v26
	s_wait_loadcnt 0x1
	v_dot4_i32_iu8 v3, v30, v22, v3 neg_lo:[1,1,0]
	v_dot4_i32_iu8 v2, v30, v21, v2 neg_lo:[1,1,0]
	;; [unrolled: 1-line block ×4, first 2 shown]
	s_wait_loadcnt 0x0
	v_dot4_i32_iu8 v3, v31, v23, v3 neg_lo:[1,1,0]
	v_dot4_i32_iu8 v2, v31, v24, v2 neg_lo:[1,1,0]
	;; [unrolled: 1-line block ×4, first 2 shown]
	s_and_not1_b32 exec_lo, exec_lo, s6
	s_cbranch_execnz .LBB62_37
; %bb.38:
	s_or_b32 exec_lo, exec_lo, s6
.LBB62_39:
	s_delay_alu instid0(SALU_CYCLE_1)
	s_or_b32 exec_lo, exec_lo, s2
.LBB62_40:
	s_delay_alu instid0(SALU_CYCLE_1)
	s_or_b32 exec_lo, exec_lo, s3
.LBB62_41:
	v_mbcnt_lo_u32_b32 v6, -1, 0
	s_mov_b32 s2, -1
	s_delay_alu instid0(VALU_DEP_1) | instskip(SKIP_1) | instid1(VALU_DEP_1)
	v_xor_b32_e32 v11, 4, v6
	v_xor_b32_e32 v7, 8, v6
	v_cmp_gt_i32_e32 vcc_lo, 32, v7
	v_cndmask_b32_e32 v7, v6, v7, vcc_lo
	s_delay_alu instid0(VALU_DEP_1)
	v_lshlrev_b32_e32 v7, 2, v7
	ds_bpermute_b32 v9, v7, v1
	s_wait_dscnt 0x0
	v_add_nc_u32_e32 v1, v9, v1
	ds_bpermute_b32 v8, v7, v0
	ds_bpermute_b32 v10, v7, v2
	;; [unrolled: 1-line block ×3, first 2 shown]
	s_wait_dscnt 0x1
	v_dual_add_nc_u32 v0, v8, v0 :: v_dual_add_nc_u32 v2, v10, v2
	s_wait_dscnt 0x0
	v_add_nc_u32_e32 v3, v7, v3
	v_cmp_gt_i32_e32 vcc_lo, 32, v11
	v_cndmask_b32_e32 v11, v6, v11, vcc_lo
	s_delay_alu instid0(VALU_DEP_1)
	v_lshlrev_b32_e32 v11, 2, v11
	ds_bpermute_b32 v7, v11, v0
	ds_bpermute_b32 v8, v11, v1
	;; [unrolled: 1-line block ×4, first 2 shown]
	s_wait_dscnt 0x3
	v_dual_add_nc_u32 v0, v7, v0 :: v_dual_bitop2_b32 v11, 2, v6 bitop3:0x14
	s_delay_alu instid0(VALU_DEP_1) | instskip(SKIP_4) | instid1(VALU_DEP_2)
	v_cmp_gt_i32_e32 vcc_lo, 32, v11
	s_wait_dscnt 0x0
	v_dual_add_nc_u32 v1, v8, v1 :: v_dual_add_nc_u32 v8, v10, v3
	v_xor_b32_e32 v3, 1, v6
	v_dual_add_nc_u32 v7, v9, v2 :: v_dual_cndmask_b32 v11, v6, v11, vcc_lo
	v_cmp_gt_i32_e32 vcc_lo, 32, v3
	s_delay_alu instid0(VALU_DEP_2)
	v_lshlrev_b32_e32 v11, 2, v11
	ds_bpermute_b32 v2, v11, v0
	ds_bpermute_b32 v9, v11, v1
	;; [unrolled: 1-line block ×4, first 2 shown]
	v_cndmask_b32_e32 v3, v6, v3, vcc_lo
	v_cmp_eq_u32_e32 vcc_lo, 15, v5
	s_wait_dscnt 0x3
	s_delay_alu instid0(VALU_DEP_2)
	v_dual_lshlrev_b32 v12, 2, v3 :: v_dual_add_nc_u32 v3, v2, v0
	s_wait_dscnt 0x1
	v_dual_add_nc_u32 v2, v9, v1 :: v_dual_add_nc_u32 v1, v10, v7
	s_wait_dscnt 0x0
	v_add_nc_u32_e32 v0, v11, v8
	ds_bpermute_b32 v6, v12, v3
	ds_bpermute_b32 v7, v12, v2
	;; [unrolled: 1-line block ×4, first 2 shown]
	s_and_b32 exec_lo, exec_lo, vcc_lo
	s_cbranch_execz .LBB62_14
; %bb.42:
	s_load_b64 s[0:1], s[0:1], 0x50
	s_wait_dscnt 0x2
	v_dual_add_nc_u32 v3, v6, v3 :: v_dual_add_nc_u32 v2, v7, v2
	s_wait_dscnt 0x0
	v_dual_add_nc_u32 v5, v8, v1 :: v_dual_add_nc_u32 v6, v9, v0
	v_lshlrev_b32_e32 v4, 2, v4
	s_delay_alu instid0(VALU_DEP_3) | instskip(SKIP_1) | instid1(VALU_DEP_4)
	v_mul_lo_u32 v0, v3, s13
	v_mul_lo_u32 v1, v2, s13
	;; [unrolled: 1-line block ×4, first 2 shown]
	s_cmp_eq_u32 s14, 0
	s_cbranch_scc1 .LBB62_44
; %bb.43:
	v_ashrrev_i32_e32 v5, 31, v4
	s_mov_b32 s2, 0
	s_wait_kmcnt 0x0
	s_delay_alu instid0(VALU_DEP_1)
	v_lshl_add_u64 v[10:11], v[4:5], 2, s[0:1]
	global_load_b128 v[6:9], v[10:11], off
	s_wait_loadcnt 0x0
	v_mad_u32 v7, v7, s14, v1
	v_mad_u32 v6, v6, s14, v0
	;; [unrolled: 1-line block ×4, first 2 shown]
	global_store_b128 v[10:11], v[6:9], off
.LBB62_44:
	s_and_not1_b32 vcc_lo, exec_lo, s2
	s_cbranch_vccnz .LBB62_14
; %bb.45:
	v_ashrrev_i32_e32 v5, 31, v4
	s_wait_kmcnt 0x0
	s_delay_alu instid0(VALU_DEP_1)
	v_lshl_add_u64 v[4:5], v[4:5], 2, s[0:1]
	global_store_b128 v[4:5], v[0:3], off
	s_endpgm
	.section	.rodata,"a",@progbits
	.p2align	6, 0x0
	.amdhsa_kernel _ZN9rocsparseL18bsrxmvn_4x4_kernelILj128ELj16EiiiaaiEEvT3_20rocsparse_direction_NS_24const_host_device_scalarIT1_EES1_PKS1_PKT2_SA_S7_PKT4_PKT5_S5_PT6_21rocsparse_index_base_b
		.amdhsa_group_segment_fixed_size 0
		.amdhsa_private_segment_fixed_size 0
		.amdhsa_kernarg_size 96
		.amdhsa_user_sgpr_count 2
		.amdhsa_user_sgpr_dispatch_ptr 0
		.amdhsa_user_sgpr_queue_ptr 0
		.amdhsa_user_sgpr_kernarg_segment_ptr 1
		.amdhsa_user_sgpr_dispatch_id 0
		.amdhsa_user_sgpr_kernarg_preload_length 0
		.amdhsa_user_sgpr_kernarg_preload_offset 0
		.amdhsa_user_sgpr_private_segment_size 0
		.amdhsa_wavefront_size32 1
		.amdhsa_uses_dynamic_stack 0
		.amdhsa_enable_private_segment 0
		.amdhsa_system_sgpr_workgroup_id_x 1
		.amdhsa_system_sgpr_workgroup_id_y 0
		.amdhsa_system_sgpr_workgroup_id_z 0
		.amdhsa_system_sgpr_workgroup_info 0
		.amdhsa_system_vgpr_workitem_id 0
		.amdhsa_next_free_vgpr 48
		.amdhsa_next_free_sgpr 15
		.amdhsa_named_barrier_count 0
		.amdhsa_reserve_vcc 1
		.amdhsa_float_round_mode_32 0
		.amdhsa_float_round_mode_16_64 0
		.amdhsa_float_denorm_mode_32 3
		.amdhsa_float_denorm_mode_16_64 3
		.amdhsa_fp16_overflow 0
		.amdhsa_memory_ordered 1
		.amdhsa_forward_progress 1
		.amdhsa_inst_pref_size 25
		.amdhsa_round_robin_scheduling 0
		.amdhsa_exception_fp_ieee_invalid_op 0
		.amdhsa_exception_fp_denorm_src 0
		.amdhsa_exception_fp_ieee_div_zero 0
		.amdhsa_exception_fp_ieee_overflow 0
		.amdhsa_exception_fp_ieee_underflow 0
		.amdhsa_exception_fp_ieee_inexact 0
		.amdhsa_exception_int_div_zero 0
	.end_amdhsa_kernel
	.section	.text._ZN9rocsparseL18bsrxmvn_4x4_kernelILj128ELj16EiiiaaiEEvT3_20rocsparse_direction_NS_24const_host_device_scalarIT1_EES1_PKS1_PKT2_SA_S7_PKT4_PKT5_S5_PT6_21rocsparse_index_base_b,"axG",@progbits,_ZN9rocsparseL18bsrxmvn_4x4_kernelILj128ELj16EiiiaaiEEvT3_20rocsparse_direction_NS_24const_host_device_scalarIT1_EES1_PKS1_PKT2_SA_S7_PKT4_PKT5_S5_PT6_21rocsparse_index_base_b,comdat
.Lfunc_end62:
	.size	_ZN9rocsparseL18bsrxmvn_4x4_kernelILj128ELj16EiiiaaiEEvT3_20rocsparse_direction_NS_24const_host_device_scalarIT1_EES1_PKS1_PKT2_SA_S7_PKT4_PKT5_S5_PT6_21rocsparse_index_base_b, .Lfunc_end62-_ZN9rocsparseL18bsrxmvn_4x4_kernelILj128ELj16EiiiaaiEEvT3_20rocsparse_direction_NS_24const_host_device_scalarIT1_EES1_PKS1_PKT2_SA_S7_PKT4_PKT5_S5_PT6_21rocsparse_index_base_b
                                        ; -- End function
	.set _ZN9rocsparseL18bsrxmvn_4x4_kernelILj128ELj16EiiiaaiEEvT3_20rocsparse_direction_NS_24const_host_device_scalarIT1_EES1_PKS1_PKT2_SA_S7_PKT4_PKT5_S5_PT6_21rocsparse_index_base_b.num_vgpr, 48
	.set _ZN9rocsparseL18bsrxmvn_4x4_kernelILj128ELj16EiiiaaiEEvT3_20rocsparse_direction_NS_24const_host_device_scalarIT1_EES1_PKS1_PKT2_SA_S7_PKT4_PKT5_S5_PT6_21rocsparse_index_base_b.num_agpr, 0
	.set _ZN9rocsparseL18bsrxmvn_4x4_kernelILj128ELj16EiiiaaiEEvT3_20rocsparse_direction_NS_24const_host_device_scalarIT1_EES1_PKS1_PKT2_SA_S7_PKT4_PKT5_S5_PT6_21rocsparse_index_base_b.numbered_sgpr, 15
	.set _ZN9rocsparseL18bsrxmvn_4x4_kernelILj128ELj16EiiiaaiEEvT3_20rocsparse_direction_NS_24const_host_device_scalarIT1_EES1_PKS1_PKT2_SA_S7_PKT4_PKT5_S5_PT6_21rocsparse_index_base_b.num_named_barrier, 0
	.set _ZN9rocsparseL18bsrxmvn_4x4_kernelILj128ELj16EiiiaaiEEvT3_20rocsparse_direction_NS_24const_host_device_scalarIT1_EES1_PKS1_PKT2_SA_S7_PKT4_PKT5_S5_PT6_21rocsparse_index_base_b.private_seg_size, 0
	.set _ZN9rocsparseL18bsrxmvn_4x4_kernelILj128ELj16EiiiaaiEEvT3_20rocsparse_direction_NS_24const_host_device_scalarIT1_EES1_PKS1_PKT2_SA_S7_PKT4_PKT5_S5_PT6_21rocsparse_index_base_b.uses_vcc, 1
	.set _ZN9rocsparseL18bsrxmvn_4x4_kernelILj128ELj16EiiiaaiEEvT3_20rocsparse_direction_NS_24const_host_device_scalarIT1_EES1_PKS1_PKT2_SA_S7_PKT4_PKT5_S5_PT6_21rocsparse_index_base_b.uses_flat_scratch, 0
	.set _ZN9rocsparseL18bsrxmvn_4x4_kernelILj128ELj16EiiiaaiEEvT3_20rocsparse_direction_NS_24const_host_device_scalarIT1_EES1_PKS1_PKT2_SA_S7_PKT4_PKT5_S5_PT6_21rocsparse_index_base_b.has_dyn_sized_stack, 0
	.set _ZN9rocsparseL18bsrxmvn_4x4_kernelILj128ELj16EiiiaaiEEvT3_20rocsparse_direction_NS_24const_host_device_scalarIT1_EES1_PKS1_PKT2_SA_S7_PKT4_PKT5_S5_PT6_21rocsparse_index_base_b.has_recursion, 0
	.set _ZN9rocsparseL18bsrxmvn_4x4_kernelILj128ELj16EiiiaaiEEvT3_20rocsparse_direction_NS_24const_host_device_scalarIT1_EES1_PKS1_PKT2_SA_S7_PKT4_PKT5_S5_PT6_21rocsparse_index_base_b.has_indirect_call, 0
	.section	.AMDGPU.csdata,"",@progbits
; Kernel info:
; codeLenInByte = 3136
; TotalNumSgprs: 17
; NumVgprs: 48
; ScratchSize: 0
; MemoryBound: 0
; FloatMode: 240
; IeeeMode: 1
; LDSByteSize: 0 bytes/workgroup (compile time only)
; SGPRBlocks: 0
; VGPRBlocks: 2
; NumSGPRsForWavesPerEU: 17
; NumVGPRsForWavesPerEU: 48
; NamedBarCnt: 0
; Occupancy: 16
; WaveLimiterHint : 1
; COMPUTE_PGM_RSRC2:SCRATCH_EN: 0
; COMPUTE_PGM_RSRC2:USER_SGPR: 2
; COMPUTE_PGM_RSRC2:TRAP_HANDLER: 0
; COMPUTE_PGM_RSRC2:TGID_X_EN: 1
; COMPUTE_PGM_RSRC2:TGID_Y_EN: 0
; COMPUTE_PGM_RSRC2:TGID_Z_EN: 0
; COMPUTE_PGM_RSRC2:TIDIG_COMP_CNT: 0
	.section	.text._ZN9rocsparseL18bsrxmvn_4x4_kernelILj128ELj32EiiiaaiEEvT3_20rocsparse_direction_NS_24const_host_device_scalarIT1_EES1_PKS1_PKT2_SA_S7_PKT4_PKT5_S5_PT6_21rocsparse_index_base_b,"axG",@progbits,_ZN9rocsparseL18bsrxmvn_4x4_kernelILj128ELj32EiiiaaiEEvT3_20rocsparse_direction_NS_24const_host_device_scalarIT1_EES1_PKS1_PKT2_SA_S7_PKT4_PKT5_S5_PT6_21rocsparse_index_base_b,comdat
	.globl	_ZN9rocsparseL18bsrxmvn_4x4_kernelILj128ELj32EiiiaaiEEvT3_20rocsparse_direction_NS_24const_host_device_scalarIT1_EES1_PKS1_PKT2_SA_S7_PKT4_PKT5_S5_PT6_21rocsparse_index_base_b ; -- Begin function _ZN9rocsparseL18bsrxmvn_4x4_kernelILj128ELj32EiiiaaiEEvT3_20rocsparse_direction_NS_24const_host_device_scalarIT1_EES1_PKS1_PKT2_SA_S7_PKT4_PKT5_S5_PT6_21rocsparse_index_base_b
	.p2align	8
	.type	_ZN9rocsparseL18bsrxmvn_4x4_kernelILj128ELj32EiiiaaiEEvT3_20rocsparse_direction_NS_24const_host_device_scalarIT1_EES1_PKS1_PKT2_SA_S7_PKT4_PKT5_S5_PT6_21rocsparse_index_base_b,@function
_ZN9rocsparseL18bsrxmvn_4x4_kernelILj128ELj32EiiiaaiEEvT3_20rocsparse_direction_NS_24const_host_device_scalarIT1_EES1_PKS1_PKT2_SA_S7_PKT4_PKT5_S5_PT6_21rocsparse_index_base_b: ; @_ZN9rocsparseL18bsrxmvn_4x4_kernelILj128ELj32EiiiaaiEEvT3_20rocsparse_direction_NS_24const_host_device_scalarIT1_EES1_PKS1_PKT2_SA_S7_PKT4_PKT5_S5_PT6_21rocsparse_index_base_b
; %bb.0:
	s_clause 0x1
	s_load_b64 s[12:13], s[0:1], 0x58
	s_load_b64 s[4:5], s[0:1], 0x8
	s_mov_b32 s7, -1
	s_wait_kmcnt 0x0
	s_bitcmp1_b32 s13, 0
                                        ; implicit-def: $sgpr13
	s_cselect_b32 s2, -1, 0
	s_delay_alu instid0(SALU_CYCLE_1) | instskip(NEXT) | instid1(SALU_CYCLE_1)
	s_xor_b32 s6, s2, -1
	s_and_b32 vcc_lo, exec_lo, s6
	s_cbranch_vccnz .LBB63_4
; %bb.1:
	s_load_b64 s[2:3], s[0:1], 0x48
	s_and_not1_b32 vcc_lo, exec_lo, s7
	s_cbranch_vccz .LBB63_5
.LBB63_2:
	s_and_b32 vcc_lo, exec_lo, s6
	s_cbranch_vccz .LBB63_6
.LBB63_3:
	s_wait_kmcnt 0x0
	s_load_b32 s14, s[2:3], 0x0
	s_wait_xcnt 0x0
	s_cbranch_execz .LBB63_7
	s_branch .LBB63_8
.LBB63_4:
	s_load_b32 s13, s[4:5], 0x0
	s_load_b64 s[2:3], s[0:1], 0x48
	s_cbranch_execnz .LBB63_2
.LBB63_5:
	s_wait_kmcnt 0x0
	s_mov_b32 s13, s4
	s_and_b32 vcc_lo, exec_lo, s6
	s_cbranch_vccnz .LBB63_3
.LBB63_6:
	s_wait_kmcnt 0x0
                                        ; implicit-def: $sgpr14
.LBB63_7:
	s_wait_kmcnt 0x0
	s_mov_b32 s14, s2
.LBB63_8:
	s_cmp_lg_u32 s13, 0
	s_mov_b32 s6, 0
	s_cselect_b32 s2, -1, 0
	s_wait_kmcnt 0x0
	s_cmp_lg_u32 s14, 1
	s_cselect_b32 s3, -1, 0
	s_delay_alu instid0(SALU_CYCLE_1) | instskip(NEXT) | instid1(SALU_CYCLE_1)
	s_or_b32 s2, s2, s3
	s_and_not1_b32 vcc_lo, exec_lo, s2
	s_cbranch_vccnz .LBB63_14
; %bb.9:
	s_clause 0x1
	s_load_b64 s[4:5], s[0:1], 0x18
	s_load_b64 s[2:3], s[0:1], 0x0
	s_bfe_u32 s7, ttmp6, 0x4000c
	s_and_b32 s8, ttmp6, 15
	s_add_co_i32 s7, s7, 1
	s_getreg_b32 s9, hwreg(HW_REG_IB_STS2, 6, 4)
	s_mul_i32 s7, ttmp9, s7
	v_lshrrev_b32_e32 v1, 5, v0
	s_add_co_i32 s8, s8, s7
	s_cmp_eq_u32 s9, 0
	s_cselect_b32 s7, ttmp9, s8
	s_delay_alu instid0(VALU_DEP_1) | instid1(SALU_CYCLE_1)
	v_lshl_or_b32 v4, s7, 2, v1
	s_wait_kmcnt 0x0
	s_cmp_lg_u64 s[4:5], 0
	s_cbranch_scc0 .LBB63_15
; %bb.10:
	s_load_b32 s6, s[0:1], 0x10
	s_mov_b32 s7, 0
                                        ; implicit-def: $vgpr1
	s_wait_kmcnt 0x0
	v_cmp_gt_i32_e32 vcc_lo, s6, v4
	s_mov_b32 s6, 0
	s_and_saveexec_b32 s8, vcc_lo
	s_delay_alu instid0(SALU_CYCLE_1)
	s_xor_b32 s8, exec_lo, s8
	s_cbranch_execz .LBB63_12
; %bb.11:
	global_load_b32 v1, v4, s[4:5] scale_offset
	s_mov_b32 s6, exec_lo
	s_wait_loadcnt 0x0
	v_subrev_nc_u32_e32 v1, s12, v1
.LBB63_12:
	s_or_b32 exec_lo, exec_lo, s8
	s_delay_alu instid0(SALU_CYCLE_1)
	s_and_b32 vcc_lo, exec_lo, s7
	s_cbranch_vccz .LBB63_16
.LBB63_13:
	v_cmp_gt_i32_e32 vcc_lo, s2, v4
	s_and_not1_b32 s2, s6, exec_lo
	s_and_b32 s4, vcc_lo, exec_lo
	s_delay_alu instid0(SALU_CYCLE_1) | instskip(NEXT) | instid1(SALU_CYCLE_1)
	s_or_b32 s6, s2, s4
	s_and_saveexec_b32 s2, s6
	s_cbranch_execnz .LBB63_17
.LBB63_14:
	s_sendmsg sendmsg(MSG_DEALLOC_VGPRS)
	s_endpgm
.LBB63_15:
                                        ; implicit-def: $vgpr1
	s_cbranch_execnz .LBB63_13
.LBB63_16:
	s_delay_alu instid0(VALU_DEP_1)
	v_mov_b32_e32 v4, v1
	s_and_saveexec_b32 s2, s6
	s_cbranch_execz .LBB63_14
.LBB63_17:
	s_load_b256 s[4:11], s[0:1], 0x20
	s_wait_kmcnt 0x0
	s_cmp_eq_u64 s[6:7], 0
	global_load_b32 v11, v4, s[4:5] scale_offset
	s_cselect_b32 vcc_lo, -1, 0
	v_ashrrev_i32_e32 v5, 31, v4
	s_cmp_eq_u32 s3, 1
	s_delay_alu instid0(VALU_DEP_1) | instskip(SKIP_1) | instid1(VALU_DEP_2)
	v_lshlrev_b64_e32 v[2:3], 2, v[4:5]
	v_and_b32_e32 v5, 31, v0
	v_add_nc_u64_e32 v[6:7], s[4:5], v[2:3]
	v_add_nc_u64_e32 v[2:3], s[6:7], v[2:3]
	s_wait_xcnt 0x0
	s_load_b64 s[4:5], s[0:1], 0x40
	s_delay_alu instid0(VALU_DEP_2) | instskip(NEXT) | instid1(VALU_DEP_1)
	v_add_nc_u64_e32 v[6:7], 4, v[6:7]
	v_dual_cndmask_b32 v3, v3, v7 :: v_dual_cndmask_b32 v2, v2, v6
	global_load_b32 v2, v[2:3], off
	s_wait_loadcnt 0x1
	v_subrev_nc_u32_e32 v0, s12, v11
	s_delay_alu instid0(VALU_DEP_1) | instskip(NEXT) | instid1(VALU_DEP_1)
	v_add_nc_u32_e32 v0, v0, v5
	v_ashrrev_i32_e32 v1, 31, v0
	s_wait_loadcnt 0x0
	v_subrev_nc_u32_e32 v12, s12, v2
	s_delay_alu instid0(VALU_DEP_2) | instskip(NEXT) | instid1(VALU_DEP_2)
	v_lshl_add_u64 v[2:3], v[0:1], 4, s[10:11]
	v_cmp_lt_i32_e64 s2, v0, v12
	s_cbranch_scc1 .LBB63_29
; %bb.18:
	v_dual_mov_b32 v1, 0 :: v_dual_mov_b32 v9, 0
	v_dual_mov_b32 v10, 0 :: v_dual_mov_b32 v8, 0
	s_and_saveexec_b32 s3, s2
	s_cbranch_execz .LBB63_28
; %bb.19:
	v_dual_mov_b32 v8, 0 :: v_dual_add_nc_u32 v1, v11, v5
	v_not_b32_e32 v6, v11
	v_dual_mov_b32 v10, 0 :: v_dual_mov_b32 v13, v0
	s_delay_alu instid0(VALU_DEP_3) | instskip(SKIP_1) | instid1(VALU_DEP_2)
	v_subrev_nc_u32_e32 v1, s12, v1
	v_mov_b32_e32 v9, 0
	v_add_max_i32_e64 v1, v1, 32, v12
	s_delay_alu instid0(VALU_DEP_1) | instskip(NEXT) | instid1(VALU_DEP_1)
	v_add3_u32 v1, s12, v1, v6
	v_dual_mov_b32 v1, 0 :: v_dual_sub_nc_u32 v6, v1, v5
	s_delay_alu instid0(VALU_DEP_1) | instskip(SKIP_1) | instid1(VALU_DEP_2)
	v_lshrrev_b32_e32 v7, 5, v6
	v_cmp_lt_u32_e32 vcc_lo, 0x5f, v6
	v_add_nc_u32_e32 v14, 1, v7
	v_mov_b64_e32 v[6:7], v[2:3]
	s_and_saveexec_b32 s6, vcc_lo
	s_cbranch_execz .LBB63_23
; %bb.20:
	v_mov_b64_e32 v[6:7], v[2:3]
	v_and_b32_e32 v15, 0xffffffc, v14
	v_dual_mov_b32 v1, 0 :: v_dual_mov_b32 v9, 0
	v_dual_mov_b32 v10, 0 :: v_dual_mov_b32 v8, 0
	v_mov_b32_e32 v13, v0
	s_mov_b32 s7, 0
.LBB63_21:                              ; =>This Inner Loop Header: Depth=1
	s_clause 0x3
	global_load_b32 v28, v13, s[8:9] scale_offset
	global_load_b32 v32, v13, s[8:9] offset:128 scale_offset
	global_load_b32 v33, v13, s[8:9] offset:256 scale_offset
	;; [unrolled: 1-line block ×3, first 2 shown]
	s_clause 0x2
	global_load_b128 v[16:19], v[6:7], off
	global_load_b128 v[20:23], v[6:7], off offset:512
	global_load_b128 v[24:27], v[6:7], off offset:1024
	v_add_nc_u32_e32 v15, -4, v15
	s_wait_xcnt 0x3
	v_add_nc_u32_e32 v13, 0x80, v13
	s_delay_alu instid0(VALU_DEP_2)
	v_cmp_eq_u32_e32 vcc_lo, 0, v15
	s_or_b32 s7, vcc_lo, s7
	s_wait_loadcnt 0x6
	v_subrev_nc_u32_e32 v35, s12, v28
	s_wait_loadcnt 0x5
	v_subrev_nc_u32_e32 v32, s12, v32
	;; [unrolled: 2-line block ×4, first 2 shown]
	global_load_b128 v[28:31], v[6:7], off offset:1536
	s_wait_kmcnt 0x0
	global_load_b32 v36, v35, s[4:5] scale_offset
	s_wait_loadcnt 0x4
	s_wait_xcnt 0x0
	v_bfe_i32 v35, v16, 0, 8
	s_clause 0x2
	global_load_b32 v32, v32, s[4:5] scale_offset
	global_load_b32 v33, v33, s[4:5] scale_offset
	;; [unrolled: 1-line block ×3, first 2 shown]
	v_bfe_i32 v37, v17, 0, 8
	v_bfe_i32 v38, v18, 0, 8
	;; [unrolled: 1-line block ×3, first 2 shown]
	v_perm_b32 v16, v16, v16, 0xc070601
	v_perm_b32 v17, v17, v17, 0xc070601
	;; [unrolled: 1-line block ×4, first 2 shown]
	s_wait_loadcnt 0x6
	v_bfe_i32 v40, v20, 0, 8
	v_bfe_i32 v41, v21, 0, 8
	;; [unrolled: 1-line block ×4, first 2 shown]
	v_perm_b32 v20, v20, v20, 0xc070601
	v_perm_b32 v21, v21, v21, 0xc070601
	;; [unrolled: 1-line block ×4, first 2 shown]
	s_wait_loadcnt 0x5
	v_bfe_i32 v44, v24, 0, 8
	v_bfe_i32 v45, v25, 0, 8
	v_bfe_i32 v46, v26, 0, 8
	v_bfe_i32 v47, v27, 0, 8
	v_perm_b32 v24, v24, v24, 0xc070601
	v_perm_b32 v25, v25, v25, 0xc070601
	;; [unrolled: 1-line block ×4, first 2 shown]
	v_add_nc_u64_e32 v[6:7], 0x800, v[6:7]
	s_wait_loadcnt 0x4
	v_bfe_i32 v48, v28, 0, 8
	s_wait_loadcnt 0x3
	v_bfe_i32 v52, v36, 0, 8
	v_perm_b32 v36, v36, v36, 0xc030201
	v_bfe_i32 v49, v29, 0, 8
	v_bfe_i32 v50, v30, 0, 8
	;; [unrolled: 1-line block ×3, first 2 shown]
	v_mad_i32_i24 v8, v52, v35, v8
	v_mad_i32_i24 v10, v37, v52, v10
	v_mad_i32_i24 v9, v38, v52, v9
	v_mad_i32_i24 v1, v39, v52, v1
	s_wait_loadcnt 0x2
	v_bfe_i32 v35, v32, 0, 8
	v_dot4_i32_iu8 v8, v36, v16, v8 neg_lo:[1,1,0]
	v_dot4_i32_iu8 v10, v36, v17, v10 neg_lo:[1,1,0]
	v_dot4_i32_iu8 v9, v36, v18, v9 neg_lo:[1,1,0]
	v_dot4_i32_iu8 v1, v36, v19, v1 neg_lo:[1,1,0]
	v_perm_b32 v16, v32, v32, 0xc030201
	v_mad_i32_i24 v8, v35, v40, v8
	v_mad_i32_i24 v10, v41, v35, v10
	v_mad_i32_i24 v9, v42, v35, v9
	v_mad_i32_i24 v1, v43, v35, v1
	s_wait_loadcnt 0x1
	v_bfe_i32 v17, v33, 0, 8
	v_dot4_i32_iu8 v8, v16, v20, v8 neg_lo:[1,1,0]
	v_dot4_i32_iu8 v10, v16, v21, v10 neg_lo:[1,1,0]
	v_dot4_i32_iu8 v9, v16, v22, v9 neg_lo:[1,1,0]
	v_dot4_i32_iu8 v1, v16, v23, v1 neg_lo:[1,1,0]
	v_perm_b32 v16, v33, v33, 0xc030201
	;; [unrolled: 11-line block ×3, first 2 shown]
	v_perm_b32 v29, v29, v29, 0xc070601
	v_perm_b32 v30, v30, v30, 0xc070601
	;; [unrolled: 1-line block ×4, first 2 shown]
	v_mad_i32_i24 v8, v17, v48, v8
	v_mad_i32_i24 v10, v49, v17, v10
	;; [unrolled: 1-line block ×4, first 2 shown]
	s_delay_alu instid0(VALU_DEP_4) | instskip(NEXT) | instid1(VALU_DEP_4)
	v_dot4_i32_iu8 v8, v16, v28, v8 neg_lo:[1,1,0]
	v_dot4_i32_iu8 v10, v16, v29, v10 neg_lo:[1,1,0]
	s_delay_alu instid0(VALU_DEP_4) | instskip(NEXT) | instid1(VALU_DEP_4)
	v_dot4_i32_iu8 v9, v16, v30, v9 neg_lo:[1,1,0]
	v_dot4_i32_iu8 v1, v16, v31, v1 neg_lo:[1,1,0]
	s_and_not1_b32 exec_lo, exec_lo, s7
	s_cbranch_execnz .LBB63_21
; %bb.22:
	s_or_b32 exec_lo, exec_lo, s7
.LBB63_23:
	s_delay_alu instid0(SALU_CYCLE_1) | instskip(SKIP_3) | instid1(VALU_DEP_1)
	s_or_b32 exec_lo, exec_lo, s6
	v_and_b32_e32 v14, 3, v14
	s_mov_b32 s7, 0
	s_mov_b32 s6, exec_lo
	v_cmpx_ne_u32_e32 0, v14
	s_cbranch_execz .LBB63_27
; %bb.24:
	v_lshlrev_b32_e32 v14, 4, v14
.LBB63_25:                              ; =>This Inner Loop Header: Depth=1
	global_load_b32 v15, v13, s[8:9] scale_offset
	s_wait_xcnt 0x0
	v_dual_add_nc_u32 v13, 32, v13 :: v_dual_add_nc_u32 v14, -16, v14
	s_delay_alu instid0(VALU_DEP_1)
	v_cmp_eq_u32_e32 vcc_lo, 0, v14
	s_or_b32 s7, vcc_lo, s7
	s_wait_loadcnt 0x0
	v_subrev_nc_u32_e32 v15, s12, v15
	global_load_b128 v[16:19], v[6:7], off
	s_wait_kmcnt 0x0
	global_load_b32 v20, v15, s[4:5] scale_offset
	s_wait_xcnt 0x1
	v_add_nc_u64_e32 v[6:7], 0x200, v[6:7]
	s_wait_loadcnt 0x1
	s_wait_xcnt 0x0
	v_bfe_i32 v15, v16, 0, 8
	v_bfe_i32 v21, v17, 0, 8
	;; [unrolled: 1-line block ×4, first 2 shown]
	s_wait_loadcnt 0x0
	v_bfe_i32 v24, v20, 0, 8
	v_perm_b32 v16, v16, v16, 0xc070601
	v_perm_b32 v17, v17, v17, 0xc070601
	;; [unrolled: 1-line block ×5, first 2 shown]
	v_mad_i32_i24 v8, v24, v15, v8
	v_mad_i32_i24 v10, v21, v24, v10
	v_mad_i32_i24 v9, v22, v24, v9
	v_mad_i32_i24 v1, v23, v24, v1
	s_delay_alu instid0(VALU_DEP_4) | instskip(NEXT) | instid1(VALU_DEP_4)
	v_dot4_i32_iu8 v8, v20, v16, v8 neg_lo:[1,1,0]
	v_dot4_i32_iu8 v10, v20, v17, v10 neg_lo:[1,1,0]
	s_delay_alu instid0(VALU_DEP_4) | instskip(NEXT) | instid1(VALU_DEP_4)
	v_dot4_i32_iu8 v9, v20, v18, v9 neg_lo:[1,1,0]
	v_dot4_i32_iu8 v1, v20, v19, v1 neg_lo:[1,1,0]
	s_and_not1_b32 exec_lo, exec_lo, s7
	s_cbranch_execnz .LBB63_25
; %bb.26:
	s_or_b32 exec_lo, exec_lo, s7
.LBB63_27:
	s_delay_alu instid0(SALU_CYCLE_1)
	s_or_b32 exec_lo, exec_lo, s6
.LBB63_28:
	s_delay_alu instid0(SALU_CYCLE_1)
	s_or_b32 exec_lo, exec_lo, s3
	s_cbranch_execz .LBB63_30
	s_branch .LBB63_41
.LBB63_29:
                                        ; implicit-def: $vgpr1
                                        ; implicit-def: $vgpr9
                                        ; implicit-def: $vgpr10
                                        ; implicit-def: $vgpr8
.LBB63_30:
	v_dual_mov_b32 v1, 0 :: v_dual_mov_b32 v9, 0
	v_dual_mov_b32 v10, 0 :: v_dual_mov_b32 v8, 0
	s_and_saveexec_b32 s3, s2
	s_cbranch_execz .LBB63_40
; %bb.31:
	v_dual_mov_b32 v8, 0 :: v_dual_add_nc_u32 v1, v11, v5
	v_not_b32_e32 v6, v11
	v_dual_mov_b32 v10, 0 :: v_dual_mov_b32 v9, 0
	s_delay_alu instid0(VALU_DEP_3) | instskip(NEXT) | instid1(VALU_DEP_1)
	v_subrev_nc_u32_e32 v1, s12, v1
	v_add_max_i32_e64 v1, v1, 32, v12
	s_delay_alu instid0(VALU_DEP_1) | instskip(NEXT) | instid1(VALU_DEP_1)
	v_add3_u32 v1, s12, v1, v6
	v_sub_nc_u32_e32 v1, v1, v5
	s_delay_alu instid0(VALU_DEP_1) | instskip(SKIP_1) | instid1(VALU_DEP_2)
	v_lshrrev_b32_e32 v6, 5, v1
	v_cmp_lt_u32_e32 vcc_lo, 0x5f, v1
	v_dual_mov_b32 v1, 0 :: v_dual_add_nc_u32 v6, 1, v6
	s_and_saveexec_b32 s2, vcc_lo
	s_cbranch_execz .LBB63_35
; %bb.32:
	s_delay_alu instid0(VALU_DEP_1)
	v_and_b32_e32 v7, 0xffffffc, v6
	v_dual_mov_b32 v1, 0 :: v_dual_mov_b32 v9, 0
	v_dual_mov_b32 v10, 0 :: v_dual_mov_b32 v8, 0
	s_mov_b32 s6, 0
.LBB63_33:                              ; =>This Inner Loop Header: Depth=1
	s_clause 0x3
	global_load_b128 v[12:15], v[2:3], off
	global_load_b128 v[16:19], v[2:3], off offset:512
	global_load_b128 v[20:23], v[2:3], off offset:1024
	;; [unrolled: 1-line block ×3, first 2 shown]
	s_wait_xcnt 0x0
	v_add_nc_u64_e32 v[2:3], 0x800, v[2:3]
	v_add_nc_u32_e32 v7, -4, v7
	s_delay_alu instid0(VALU_DEP_1)
	v_cmp_eq_u32_e32 vcc_lo, 0, v7
	s_or_b32 s6, vcc_lo, s6
	s_wait_loadcnt 0x3
	v_perm_b32 v30, v15, v14, 0xc04000c
	v_perm_b32 v31, v13, v13, 0xc0c0c00
	v_lshrrev_b32_e32 v29, 16, v12
	s_wait_loadcnt 0x0
	v_perm_b32 v54, v27, v26, 0xc04000c
	v_perm_b32 v56, v27, v26, 0xc05010c
	;; [unrolled: 1-line block ×4, first 2 shown]
	s_clause 0x2
	global_load_b32 v27, v0, s[8:9] scale_offset
	global_load_b32 v60, v0, s[8:9] offset:128 scale_offset
	global_load_b32 v61, v0, s[8:9] offset:256 scale_offset
	v_or_b32_e32 v30, v30, v31
	global_load_b32 v31, v0, s[8:9] offset:384 scale_offset
	v_dual_lshrrev_b32 v11, 8, v12 :: v_dual_lshrrev_b32 v28, 24, v12
	v_perm_b32 v32, v15, v14, 0xc05010c
	v_perm_b32 v33, v13, v13, 0xc0c0c01
	;; [unrolled: 1-line block ×6, first 2 shown]
	v_dual_lshrrev_b32 v15, 8, v16 :: v_dual_lshrrev_b32 v36, 24, v16
	v_perm_b32 v38, v19, v18, 0xc04000c
	v_perm_b32 v39, v17, v17, 0xc0c0c00
	v_perm_b32 v40, v19, v18, 0xc05010c
	v_perm_b32 v41, v17, v17, 0xc0c0c01
	v_perm_b32 v42, v19, v18, 0xc06020c
	v_perm_b32 v43, v17, v17, 0xc0c0c02
	v_perm_b32 v18, v19, v18, 0xc07030c
	v_perm_b32 v17, v17, v17, 0xc0c0c03
	v_dual_lshrrev_b32 v19, 8, v20 :: v_dual_lshrrev_b32 v44, 24, v20
	v_lshrrev_b32_e32 v45, 16, v20
	v_perm_b32 v46, v23, v22, 0xc04000c
	v_perm_b32 v47, v21, v21, 0xc0c0c00
	;; [unrolled: 1-line block ×8, first 2 shown]
	v_dual_lshrrev_b32 v23, 8, v24 :: v_dual_lshrrev_b32 v52, 24, v24
	v_bfe_i32 v12, v12, 0, 8
	v_lshrrev_b32_e32 v37, 16, v16
	v_bfe_i32 v16, v16, 0, 8
	v_bfe_i32 v20, v20, 0, 8
	v_lshrrev_b32_e32 v53, 16, v24
	v_bfe_i32 v24, v24, 0, 8
	v_bfe_i32 v11, v11, 0, 8
	v_or_b32_e32 v13, v14, v13
	v_bfe_i32 v14, v15, 0, 8
	v_or_b32_e32 v17, v18, v17
	;; [unrolled: 2-line block ×3, first 2 shown]
	v_bfe_i32 v22, v23, 0, 8
	v_bfe_i32 v28, v28, 0, 8
	v_perm_b32 v11, v11, v12, 0x5040100
	v_perm_b32 v14, v14, v16, 0x5040100
	v_perm_b32 v16, v18, v20, 0x5040100
	v_bfe_i32 v15, v37, 0, 8
	v_perm_b32 v55, v25, v25, 0xc0c0c00
	v_perm_b32 v57, v25, v25, 0xc0c0c01
	;; [unrolled: 1-line block ×4, first 2 shown]
	s_wait_xcnt 0x0
	v_add_nc_u32_e32 v0, 0x80, v0
	s_wait_loadcnt 0x3
	v_subrev_nc_u32_e32 v27, s12, v27
	s_wait_loadcnt 0x2
	v_subrev_nc_u32_e32 v60, s12, v60
	s_wait_loadcnt 0x1
	v_subrev_nc_u32_e32 v61, s12, v61
	s_wait_loadcnt 0x0
	v_subrev_nc_u32_e32 v31, s12, v31
	s_wait_kmcnt 0x0
	s_clause 0x3
	global_load_b32 v62, v27, s[4:5] scale_offset
	global_load_b32 v63, v60, s[4:5] scale_offset
	;; [unrolled: 1-line block ×4, first 2 shown]
	s_wait_xcnt 0x3
	v_bfe_i32 v27, v29, 0, 8
	v_or_b32_e32 v29, v32, v33
	v_bfe_i32 v32, v36, 0, 8
	v_bfe_i32 v19, v45, 0, 8
	;; [unrolled: 1-line block ×3, first 2 shown]
	v_perm_b32 v12, v28, v27, 0x5040100
	s_wait_xcnt 0x0
	v_or_b32_e32 v31, v34, v35
	v_bfe_i32 v23, v53, 0, 8
	v_perm_b32 v15, v32, v15, 0x5040100
	v_perm_b32 v18, v36, v19, 0x5040100
	;; [unrolled: 1-line block ×3, first 2 shown]
	s_wait_loadcnt 0x3
	v_bfe_i32 v22, v62, 0, 8
	s_wait_loadcnt 0x2
	v_bfe_i32 v24, v63, 0, 8
	s_wait_loadcnt 0x1
	v_bfe_i32 v27, v64, 0, 8
	s_wait_loadcnt 0x0
	v_bfe_i32 v32, v65, 0, 8
	v_perm_b32 v28, v64, v64, 0xc030201
	v_pk_mul_lo_u16 v11, v22, v11 op_sel_hi:[0,1]
	v_pk_mul_lo_u16 v12, v22, v12 op_sel_hi:[0,1]
	;; [unrolled: 1-line block ×3, first 2 shown]
	v_or_b32_e32 v34, v40, v41
	v_bfe_i32 v40, v52, 0, 8
	v_bfe_i32 v22, v11, 0, 16
	v_ashrrev_i32_e32 v11, 16, v11
	v_or_b32_e32 v33, v38, v39
	v_or_b32_e32 v37, v46, v47
	;; [unrolled: 1-line block ×3, first 2 shown]
	v_perm_b32 v20, v40, v23, 0x5040100
	v_perm_b32 v23, v62, v62, 0xc030201
	v_pk_mul_lo_u16 v15, v24, v15 op_sel_hi:[0,1]
	v_bfe_i32 v24, v12, 0, 16
	v_dual_ashrrev_i32 v12, 16, v12 :: v_dual_add_nc_u32 v8, v8, v22
	v_add_nc_u32_e32 v10, v10, v11
	s_delay_alu instid0(VALU_DEP_3)
	v_dual_add_nc_u32 v9, v9, v24 :: v_dual_bitop2_b32 v39, v50, v51 bitop3:0x54
	v_pk_mul_lo_u16 v16, v27, v16 op_sel_hi:[0,1]
	v_pk_mul_lo_u16 v18, v27, v18 op_sel_hi:[0,1]
	v_bfe_i32 v27, v14, 0, 16
	v_dual_ashrrev_i32 v14, 16, v14 :: v_dual_add_nc_u32 v1, v1, v12
	v_dot4_i32_iu8 v8, v23, v30, v8 neg_lo:[1,1,0]
	v_dot4_i32_iu8 v10, v23, v29, v10 neg_lo:[1,1,0]
	v_or_b32_e32 v35, v42, v43
	v_or_b32_e32 v42, v56, v57
	s_delay_alu instid0(VALU_DEP_4)
	v_dual_add_nc_u32 v8, v8, v27 :: v_dual_bitop2_b32 v25, v26, v25 bitop3:0x54
	v_perm_b32 v26, v63, v63, 0xc030201
	v_pk_mul_lo_u16 v19, v32, v19 op_sel_hi:[0,1]
	v_pk_mul_lo_u16 v20, v32, v20 op_sel_hi:[0,1]
	v_bfe_i32 v32, v15, 0, 16
	v_ashrrev_i32_e32 v15, 16, v15
	v_dot4_i32_iu8 v9, v23, v31, v9 neg_lo:[1,1,0]
	v_dot4_i32_iu8 v1, v23, v13, v1 neg_lo:[1,1,0]
	v_add_nc_u32_e32 v10, v10, v14
	v_or_b32_e32 v43, v58, v59
	v_bfe_i32 v36, v16, 0, 16
	v_ashrrev_i32_e32 v16, 16, v16
	v_add_nc_u32_e32 v9, v9, v32
	v_dot4_i32_iu8 v8, v26, v33, v8 neg_lo:[1,1,0]
	v_add_nc_u32_e32 v1, v1, v15
	v_dot4_i32_iu8 v10, v26, v34, v10 neg_lo:[1,1,0]
	v_dual_ashrrev_i32 v11, 16, v18 :: v_dual_bitop2_b32 v41, v54, v55 bitop3:0x54
	v_bfe_i32 v40, v18, 0, 16
	s_delay_alu instid0(VALU_DEP_3)
	v_dual_ashrrev_i32 v13, 16, v19 :: v_dual_add_nc_u32 v10, v10, v16
	v_dot4_i32_iu8 v9, v26, v35, v9 neg_lo:[1,1,0]
	v_add_nc_u32_e32 v8, v8, v36
	v_dot4_i32_iu8 v1, v26, v17, v1 neg_lo:[1,1,0]
	v_bfe_i32 v12, v19, 0, 16
	v_dot4_i32_iu8 v10, v28, v38, v10 neg_lo:[1,1,0]
	v_add_nc_u32_e32 v9, v9, v40
	v_bfe_i32 v14, v20, 0, 16
	v_dual_add_nc_u32 v1, v1, v11 :: v_dual_ashrrev_i32 v11, 16, v20
	v_dot4_i32_iu8 v8, v28, v37, v8 neg_lo:[1,1,0]
	v_add_nc_u32_e32 v10, v10, v13
	v_dot4_i32_iu8 v9, v28, v39, v9 neg_lo:[1,1,0]
	s_delay_alu instid0(VALU_DEP_4) | instskip(SKIP_1) | instid1(VALU_DEP_3)
	v_dot4_i32_iu8 v1, v28, v21, v1 neg_lo:[1,1,0]
	v_perm_b32 v15, v65, v65, 0xc030201
	v_dual_add_nc_u32 v8, v8, v12 :: v_dual_add_nc_u32 v9, v9, v14
	s_delay_alu instid0(VALU_DEP_3) | instskip(NEXT) | instid1(VALU_DEP_3)
	v_add_nc_u32_e32 v1, v1, v11
	v_dot4_i32_iu8 v10, v15, v42, v10 neg_lo:[1,1,0]
	s_delay_alu instid0(VALU_DEP_3) | instskip(NEXT) | instid1(VALU_DEP_4)
	v_dot4_i32_iu8 v8, v15, v41, v8 neg_lo:[1,1,0]
	v_dot4_i32_iu8 v9, v15, v43, v9 neg_lo:[1,1,0]
	s_delay_alu instid0(VALU_DEP_4)
	v_dot4_i32_iu8 v1, v15, v25, v1 neg_lo:[1,1,0]
	s_and_not1_b32 exec_lo, exec_lo, s6
	s_cbranch_execnz .LBB63_33
; %bb.34:
	s_or_b32 exec_lo, exec_lo, s6
.LBB63_35:
	s_delay_alu instid0(SALU_CYCLE_1) | instskip(NEXT) | instid1(VALU_DEP_1)
	s_or_b32 exec_lo, exec_lo, s2
	v_and_b32_e32 v6, 3, v6
	s_mov_b32 s6, 0
	s_mov_b32 s2, exec_lo
	s_delay_alu instid0(VALU_DEP_1)
	v_cmpx_ne_u32_e32 0, v6
	s_cbranch_execz .LBB63_39
; %bb.36:
	v_lshlrev_b32_e32 v6, 4, v6
.LBB63_37:                              ; =>This Inner Loop Header: Depth=1
	global_load_b32 v7, v0, s[8:9] scale_offset
	global_load_b128 v[12:15], v[2:3], off
	s_wait_xcnt 0x1
	v_dual_add_nc_u32 v0, 32, v0 :: v_dual_add_nc_u32 v6, -16, v6
	s_wait_xcnt 0x0
	v_add_nc_u64_e32 v[2:3], 0x200, v[2:3]
	s_delay_alu instid0(VALU_DEP_2)
	v_cmp_eq_u32_e32 vcc_lo, 0, v6
	s_or_b32 s6, vcc_lo, s6
	s_wait_loadcnt 0x1
	v_subrev_nc_u32_e32 v7, s12, v7
	s_wait_loadcnt 0x0
	v_dual_lshrrev_b32 v11, 8, v12 :: v_dual_lshrrev_b32 v16, 24, v12
	v_perm_b32 v20, v15, v14, 0xc05010c
	v_perm_b32 v21, v13, v13, 0xc0c0c01
	s_wait_kmcnt 0x0
	global_load_b32 v7, v7, s[4:5] scale_offset
	v_lshrrev_b32_e32 v17, 16, v12
	v_bfe_i32 v12, v12, 0, 8
	v_perm_b32 v18, v15, v14, 0xc04000c
	v_perm_b32 v22, v15, v14, 0xc06020c
	;; [unrolled: 1-line block ×3, first 2 shown]
	v_bfe_i32 v11, v11, 0, 8
	v_bfe_i32 v15, v17, 0, 8
	;; [unrolled: 1-line block ×3, first 2 shown]
	v_perm_b32 v19, v13, v13, 0xc0c0c00
	v_perm_b32 v23, v13, v13, 0xc0c0c02
	;; [unrolled: 1-line block ×5, first 2 shown]
	s_wait_loadcnt 0x0
	v_bfe_i32 v15, v7, 0, 8
	v_perm_b32 v7, v7, v7, 0xc030201
	s_delay_alu instid0(VALU_DEP_2)
	v_pk_mul_lo_u16 v11, v15, v11 op_sel_hi:[0,1]
	v_pk_mul_lo_u16 v12, v15, v12 op_sel_hi:[0,1]
	v_or_b32_e32 v17, v18, v19
	v_or_b32_e32 v13, v14, v13
	;; [unrolled: 1-line block ×3, first 2 shown]
	v_bfe_i32 v14, v11, 0, 16
	v_ashrrev_i32_e32 v11, 16, v11
	v_bfe_i32 v15, v12, 0, 16
	v_dual_ashrrev_i32 v12, 16, v12 :: v_dual_bitop2_b32 v16, v22, v23 bitop3:0x54
	s_delay_alu instid0(VALU_DEP_3) | instskip(NEXT) | instid1(VALU_DEP_3)
	v_dual_add_nc_u32 v8, v8, v14 :: v_dual_add_nc_u32 v10, v10, v11
	v_add_nc_u32_e32 v9, v9, v15
	s_delay_alu instid0(VALU_DEP_3) | instskip(NEXT) | instid1(VALU_DEP_3)
	v_add_nc_u32_e32 v1, v1, v12
	v_dot4_i32_iu8 v8, v7, v17, v8 neg_lo:[1,1,0]
	s_delay_alu instid0(VALU_DEP_4) | instskip(NEXT) | instid1(VALU_DEP_4)
	v_dot4_i32_iu8 v10, v7, v18, v10 neg_lo:[1,1,0]
	v_dot4_i32_iu8 v9, v7, v16, v9 neg_lo:[1,1,0]
	s_delay_alu instid0(VALU_DEP_4)
	v_dot4_i32_iu8 v1, v7, v13, v1 neg_lo:[1,1,0]
	s_and_not1_b32 exec_lo, exec_lo, s6
	s_cbranch_execnz .LBB63_37
; %bb.38:
	s_or_b32 exec_lo, exec_lo, s6
.LBB63_39:
	s_delay_alu instid0(SALU_CYCLE_1)
	s_or_b32 exec_lo, exec_lo, s2
.LBB63_40:
	s_delay_alu instid0(SALU_CYCLE_1)
	s_or_b32 exec_lo, exec_lo, s3
.LBB63_41:
	v_mbcnt_lo_u32_b32 v0, -1, 0
	s_mov_b32 s2, -1
	s_delay_alu instid0(VALU_DEP_1) | instskip(SKIP_1) | instid1(VALU_DEP_1)
	v_xor_b32_e32 v11, 8, v0
	v_xor_b32_e32 v2, 16, v0
	v_cmp_gt_i32_e32 vcc_lo, 32, v2
	v_cndmask_b32_e32 v2, v0, v2, vcc_lo
	s_delay_alu instid0(VALU_DEP_4) | instskip(SKIP_1) | instid1(VALU_DEP_1)
	v_cmp_gt_i32_e32 vcc_lo, 32, v11
	v_cndmask_b32_e32 v11, v0, v11, vcc_lo
	v_dual_lshlrev_b32 v11, 2, v11 :: v_dual_lshlrev_b32 v2, 2, v2
	ds_bpermute_b32 v3, v2, v8
	s_wait_dscnt 0x0
	v_add_nc_u32_e32 v3, v3, v8
	ds_bpermute_b32 v6, v2, v10
	ds_bpermute_b32 v7, v2, v9
	;; [unrolled: 1-line block ×3, first 2 shown]
	s_wait_dscnt 0x1
	v_dual_add_nc_u32 v6, v6, v10 :: v_dual_add_nc_u32 v7, v7, v9
	s_wait_dscnt 0x0
	v_add_nc_u32_e32 v1, v2, v1
	ds_bpermute_b32 v2, v11, v3
	ds_bpermute_b32 v8, v11, v6
	;; [unrolled: 1-line block ×4, first 2 shown]
	v_xor_b32_e32 v11, 4, v0
	s_delay_alu instid0(VALU_DEP_1) | instskip(SKIP_1) | instid1(VALU_DEP_1)
	v_cmp_gt_i32_e32 vcc_lo, 32, v11
	v_cndmask_b32_e32 v11, v0, v11, vcc_lo
	v_lshlrev_b32_e32 v11, 2, v11
	s_wait_dscnt 0x2
	v_dual_add_nc_u32 v2, v2, v3 :: v_dual_add_nc_u32 v3, v8, v6
	s_wait_dscnt 0x0
	v_dual_add_nc_u32 v6, v9, v7 :: v_dual_add_nc_u32 v1, v10, v1
	ds_bpermute_b32 v7, v11, v2
	ds_bpermute_b32 v8, v11, v3
	;; [unrolled: 1-line block ×4, first 2 shown]
	v_xor_b32_e32 v11, 2, v0
	s_delay_alu instid0(VALU_DEP_1) | instskip(SKIP_3) | instid1(VALU_DEP_1)
	v_cmp_gt_i32_e32 vcc_lo, 32, v11
	s_wait_dscnt 0x3
	v_dual_cndmask_b32 v11, v0, v11 :: v_dual_add_nc_u32 v2, v7, v2
	s_wait_dscnt 0x1
	v_dual_lshlrev_b32 v11, 2, v11 :: v_dual_add_nc_u32 v6, v9, v6
	s_wait_dscnt 0x0
	v_dual_add_nc_u32 v3, v8, v3 :: v_dual_add_nc_u32 v7, v10, v1
	ds_bpermute_b32 v1, v11, v2
	ds_bpermute_b32 v9, v11, v6
	ds_bpermute_b32 v8, v11, v3
	ds_bpermute_b32 v10, v11, v7
	s_wait_dscnt 0x3
	v_dual_add_nc_u32 v1, v1, v2 :: v_dual_bitop2_b32 v11, 1, v0 bitop3:0x14
	s_delay_alu instid0(VALU_DEP_1) | instskip(SKIP_4) | instid1(VALU_DEP_2)
	v_cmp_gt_i32_e32 vcc_lo, 32, v11
	s_wait_dscnt 0x0
	v_add_nc_u32_e32 v2, v10, v7
	v_cndmask_b32_e32 v0, v0, v11, vcc_lo
	v_cmp_eq_u32_e32 vcc_lo, 31, v5
	v_dual_lshlrev_b32 v11, 2, v0 :: v_dual_add_nc_u32 v0, v8, v3
	v_add_nc_u32_e32 v3, v9, v6
	ds_bpermute_b32 v8, v11, v1
	ds_bpermute_b32 v9, v11, v0
	;; [unrolled: 1-line block ×4, first 2 shown]
	s_and_b32 exec_lo, exec_lo, vcc_lo
	s_cbranch_execz .LBB63_14
; %bb.42:
	s_load_b64 s[0:1], s[0:1], 0x50
	s_wait_dscnt 0x2
	v_dual_add_nc_u32 v1, v8, v1 :: v_dual_add_nc_u32 v5, v9, v0
	s_wait_dscnt 0x0
	v_dual_add_nc_u32 v3, v6, v3 :: v_dual_add_nc_u32 v6, v7, v2
	v_lshlrev_b32_e32 v4, 2, v4
	s_delay_alu instid0(VALU_DEP_3) | instskip(SKIP_1) | instid1(VALU_DEP_4)
	v_mul_lo_u32 v0, v1, s13
	v_mul_lo_u32 v1, v5, s13
	;; [unrolled: 1-line block ×4, first 2 shown]
	s_cmp_eq_u32 s14, 0
	s_cbranch_scc1 .LBB63_44
; %bb.43:
	v_ashrrev_i32_e32 v5, 31, v4
	s_mov_b32 s2, 0
	s_wait_kmcnt 0x0
	s_delay_alu instid0(VALU_DEP_1)
	v_lshl_add_u64 v[10:11], v[4:5], 2, s[0:1]
	global_load_b128 v[6:9], v[10:11], off
	s_wait_loadcnt 0x0
	v_mad_u32 v7, v7, s14, v1
	v_mad_u32 v6, v6, s14, v0
	;; [unrolled: 1-line block ×4, first 2 shown]
	global_store_b128 v[10:11], v[6:9], off
.LBB63_44:
	s_and_not1_b32 vcc_lo, exec_lo, s2
	s_cbranch_vccnz .LBB63_14
; %bb.45:
	v_ashrrev_i32_e32 v5, 31, v4
	s_wait_kmcnt 0x0
	s_delay_alu instid0(VALU_DEP_1)
	v_lshl_add_u64 v[4:5], v[4:5], 2, s[0:1]
	global_store_b128 v[4:5], v[0:3], off
	s_sendmsg sendmsg(MSG_DEALLOC_VGPRS)
	s_endpgm
	.section	.rodata,"a",@progbits
	.p2align	6, 0x0
	.amdhsa_kernel _ZN9rocsparseL18bsrxmvn_4x4_kernelILj128ELj32EiiiaaiEEvT3_20rocsparse_direction_NS_24const_host_device_scalarIT1_EES1_PKS1_PKT2_SA_S7_PKT4_PKT5_S5_PT6_21rocsparse_index_base_b
		.amdhsa_group_segment_fixed_size 0
		.amdhsa_private_segment_fixed_size 0
		.amdhsa_kernarg_size 96
		.amdhsa_user_sgpr_count 2
		.amdhsa_user_sgpr_dispatch_ptr 0
		.amdhsa_user_sgpr_queue_ptr 0
		.amdhsa_user_sgpr_kernarg_segment_ptr 1
		.amdhsa_user_sgpr_dispatch_id 0
		.amdhsa_user_sgpr_kernarg_preload_length 0
		.amdhsa_user_sgpr_kernarg_preload_offset 0
		.amdhsa_user_sgpr_private_segment_size 0
		.amdhsa_wavefront_size32 1
		.amdhsa_uses_dynamic_stack 0
		.amdhsa_enable_private_segment 0
		.amdhsa_system_sgpr_workgroup_id_x 1
		.amdhsa_system_sgpr_workgroup_id_y 0
		.amdhsa_system_sgpr_workgroup_id_z 0
		.amdhsa_system_sgpr_workgroup_info 0
		.amdhsa_system_vgpr_workitem_id 0
		.amdhsa_next_free_vgpr 66
		.amdhsa_next_free_sgpr 15
		.amdhsa_named_barrier_count 0
		.amdhsa_reserve_vcc 1
		.amdhsa_float_round_mode_32 0
		.amdhsa_float_round_mode_16_64 0
		.amdhsa_float_denorm_mode_32 3
		.amdhsa_float_denorm_mode_16_64 3
		.amdhsa_fp16_overflow 0
		.amdhsa_memory_ordered 1
		.amdhsa_forward_progress 1
		.amdhsa_inst_pref_size 38
		.amdhsa_round_robin_scheduling 0
		.amdhsa_exception_fp_ieee_invalid_op 0
		.amdhsa_exception_fp_denorm_src 0
		.amdhsa_exception_fp_ieee_div_zero 0
		.amdhsa_exception_fp_ieee_overflow 0
		.amdhsa_exception_fp_ieee_underflow 0
		.amdhsa_exception_fp_ieee_inexact 0
		.amdhsa_exception_int_div_zero 0
	.end_amdhsa_kernel
	.section	.text._ZN9rocsparseL18bsrxmvn_4x4_kernelILj128ELj32EiiiaaiEEvT3_20rocsparse_direction_NS_24const_host_device_scalarIT1_EES1_PKS1_PKT2_SA_S7_PKT4_PKT5_S5_PT6_21rocsparse_index_base_b,"axG",@progbits,_ZN9rocsparseL18bsrxmvn_4x4_kernelILj128ELj32EiiiaaiEEvT3_20rocsparse_direction_NS_24const_host_device_scalarIT1_EES1_PKS1_PKT2_SA_S7_PKT4_PKT5_S5_PT6_21rocsparse_index_base_b,comdat
.Lfunc_end63:
	.size	_ZN9rocsparseL18bsrxmvn_4x4_kernelILj128ELj32EiiiaaiEEvT3_20rocsparse_direction_NS_24const_host_device_scalarIT1_EES1_PKS1_PKT2_SA_S7_PKT4_PKT5_S5_PT6_21rocsparse_index_base_b, .Lfunc_end63-_ZN9rocsparseL18bsrxmvn_4x4_kernelILj128ELj32EiiiaaiEEvT3_20rocsparse_direction_NS_24const_host_device_scalarIT1_EES1_PKS1_PKT2_SA_S7_PKT4_PKT5_S5_PT6_21rocsparse_index_base_b
                                        ; -- End function
	.set _ZN9rocsparseL18bsrxmvn_4x4_kernelILj128ELj32EiiiaaiEEvT3_20rocsparse_direction_NS_24const_host_device_scalarIT1_EES1_PKS1_PKT2_SA_S7_PKT4_PKT5_S5_PT6_21rocsparse_index_base_b.num_vgpr, 66
	.set _ZN9rocsparseL18bsrxmvn_4x4_kernelILj128ELj32EiiiaaiEEvT3_20rocsparse_direction_NS_24const_host_device_scalarIT1_EES1_PKS1_PKT2_SA_S7_PKT4_PKT5_S5_PT6_21rocsparse_index_base_b.num_agpr, 0
	.set _ZN9rocsparseL18bsrxmvn_4x4_kernelILj128ELj32EiiiaaiEEvT3_20rocsparse_direction_NS_24const_host_device_scalarIT1_EES1_PKS1_PKT2_SA_S7_PKT4_PKT5_S5_PT6_21rocsparse_index_base_b.numbered_sgpr, 15
	.set _ZN9rocsparseL18bsrxmvn_4x4_kernelILj128ELj32EiiiaaiEEvT3_20rocsparse_direction_NS_24const_host_device_scalarIT1_EES1_PKS1_PKT2_SA_S7_PKT4_PKT5_S5_PT6_21rocsparse_index_base_b.num_named_barrier, 0
	.set _ZN9rocsparseL18bsrxmvn_4x4_kernelILj128ELj32EiiiaaiEEvT3_20rocsparse_direction_NS_24const_host_device_scalarIT1_EES1_PKS1_PKT2_SA_S7_PKT4_PKT5_S5_PT6_21rocsparse_index_base_b.private_seg_size, 0
	.set _ZN9rocsparseL18bsrxmvn_4x4_kernelILj128ELj32EiiiaaiEEvT3_20rocsparse_direction_NS_24const_host_device_scalarIT1_EES1_PKS1_PKT2_SA_S7_PKT4_PKT5_S5_PT6_21rocsparse_index_base_b.uses_vcc, 1
	.set _ZN9rocsparseL18bsrxmvn_4x4_kernelILj128ELj32EiiiaaiEEvT3_20rocsparse_direction_NS_24const_host_device_scalarIT1_EES1_PKS1_PKT2_SA_S7_PKT4_PKT5_S5_PT6_21rocsparse_index_base_b.uses_flat_scratch, 0
	.set _ZN9rocsparseL18bsrxmvn_4x4_kernelILj128ELj32EiiiaaiEEvT3_20rocsparse_direction_NS_24const_host_device_scalarIT1_EES1_PKS1_PKT2_SA_S7_PKT4_PKT5_S5_PT6_21rocsparse_index_base_b.has_dyn_sized_stack, 0
	.set _ZN9rocsparseL18bsrxmvn_4x4_kernelILj128ELj32EiiiaaiEEvT3_20rocsparse_direction_NS_24const_host_device_scalarIT1_EES1_PKS1_PKT2_SA_S7_PKT4_PKT5_S5_PT6_21rocsparse_index_base_b.has_recursion, 0
	.set _ZN9rocsparseL18bsrxmvn_4x4_kernelILj128ELj32EiiiaaiEEvT3_20rocsparse_direction_NS_24const_host_device_scalarIT1_EES1_PKS1_PKT2_SA_S7_PKT4_PKT5_S5_PT6_21rocsparse_index_base_b.has_indirect_call, 0
	.section	.AMDGPU.csdata,"",@progbits
; Kernel info:
; codeLenInByte = 4788
; TotalNumSgprs: 17
; NumVgprs: 66
; ScratchSize: 0
; MemoryBound: 0
; FloatMode: 240
; IeeeMode: 1
; LDSByteSize: 0 bytes/workgroup (compile time only)
; SGPRBlocks: 0
; VGPRBlocks: 4
; NumSGPRsForWavesPerEU: 17
; NumVGPRsForWavesPerEU: 66
; NamedBarCnt: 0
; Occupancy: 12
; WaveLimiterHint : 1
; COMPUTE_PGM_RSRC2:SCRATCH_EN: 0
; COMPUTE_PGM_RSRC2:USER_SGPR: 2
; COMPUTE_PGM_RSRC2:TRAP_HANDLER: 0
; COMPUTE_PGM_RSRC2:TGID_X_EN: 1
; COMPUTE_PGM_RSRC2:TGID_Y_EN: 0
; COMPUTE_PGM_RSRC2:TGID_Z_EN: 0
; COMPUTE_PGM_RSRC2:TIDIG_COMP_CNT: 0
	.section	.text._ZN9rocsparseL18bsrxmvn_4x4_kernelILj128ELj64EiiiaaiEEvT3_20rocsparse_direction_NS_24const_host_device_scalarIT1_EES1_PKS1_PKT2_SA_S7_PKT4_PKT5_S5_PT6_21rocsparse_index_base_b,"axG",@progbits,_ZN9rocsparseL18bsrxmvn_4x4_kernelILj128ELj64EiiiaaiEEvT3_20rocsparse_direction_NS_24const_host_device_scalarIT1_EES1_PKS1_PKT2_SA_S7_PKT4_PKT5_S5_PT6_21rocsparse_index_base_b,comdat
	.globl	_ZN9rocsparseL18bsrxmvn_4x4_kernelILj128ELj64EiiiaaiEEvT3_20rocsparse_direction_NS_24const_host_device_scalarIT1_EES1_PKS1_PKT2_SA_S7_PKT4_PKT5_S5_PT6_21rocsparse_index_base_b ; -- Begin function _ZN9rocsparseL18bsrxmvn_4x4_kernelILj128ELj64EiiiaaiEEvT3_20rocsparse_direction_NS_24const_host_device_scalarIT1_EES1_PKS1_PKT2_SA_S7_PKT4_PKT5_S5_PT6_21rocsparse_index_base_b
	.p2align	8
	.type	_ZN9rocsparseL18bsrxmvn_4x4_kernelILj128ELj64EiiiaaiEEvT3_20rocsparse_direction_NS_24const_host_device_scalarIT1_EES1_PKS1_PKT2_SA_S7_PKT4_PKT5_S5_PT6_21rocsparse_index_base_b,@function
_ZN9rocsparseL18bsrxmvn_4x4_kernelILj128ELj64EiiiaaiEEvT3_20rocsparse_direction_NS_24const_host_device_scalarIT1_EES1_PKS1_PKT2_SA_S7_PKT4_PKT5_S5_PT6_21rocsparse_index_base_b: ; @_ZN9rocsparseL18bsrxmvn_4x4_kernelILj128ELj64EiiiaaiEEvT3_20rocsparse_direction_NS_24const_host_device_scalarIT1_EES1_PKS1_PKT2_SA_S7_PKT4_PKT5_S5_PT6_21rocsparse_index_base_b
; %bb.0:
	s_clause 0x1
	s_load_b64 s[12:13], s[0:1], 0x58
	s_load_b64 s[4:5], s[0:1], 0x8
	s_mov_b32 s7, -1
	s_wait_kmcnt 0x0
	s_bitcmp1_b32 s13, 0
                                        ; implicit-def: $sgpr13
	s_cselect_b32 s2, -1, 0
	s_delay_alu instid0(SALU_CYCLE_1) | instskip(NEXT) | instid1(SALU_CYCLE_1)
	s_xor_b32 s6, s2, -1
	s_and_b32 vcc_lo, exec_lo, s6
	s_cbranch_vccnz .LBB64_4
; %bb.1:
	s_load_b64 s[2:3], s[0:1], 0x48
	s_and_not1_b32 vcc_lo, exec_lo, s7
	s_cbranch_vccz .LBB64_5
.LBB64_2:
	s_and_b32 vcc_lo, exec_lo, s6
	s_cbranch_vccz .LBB64_6
.LBB64_3:
	s_wait_kmcnt 0x0
	s_load_b32 s14, s[2:3], 0x0
	s_wait_xcnt 0x0
	s_cbranch_execz .LBB64_7
	s_branch .LBB64_8
.LBB64_4:
	s_load_b32 s13, s[4:5], 0x0
	s_load_b64 s[2:3], s[0:1], 0x48
	s_cbranch_execnz .LBB64_2
.LBB64_5:
	s_wait_kmcnt 0x0
	s_mov_b32 s13, s4
	s_and_b32 vcc_lo, exec_lo, s6
	s_cbranch_vccnz .LBB64_3
.LBB64_6:
	s_wait_kmcnt 0x0
                                        ; implicit-def: $sgpr14
.LBB64_7:
	s_wait_kmcnt 0x0
	s_mov_b32 s14, s2
.LBB64_8:
	s_cmp_lg_u32 s13, 0
	s_mov_b32 s6, 0
	s_cselect_b32 s2, -1, 0
	s_wait_kmcnt 0x0
	s_cmp_lg_u32 s14, 1
	s_cselect_b32 s3, -1, 0
	s_delay_alu instid0(SALU_CYCLE_1) | instskip(NEXT) | instid1(SALU_CYCLE_1)
	s_or_b32 s2, s2, s3
	s_and_not1_b32 vcc_lo, exec_lo, s2
	s_cbranch_vccnz .LBB64_14
; %bb.9:
	s_clause 0x1
	s_load_b64 s[4:5], s[0:1], 0x18
	s_load_b64 s[2:3], s[0:1], 0x0
	s_bfe_u32 s7, ttmp6, 0x4000c
	s_and_b32 s8, ttmp6, 15
	s_add_co_i32 s7, s7, 1
	s_getreg_b32 s9, hwreg(HW_REG_IB_STS2, 6, 4)
	s_mul_i32 s7, ttmp9, s7
	v_lshrrev_b32_e32 v1, 6, v0
	s_add_co_i32 s8, s8, s7
	s_cmp_eq_u32 s9, 0
	s_cselect_b32 s7, ttmp9, s8
	s_delay_alu instid0(VALU_DEP_1) | instid1(SALU_CYCLE_1)
	v_lshl_or_b32 v4, s7, 1, v1
	s_wait_kmcnt 0x0
	s_cmp_lg_u64 s[4:5], 0
	s_cbranch_scc0 .LBB64_15
; %bb.10:
	s_load_b32 s6, s[0:1], 0x10
	s_mov_b32 s7, 0
                                        ; implicit-def: $vgpr1
	s_wait_kmcnt 0x0
	v_cmp_gt_i32_e32 vcc_lo, s6, v4
	s_mov_b32 s6, 0
	s_and_saveexec_b32 s8, vcc_lo
	s_delay_alu instid0(SALU_CYCLE_1)
	s_xor_b32 s8, exec_lo, s8
	s_cbranch_execz .LBB64_12
; %bb.11:
	global_load_b32 v1, v4, s[4:5] scale_offset
	s_mov_b32 s6, exec_lo
	s_wait_loadcnt 0x0
	v_subrev_nc_u32_e32 v1, s12, v1
.LBB64_12:
	s_or_b32 exec_lo, exec_lo, s8
	s_delay_alu instid0(SALU_CYCLE_1)
	s_and_b32 vcc_lo, exec_lo, s7
	s_cbranch_vccz .LBB64_16
.LBB64_13:
	v_cmp_gt_i32_e32 vcc_lo, s2, v4
	s_and_not1_b32 s2, s6, exec_lo
	s_and_b32 s4, vcc_lo, exec_lo
	s_delay_alu instid0(SALU_CYCLE_1) | instskip(NEXT) | instid1(SALU_CYCLE_1)
	s_or_b32 s6, s2, s4
	s_and_saveexec_b32 s2, s6
	s_cbranch_execnz .LBB64_17
.LBB64_14:
	s_endpgm
.LBB64_15:
                                        ; implicit-def: $vgpr1
	s_cbranch_execnz .LBB64_13
.LBB64_16:
	s_delay_alu instid0(VALU_DEP_1)
	v_mov_b32_e32 v4, v1
	s_and_saveexec_b32 s2, s6
	s_cbranch_execz .LBB64_14
.LBB64_17:
	s_load_b256 s[4:11], s[0:1], 0x20
	s_wait_kmcnt 0x0
	s_cmp_eq_u64 s[6:7], 0
	global_load_b32 v12, v4, s[4:5] scale_offset
	s_cselect_b32 vcc_lo, -1, 0
	v_ashrrev_i32_e32 v5, 31, v4
	s_cmp_eq_u32 s3, 1
	s_delay_alu instid0(VALU_DEP_1) | instskip(SKIP_1) | instid1(VALU_DEP_2)
	v_lshlrev_b64_e32 v[2:3], 2, v[4:5]
	v_and_b32_e32 v5, 63, v0
	v_add_nc_u64_e32 v[6:7], s[4:5], v[2:3]
	v_add_nc_u64_e32 v[2:3], s[6:7], v[2:3]
	s_wait_xcnt 0x0
	s_load_b64 s[4:5], s[0:1], 0x40
	s_delay_alu instid0(VALU_DEP_2) | instskip(NEXT) | instid1(VALU_DEP_1)
	v_add_nc_u64_e32 v[6:7], 4, v[6:7]
	v_dual_cndmask_b32 v3, v3, v7 :: v_dual_cndmask_b32 v2, v2, v6
	global_load_b32 v2, v[2:3], off
	s_wait_loadcnt 0x1
	v_subrev_nc_u32_e32 v0, s12, v12
	s_delay_alu instid0(VALU_DEP_1) | instskip(NEXT) | instid1(VALU_DEP_1)
	v_add_nc_u32_e32 v0, v0, v5
	v_ashrrev_i32_e32 v1, 31, v0
	s_wait_loadcnt 0x0
	v_subrev_nc_u32_e32 v8, s12, v2
	s_delay_alu instid0(VALU_DEP_2) | instskip(NEXT) | instid1(VALU_DEP_2)
	v_lshl_add_u64 v[2:3], v[0:1], 4, s[10:11]
	v_cmp_lt_i32_e64 s2, v0, v8
	s_cbranch_scc1 .LBB64_29
; %bb.18:
	v_dual_mov_b32 v1, 0 :: v_dual_mov_b32 v9, 0
	v_dual_mov_b32 v10, 0 :: v_dual_mov_b32 v11, 0
	s_and_saveexec_b32 s3, s2
	s_cbranch_execz .LBB64_28
; %bb.19:
	v_dual_add_nc_u32 v1, v12, v5 :: v_dual_mov_b32 v11, 0
	v_not_b32_e32 v6, v12
	v_dual_mov_b32 v10, 0 :: v_dual_mov_b32 v13, v0
	s_delay_alu instid0(VALU_DEP_3) | instskip(SKIP_1) | instid1(VALU_DEP_2)
	v_subrev_nc_u32_e32 v1, s12, v1
	v_mov_b32_e32 v9, 0
	v_add_max_i32_e64 v1, v1, 64, v8
	s_delay_alu instid0(VALU_DEP_1) | instskip(NEXT) | instid1(VALU_DEP_1)
	v_add3_u32 v1, s12, v1, v6
	v_dual_mov_b32 v1, 0 :: v_dual_sub_nc_u32 v6, v1, v5
	s_delay_alu instid0(VALU_DEP_1) | instskip(SKIP_1) | instid1(VALU_DEP_2)
	v_lshrrev_b32_e32 v7, 6, v6
	v_cmp_lt_u32_e32 vcc_lo, 0xbf, v6
	v_add_nc_u32_e32 v14, 1, v7
	v_mov_b64_e32 v[6:7], v[2:3]
	s_and_saveexec_b32 s6, vcc_lo
	s_cbranch_execz .LBB64_23
; %bb.20:
	v_mov_b64_e32 v[6:7], v[2:3]
	v_and_b32_e32 v15, 0x7fffffc, v14
	v_dual_mov_b32 v1, 0 :: v_dual_mov_b32 v9, 0
	v_dual_mov_b32 v10, 0 :: v_dual_mov_b32 v11, 0
	v_mov_b32_e32 v13, v0
	s_mov_b32 s7, 0
.LBB64_21:                              ; =>This Inner Loop Header: Depth=1
	s_clause 0x3
	global_load_b32 v28, v13, s[8:9] scale_offset
	global_load_b32 v32, v13, s[8:9] offset:256 scale_offset
	global_load_b32 v33, v13, s[8:9] offset:512 scale_offset
	;; [unrolled: 1-line block ×3, first 2 shown]
	s_clause 0x2
	global_load_b128 v[16:19], v[6:7], off
	global_load_b128 v[20:23], v[6:7], off offset:1024
	global_load_b128 v[24:27], v[6:7], off offset:2048
	v_add_nc_u32_e32 v15, -4, v15
	s_wait_xcnt 0x3
	v_add_nc_u32_e32 v13, 0x100, v13
	s_delay_alu instid0(VALU_DEP_2)
	v_cmp_eq_u32_e32 vcc_lo, 0, v15
	s_or_b32 s7, vcc_lo, s7
	s_wait_loadcnt 0x6
	v_subrev_nc_u32_e32 v35, s12, v28
	s_wait_loadcnt 0x5
	v_subrev_nc_u32_e32 v32, s12, v32
	;; [unrolled: 2-line block ×4, first 2 shown]
	global_load_b128 v[28:31], v[6:7], off offset:3072
	s_wait_kmcnt 0x0
	global_load_b32 v36, v35, s[4:5] scale_offset
	s_wait_loadcnt 0x4
	s_wait_xcnt 0x0
	v_perm_b32 v35, v19, v19, 0xc0c0100
	s_clause 0x2
	global_load_b32 v32, v32, s[4:5] scale_offset
	global_load_b32 v33, v33, s[4:5] scale_offset
	;; [unrolled: 1-line block ×3, first 2 shown]
	v_perm_b32 v37, v18, v18, 0xc0c0100
	v_perm_b32 v38, v17, v17, 0xc0c0100
	;; [unrolled: 1-line block ×7, first 2 shown]
	s_wait_loadcnt 0x6
	v_perm_b32 v40, v23, v23, 0xc0c0100
	v_perm_b32 v41, v22, v22, 0xc0c0100
	;; [unrolled: 1-line block ×8, first 2 shown]
	s_wait_loadcnt 0x5
	v_perm_b32 v44, v27, v27, 0xc0c0100
	v_perm_b32 v45, v26, v26, 0xc0c0100
	v_perm_b32 v46, v25, v25, 0xc0c0100
	v_perm_b32 v47, v24, v24, 0xc0c0100
	v_perm_b32 v24, v24, v24, 0xc0c0302
	v_perm_b32 v25, v25, v25, 0xc0c0302
	v_perm_b32 v26, v26, v26, 0xc0c0302
	v_perm_b32 v27, v27, v27, 0xc0c0302
	v_add_nc_u64_e32 v[6:7], 0x1000, v[6:7]
	s_wait_loadcnt 0x4
	v_perm_b32 v48, v31, v31, 0xc0c0100
	s_wait_loadcnt 0x3
	v_perm_b32 v52, v36, v36, 0xc0c0100
	v_perm_b32 v36, v36, v36, 0xc0c0302
	;; [unrolled: 1-line block ×5, first 2 shown]
	v_dot4_i32_iu8 v11, v52, v39, v11 neg_lo:[1,1,0]
	v_dot4_i32_iu8 v10, v38, v52, v10 neg_lo:[1,1,0]
	v_dot4_i32_iu8 v9, v37, v52, v9 neg_lo:[1,1,0]
	v_dot4_i32_iu8 v1, v35, v52, v1 neg_lo:[1,1,0]
	s_wait_loadcnt 0x2
	v_perm_b32 v35, v32, v32, 0xc0c0100
	v_dot4_i32_iu8 v11, v36, v16, v11 neg_lo:[1,1,0]
	v_dot4_i32_iu8 v10, v36, v17, v10 neg_lo:[1,1,0]
	v_dot4_i32_iu8 v9, v36, v18, v9 neg_lo:[1,1,0]
	v_dot4_i32_iu8 v1, v36, v19, v1 neg_lo:[1,1,0]
	v_perm_b32 v16, v32, v32, 0xc0c0302
	v_dot4_i32_iu8 v11, v35, v43, v11 neg_lo:[1,1,0]
	v_dot4_i32_iu8 v10, v42, v35, v10 neg_lo:[1,1,0]
	v_dot4_i32_iu8 v9, v41, v35, v9 neg_lo:[1,1,0]
	v_dot4_i32_iu8 v1, v40, v35, v1 neg_lo:[1,1,0]
	s_wait_loadcnt 0x1
	v_perm_b32 v17, v33, v33, 0xc0c0100
	v_dot4_i32_iu8 v11, v16, v20, v11 neg_lo:[1,1,0]
	v_dot4_i32_iu8 v10, v16, v21, v10 neg_lo:[1,1,0]
	v_dot4_i32_iu8 v9, v16, v22, v9 neg_lo:[1,1,0]
	v_dot4_i32_iu8 v1, v16, v23, v1 neg_lo:[1,1,0]
	v_perm_b32 v16, v33, v33, 0xc0c0302
	;; [unrolled: 11-line block ×3, first 2 shown]
	v_perm_b32 v29, v29, v29, 0xc0c0302
	v_perm_b32 v30, v30, v30, 0xc0c0302
	;; [unrolled: 1-line block ×4, first 2 shown]
	v_dot4_i32_iu8 v11, v17, v51, v11 neg_lo:[1,1,0]
	v_dot4_i32_iu8 v10, v50, v17, v10 neg_lo:[1,1,0]
	;; [unrolled: 1-line block ×4, first 2 shown]
	s_delay_alu instid0(VALU_DEP_4) | instskip(NEXT) | instid1(VALU_DEP_4)
	v_dot4_i32_iu8 v11, v16, v28, v11 neg_lo:[1,1,0]
	v_dot4_i32_iu8 v10, v16, v29, v10 neg_lo:[1,1,0]
	s_delay_alu instid0(VALU_DEP_4) | instskip(NEXT) | instid1(VALU_DEP_4)
	v_dot4_i32_iu8 v9, v16, v30, v9 neg_lo:[1,1,0]
	v_dot4_i32_iu8 v1, v16, v31, v1 neg_lo:[1,1,0]
	s_and_not1_b32 exec_lo, exec_lo, s7
	s_cbranch_execnz .LBB64_21
; %bb.22:
	s_or_b32 exec_lo, exec_lo, s7
.LBB64_23:
	s_delay_alu instid0(SALU_CYCLE_1) | instskip(SKIP_3) | instid1(VALU_DEP_1)
	s_or_b32 exec_lo, exec_lo, s6
	v_and_b32_e32 v14, 3, v14
	s_mov_b32 s7, 0
	s_mov_b32 s6, exec_lo
	v_cmpx_ne_u32_e32 0, v14
	s_cbranch_execz .LBB64_27
; %bb.24:
	v_lshlrev_b32_e32 v14, 4, v14
.LBB64_25:                              ; =>This Inner Loop Header: Depth=1
	global_load_b32 v15, v13, s[8:9] scale_offset
	s_wait_xcnt 0x0
	v_dual_add_nc_u32 v13, 64, v13 :: v_dual_add_nc_u32 v14, -16, v14
	s_delay_alu instid0(VALU_DEP_1)
	v_cmp_eq_u32_e32 vcc_lo, 0, v14
	s_or_b32 s7, vcc_lo, s7
	s_wait_loadcnt 0x0
	v_subrev_nc_u32_e32 v15, s12, v15
	global_load_b128 v[16:19], v[6:7], off
	s_wait_kmcnt 0x0
	global_load_b32 v20, v15, s[4:5] scale_offset
	s_wait_xcnt 0x1
	v_add_nc_u64_e32 v[6:7], 0x400, v[6:7]
	s_wait_loadcnt 0x1
	s_wait_xcnt 0x0
	v_perm_b32 v15, v19, v19, 0xc0c0100
	v_perm_b32 v21, v18, v18, 0xc0c0100
	;; [unrolled: 1-line block ×4, first 2 shown]
	s_wait_loadcnt 0x0
	v_perm_b32 v24, v20, v20, 0xc0c0100
	v_perm_b32 v16, v16, v16, 0xc0c0302
	;; [unrolled: 1-line block ×6, first 2 shown]
	v_dot4_i32_iu8 v11, v24, v23, v11 neg_lo:[1,1,0]
	v_dot4_i32_iu8 v10, v22, v24, v10 neg_lo:[1,1,0]
	v_dot4_i32_iu8 v9, v21, v24, v9 neg_lo:[1,1,0]
	v_dot4_i32_iu8 v1, v15, v24, v1 neg_lo:[1,1,0]
	s_delay_alu instid0(VALU_DEP_4) | instskip(NEXT) | instid1(VALU_DEP_4)
	v_dot4_i32_iu8 v11, v20, v16, v11 neg_lo:[1,1,0]
	v_dot4_i32_iu8 v10, v20, v17, v10 neg_lo:[1,1,0]
	s_delay_alu instid0(VALU_DEP_4) | instskip(NEXT) | instid1(VALU_DEP_4)
	v_dot4_i32_iu8 v9, v20, v18, v9 neg_lo:[1,1,0]
	v_dot4_i32_iu8 v1, v20, v19, v1 neg_lo:[1,1,0]
	s_and_not1_b32 exec_lo, exec_lo, s7
	s_cbranch_execnz .LBB64_25
; %bb.26:
	s_or_b32 exec_lo, exec_lo, s7
.LBB64_27:
	s_delay_alu instid0(SALU_CYCLE_1)
	s_or_b32 exec_lo, exec_lo, s6
.LBB64_28:
	s_delay_alu instid0(SALU_CYCLE_1)
	s_or_b32 exec_lo, exec_lo, s3
	s_cbranch_execz .LBB64_30
	s_branch .LBB64_41
.LBB64_29:
                                        ; implicit-def: $vgpr1
                                        ; implicit-def: $vgpr9
                                        ; implicit-def: $vgpr10
                                        ; implicit-def: $vgpr11
.LBB64_30:
	v_dual_mov_b32 v1, 0 :: v_dual_mov_b32 v9, 0
	v_dual_mov_b32 v10, 0 :: v_dual_mov_b32 v11, 0
	s_and_saveexec_b32 s3, s2
	s_cbranch_execz .LBB64_40
; %bb.31:
	v_dual_add_nc_u32 v1, v12, v5 :: v_dual_mov_b32 v9, 0
	v_not_b32_e32 v6, v12
	v_dual_mov_b32 v10, 0 :: v_dual_mov_b32 v11, 0
	s_delay_alu instid0(VALU_DEP_3) | instskip(SKIP_1) | instid1(VALU_DEP_1)
	v_subrev_nc_u32_e32 v1, s12, v1
	s_mov_b32 s2, exec_lo
	v_add_max_i32_e64 v1, v1, 64, v8
	s_delay_alu instid0(VALU_DEP_1) | instskip(NEXT) | instid1(VALU_DEP_1)
	v_add3_u32 v1, s12, v1, v6
	v_dual_mov_b32 v1, 0 :: v_dual_sub_nc_u32 v6, v1, v5
	s_delay_alu instid0(VALU_DEP_1) | instskip(NEXT) | instid1(VALU_DEP_1)
	v_and_b32_e32 v7, 0xc0, v6
	v_cmpx_ne_u32_e32 0xc0, v7
	s_cbranch_execz .LBB64_35
; %bb.32:
	v_dual_lshrrev_b32 v1, 6, v6 :: v_dual_mov_b32 v11, 0
	s_mov_b32 s6, 0
	v_dual_mov_b32 v10, 0 :: v_dual_mov_b32 v9, 0
	s_delay_alu instid0(VALU_DEP_2) | instskip(NEXT) | instid1(VALU_DEP_1)
	v_add_nc_u32_e32 v1, 1, v1
	v_and_b32_e32 v1, 3, v1
	s_delay_alu instid0(VALU_DEP_1)
	v_dual_sub_nc_u32 v7, 0, v1 :: v_dual_mov_b32 v1, 0
.LBB64_33:                              ; =>This Inner Loop Header: Depth=1
	global_load_b32 v16, v0, s[8:9] scale_offset
	global_load_b128 v[12:15], v[2:3], off
	s_wait_xcnt 0x1
	v_add_nc_u32_e32 v0, 64, v0
	s_wait_xcnt 0x0
	v_add_nc_u64_e32 v[2:3], 0x400, v[2:3]
	v_add_co_u32 v7, s7, v7, 1
	s_or_b32 s6, s7, s6
	s_wait_loadcnt 0x1
	v_subrev_nc_u32_e32 v16, s12, v16
	s_wait_loadcnt 0x0
	v_lshrrev_b32_e32 v17, 16, v13
	v_perm_b32 v22, v15, v14, 0xc0c0703
	v_perm_b32 v23, v15, v14, 0xc0c0602
	;; [unrolled: 1-line block ×3, first 2 shown]
	s_wait_kmcnt 0x0
	global_load_b32 v16, v16, s[4:5] scale_offset
	v_perm_b32 v14, v15, v14, 0xc0c0400
	v_ashrrev_i16 v15, 8, v17
	v_bfe_i32 v17, v17, 0, 8
	v_ashrrev_i16 v21, 8, v13
	v_bfe_i32 v13, v13, 0, 8
	v_bfe_i32 v18, v12, 0, 8
	v_bfe_i32 v19, v12, 8, 8
	v_perm_b32 v15, v15, v17, 0x5040100
	s_delay_alu instid0(VALU_DEP_4) | instskip(SKIP_4) | instid1(VALU_DEP_3)
	v_perm_b32 v13, v21, v13, 0x5040100
	s_wait_loadcnt 0x0
	v_lshrrev_b32_e32 v17, 8, v16
	v_bfe_i32 v21, v16, 0, 8
	v_perm_b32 v16, v16, v16, 0xc0c0302
	v_bfe_i32 v17, v17, 0, 8
	s_delay_alu instid0(VALU_DEP_3) | instskip(SKIP_1) | instid1(VALU_DEP_3)
	v_mul_i32_i24_e32 v19, v21, v19
	v_mul_i32_i24_e32 v18, v21, v18
	v_pk_mul_lo_u16 v15, v17, v15 op_sel_hi:[0,1]
	v_ashrrev_i32_e32 v20, 24, v12
	v_bfe_i32 v12, v12, 16, 8
	v_pk_mul_lo_u16 v13, v17, v13 op_sel_hi:[0,1]
	s_delay_alu instid0(VALU_DEP_4) | instskip(NEXT) | instid1(VALU_DEP_4)
	v_ashrrev_i32_e32 v17, 16, v15
	v_mul_i32_i24_e32 v20, v21, v20
	s_delay_alu instid0(VALU_DEP_4) | instskip(NEXT) | instid1(VALU_DEP_4)
	v_mul_i32_i24_e32 v12, v21, v12
	v_bfe_i32 v21, v13, 0, 16
	v_bfe_i32 v15, v15, 0, 16
	v_ashrrev_i32_e32 v13, 16, v13
	v_add3_u32 v1, v20, v1, v17
	s_delay_alu instid0(VALU_DEP_4) | instskip(NEXT) | instid1(VALU_DEP_4)
	v_add3_u32 v11, v18, v11, v21
	v_add3_u32 v9, v12, v9, v15
	s_delay_alu instid0(VALU_DEP_4) | instskip(NEXT) | instid1(VALU_DEP_4)
	v_add3_u32 v10, v19, v10, v13
	v_dot4_i32_iu8 v1, v16, v22, v1 neg_lo:[1,1,0]
	s_delay_alu instid0(VALU_DEP_4) | instskip(NEXT) | instid1(VALU_DEP_4)
	v_dot4_i32_iu8 v11, v16, v14, v11 neg_lo:[1,1,0]
	v_dot4_i32_iu8 v9, v16, v23, v9 neg_lo:[1,1,0]
	s_delay_alu instid0(VALU_DEP_4)
	v_dot4_i32_iu8 v10, v16, v24, v10 neg_lo:[1,1,0]
	s_and_not1_b32 exec_lo, exec_lo, s6
	s_cbranch_execnz .LBB64_33
; %bb.34:
	s_or_b32 exec_lo, exec_lo, s6
.LBB64_35:
	s_delay_alu instid0(SALU_CYCLE_1) | instskip(NEXT) | instid1(SALU_CYCLE_1)
	s_or_b32 exec_lo, exec_lo, s2
	s_mov_b32 s2, exec_lo
	v_cmpx_lt_u32_e32 0xbf, v6
	s_cbranch_execz .LBB64_39
; %bb.36:
	s_mov_b32 s6, 0
.LBB64_37:                              ; =>This Inner Loop Header: Depth=1
	s_clause 0x3
	global_load_b32 v6, v0, s[8:9] scale_offset
	global_load_b32 v7, v0, s[8:9] offset:256 scale_offset
	global_load_b32 v28, v0, s[8:9] offset:512 scale_offset
	;; [unrolled: 1-line block ×3, first 2 shown]
	s_clause 0x3
	global_load_b128 v[12:15], v[2:3], off
	global_load_b128 v[16:19], v[2:3], off offset:1024
	global_load_b128 v[20:23], v[2:3], off offset:2048
	;; [unrolled: 1-line block ×3, first 2 shown]
	s_wait_xcnt 0x4
	v_add_nc_u32_e32 v0, 0x100, v0
	s_wait_xcnt 0x0
	v_add_nc_u64_e32 v[2:3], 0x1000, v[2:3]
	s_delay_alu instid0(VALU_DEP_2)
	v_cmp_ge_i32_e32 vcc_lo, v0, v8
	s_or_b32 s6, vcc_lo, s6
	s_wait_loadcnt 0x7
	v_subrev_nc_u32_e32 v6, s12, v6
	s_wait_loadcnt 0x6
	v_subrev_nc_u32_e32 v7, s12, v7
	;; [unrolled: 2-line block ×4, first 2 shown]
	s_wait_loadcnt 0x3
	v_ashrrev_i16 v34, 8, v13
	s_wait_kmcnt 0x0
	s_clause 0x3
	global_load_b32 v30, v6, s[4:5] scale_offset
	global_load_b32 v31, v7, s[4:5] scale_offset
	;; [unrolled: 1-line block ×4, first 2 shown]
	s_wait_xcnt 0x0
	v_dual_lshrrev_b32 v6, 16, v13 :: v_dual_ashrrev_i32 v29, 24, v12
	v_bfe_i32 v13, v13, 0, 8
	v_perm_b32 v35, v15, v14, 0xc0c0703
	v_perm_b32 v36, v15, v14, 0xc0c0602
	;; [unrolled: 1-line block ×4, first 2 shown]
	s_wait_loadcnt 0x6
	v_dual_lshrrev_b32 v15, 16, v17 :: v_dual_ashrrev_i32 v40, 24, v16
	v_ashrrev_i16 v41, 8, v17
	v_bfe_i32 v17, v17, 0, 8
	v_perm_b32 v42, v19, v18, 0xc0c0703
	v_perm_b32 v43, v19, v18, 0xc0c0602
	;; [unrolled: 1-line block ×4, first 2 shown]
	s_wait_loadcnt 0x5
	v_dual_lshrrev_b32 v19, 16, v21 :: v_dual_ashrrev_i32 v47, 24, v20
	s_wait_loadcnt 0x4
	v_perm_b32 v56, v27, v26, 0xc0c0703
	v_perm_b32 v57, v27, v26, 0xc0c0602
	v_perm_b32 v58, v27, v26, 0xc0c0501
	v_perm_b32 v26, v27, v26, 0xc0c0400
	v_ashrrev_i16 v27, 8, v6
	v_bfe_i32 v6, v6, 0, 8
	v_perm_b32 v13, v34, v13, 0x5040100
	v_ashrrev_i16 v34, 8, v15
	v_bfe_i32 v15, v15, 0, 8
	v_bfe_i32 v7, v12, 0, 8
	v_bfe_i32 v28, v12, 8, 8
	v_bfe_i32 v12, v12, 16, 8
	v_ashrrev_i16 v48, 8, v21
	v_bfe_i32 v21, v21, 0, 8
	v_perm_b32 v49, v23, v22, 0xc0c0703
	v_perm_b32 v50, v23, v22, 0xc0c0602
	;; [unrolled: 1-line block ×4, first 2 shown]
	v_dual_lshrrev_b32 v23, 16, v25 :: v_dual_ashrrev_i32 v54, 24, v24
	v_ashrrev_i16 v55, 8, v25
	v_bfe_i32 v25, v25, 0, 8
	v_perm_b32 v17, v41, v17, 0x5040100
	v_ashrrev_i16 v41, 8, v19
	v_bfe_i32 v19, v19, 0, 8
	v_perm_b32 v6, v27, v6, 0x5040100
	v_perm_b32 v15, v34, v15, 0x5040100
	v_bfe_i32 v52, v24, 0, 8
	v_bfe_i32 v53, v24, 8, 8
	;; [unrolled: 1-line block ×3, first 2 shown]
	v_perm_b32 v21, v48, v21, 0x5040100
	v_ashrrev_i16 v48, 8, v23
	v_bfe_i32 v23, v23, 0, 8
	v_perm_b32 v25, v55, v25, 0x5040100
	v_perm_b32 v19, v41, v19, 0x5040100
	v_bfe_i32 v38, v16, 0, 8
	v_bfe_i32 v39, v16, 8, 8
	v_perm_b32 v23, v48, v23, 0x5040100
	v_bfe_i32 v16, v16, 16, 8
	v_bfe_i32 v45, v20, 0, 8
	;; [unrolled: 1-line block ×4, first 2 shown]
	s_wait_loadcnt 0x2
	v_dual_lshrrev_b32 v27, 8, v30 :: v_dual_lshrrev_b32 v41, 8, v31
	v_bfe_i32 v34, v30, 0, 8
	s_wait_loadcnt 0x0
	v_dual_lshrrev_b32 v55, 8, v32 :: v_dual_lshrrev_b32 v60, 8, v33
	s_delay_alu instid0(VALU_DEP_3)
	v_bfe_i32 v27, v27, 0, 8
	v_bfe_i32 v48, v31, 0, 8
	v_mul_i32_i24_e32 v28, v34, v28
	v_mul_i32_i24_e32 v7, v34, v7
	;; [unrolled: 1-line block ×4, first 2 shown]
	v_bfe_i32 v34, v33, 0, 8
	v_pk_mul_lo_u16 v13, v27, v13 op_sel_hi:[0,1]
	v_pk_mul_lo_u16 v6, v27, v6 op_sel_hi:[0,1]
	v_bfe_i32 v41, v41, 0, 8
	v_perm_b32 v30, v30, v30, 0xc0c0302
	v_mul_i32_i24_e32 v53, v34, v53
	v_mul_i32_i24_e32 v52, v34, v52
	;; [unrolled: 1-line block ×4, first 2 shown]
	v_bfe_i32 v34, v60, 0, 8
	v_bfe_i32 v27, v6, 0, 16
	v_ashrrev_i32_e32 v6, 16, v6
	v_mul_i32_i24_e32 v39, v48, v39
	v_mul_i32_i24_e32 v38, v48, v38
	v_pk_mul_lo_u16 v25, v34, v25 op_sel_hi:[0,1]
	v_pk_mul_lo_u16 v23, v34, v23 op_sel_hi:[0,1]
	v_ashrrev_i32_e32 v34, 16, v13
	v_bfe_i32 v13, v13, 0, 16
	v_mul_i32_i24_e32 v40, v48, v40
	v_mul_i32_i24_e32 v16, v48, v16
	v_bfe_i32 v48, v55, 0, 8
	v_pk_mul_lo_u16 v17, v41, v17 op_sel_hi:[0,1]
	v_pk_mul_lo_u16 v15, v41, v15 op_sel_hi:[0,1]
	v_add3_u32 v1, v29, v1, v6
	v_add3_u32 v6, v12, v9, v27
	;; [unrolled: 1-line block ×4, first 2 shown]
	v_pk_mul_lo_u16 v21, v48, v21 op_sel_hi:[0,1]
	v_pk_mul_lo_u16 v19, v48, v19 op_sel_hi:[0,1]
	v_dual_ashrrev_i32 v41, 16, v15 :: v_dual_ashrrev_i32 v48, 16, v17
	v_bfe_i32 v15, v15, 0, 16
	v_bfe_i32 v17, v17, 0, 16
	v_dot4_i32_iu8 v1, v30, v35, v1 neg_lo:[1,1,0]
	v_dot4_i32_iu8 v6, v30, v36, v6 neg_lo:[1,1,0]
	v_dot4_i32_iu8 v9, v30, v37, v9 neg_lo:[1,1,0]
	v_dot4_i32_iu8 v7, v30, v14, v7 neg_lo:[1,1,0]
	v_perm_b32 v31, v31, v31, 0xc0c0302
	v_bfe_i32 v59, v32, 0, 8
	v_add3_u32 v1, v40, v1, v41
	v_add3_u32 v6, v16, v6, v15
	;; [unrolled: 1-line block ×4, first 2 shown]
	v_mul_i32_i24_e32 v46, v59, v46
	v_mul_i32_i24_e32 v45, v59, v45
	;; [unrolled: 1-line block ×4, first 2 shown]
	v_dual_ashrrev_i32 v55, 16, v19 :: v_dual_ashrrev_i32 v59, 16, v21
	v_bfe_i32 v19, v19, 0, 16
	v_bfe_i32 v10, v21, 0, 16
	v_dot4_i32_iu8 v1, v31, v42, v1 neg_lo:[1,1,0]
	v_dot4_i32_iu8 v6, v31, v43, v6 neg_lo:[1,1,0]
	;; [unrolled: 1-line block ×4, first 2 shown]
	v_perm_b32 v32, v32, v32, 0xc0c0302
	v_add3_u32 v1, v47, v1, v55
	v_add3_u32 v6, v20, v6, v19
	;; [unrolled: 1-line block ×4, first 2 shown]
	v_dual_ashrrev_i32 v11, 16, v23 :: v_dual_ashrrev_i32 v13, 16, v25
	v_bfe_i32 v12, v23, 0, 16
	v_bfe_i32 v10, v25, 0, 16
	v_dot4_i32_iu8 v1, v32, v49, v1 neg_lo:[1,1,0]
	v_dot4_i32_iu8 v6, v32, v50, v6 neg_lo:[1,1,0]
	v_dot4_i32_iu8 v9, v32, v51, v9 neg_lo:[1,1,0]
	v_dot4_i32_iu8 v7, v32, v22, v7 neg_lo:[1,1,0]
	v_perm_b32 v14, v33, v33, 0xc0c0302
	v_add3_u32 v1, v54, v1, v11
	v_add3_u32 v6, v24, v6, v12
	;; [unrolled: 1-line block ×4, first 2 shown]
	s_delay_alu instid0(VALU_DEP_4) | instskip(NEXT) | instid1(VALU_DEP_4)
	v_dot4_i32_iu8 v1, v14, v56, v1 neg_lo:[1,1,0]
	v_dot4_i32_iu8 v9, v14, v57, v6 neg_lo:[1,1,0]
	s_delay_alu instid0(VALU_DEP_4) | instskip(NEXT) | instid1(VALU_DEP_4)
	v_dot4_i32_iu8 v10, v14, v58, v11 neg_lo:[1,1,0]
	v_dot4_i32_iu8 v11, v14, v26, v7 neg_lo:[1,1,0]
	s_and_not1_b32 exec_lo, exec_lo, s6
	s_cbranch_execnz .LBB64_37
; %bb.38:
	s_or_b32 exec_lo, exec_lo, s6
.LBB64_39:
	s_delay_alu instid0(SALU_CYCLE_1)
	s_or_b32 exec_lo, exec_lo, s2
.LBB64_40:
	s_delay_alu instid0(SALU_CYCLE_1)
	s_or_b32 exec_lo, exec_lo, s3
.LBB64_41:
	v_mbcnt_lo_u32_b32 v0, -1, 0
	s_mov_b32 s2, -1
	s_delay_alu instid0(VALU_DEP_1) | instskip(SKIP_1) | instid1(VALU_DEP_2)
	v_or_b32_e32 v2, 32, v0
	v_xor_b32_e32 v8, 16, v0
	v_cmp_gt_i32_e32 vcc_lo, 32, v2
	v_cndmask_b32_e32 v2, v0, v2, vcc_lo
	s_delay_alu instid0(VALU_DEP_3) | instskip(NEXT) | instid1(VALU_DEP_2)
	v_cmp_gt_i32_e32 vcc_lo, 32, v8
	v_dual_lshlrev_b32 v2, 2, v2 :: v_dual_cndmask_b32 v8, v0, v8, vcc_lo
	ds_bpermute_b32 v3, v2, v11
	ds_bpermute_b32 v7, v2, v9
	ds_bpermute_b32 v6, v2, v10
	ds_bpermute_b32 v2, v2, v1
	s_wait_dscnt 0x3
	v_dual_lshlrev_b32 v8, 2, v8 :: v_dual_add_nc_u32 v3, v3, v11
	s_wait_dscnt 0x2
	v_dual_add_nc_u32 v7, v7, v9 :: v_dual_bitop2_b32 v11, 8, v0 bitop3:0x14
	s_wait_dscnt 0x1
	v_add_nc_u32_e32 v6, v6, v10
	ds_bpermute_b32 v10, v8, v7
	v_cmp_gt_i32_e32 vcc_lo, 32, v11
	s_wait_dscnt 0x1
	v_add_nc_u32_e32 v1, v2, v1
	ds_bpermute_b32 v2, v8, v3
	ds_bpermute_b32 v9, v8, v6
	v_cndmask_b32_e32 v11, v0, v11, vcc_lo
	ds_bpermute_b32 v8, v8, v1
	v_lshlrev_b32_e32 v11, 2, v11
	s_wait_dscnt 0x1
	v_dual_add_nc_u32 v2, v2, v3 :: v_dual_add_nc_u32 v3, v9, v6
	s_wait_dscnt 0x0
	v_dual_add_nc_u32 v6, v10, v7 :: v_dual_add_nc_u32 v1, v8, v1
	ds_bpermute_b32 v7, v11, v2
	ds_bpermute_b32 v8, v11, v3
	;; [unrolled: 1-line block ×4, first 2 shown]
	v_xor_b32_e32 v11, 4, v0
	s_delay_alu instid0(VALU_DEP_1) | instskip(SKIP_3) | instid1(VALU_DEP_1)
	v_cmp_gt_i32_e32 vcc_lo, 32, v11
	s_wait_dscnt 0x3
	v_dual_cndmask_b32 v11, v0, v11 :: v_dual_add_nc_u32 v2, v7, v2
	s_wait_dscnt 0x1
	v_dual_lshlrev_b32 v11, 2, v11 :: v_dual_add_nc_u32 v6, v9, v6
	s_wait_dscnt 0x0
	v_dual_add_nc_u32 v3, v8, v3 :: v_dual_add_nc_u32 v1, v10, v1
	ds_bpermute_b32 v7, v11, v2
	ds_bpermute_b32 v9, v11, v6
	;; [unrolled: 1-line block ×4, first 2 shown]
	s_wait_dscnt 0x3
	v_dual_add_nc_u32 v2, v7, v2 :: v_dual_bitop2_b32 v11, 2, v0 bitop3:0x14
	s_delay_alu instid0(VALU_DEP_1)
	v_cmp_gt_i32_e32 vcc_lo, 32, v11
	s_wait_dscnt 0x1
	v_dual_add_nc_u32 v7, v8, v3 :: v_dual_bitop2_b32 v3, 1, v0 bitop3:0x14
	s_wait_dscnt 0x0
	v_dual_add_nc_u32 v6, v9, v6 :: v_dual_add_nc_u32 v8, v10, v1
	v_cndmask_b32_e32 v11, v0, v11, vcc_lo
	s_delay_alu instid0(VALU_DEP_3) | instskip(NEXT) | instid1(VALU_DEP_2)
	v_cmp_gt_i32_e32 vcc_lo, 32, v3
	v_lshlrev_b32_e32 v11, 2, v11
	ds_bpermute_b32 v1, v11, v2
	ds_bpermute_b32 v9, v11, v7
	ds_bpermute_b32 v10, v11, v6
	ds_bpermute_b32 v11, v11, v8
	v_cndmask_b32_e32 v0, v0, v3, vcc_lo
	v_cmp_eq_u32_e32 vcc_lo, 63, v5
	s_wait_dscnt 0x3
	s_delay_alu instid0(VALU_DEP_2)
	v_dual_add_nc_u32 v3, v1, v2 :: v_dual_lshlrev_b32 v12, 2, v0
	s_wait_dscnt 0x1
	v_dual_add_nc_u32 v2, v9, v7 :: v_dual_add_nc_u32 v1, v10, v6
	s_wait_dscnt 0x0
	v_add_nc_u32_e32 v0, v11, v8
	ds_bpermute_b32 v6, v12, v3
	ds_bpermute_b32 v7, v12, v2
	;; [unrolled: 1-line block ×4, first 2 shown]
	s_and_b32 exec_lo, exec_lo, vcc_lo
	s_cbranch_execz .LBB64_14
; %bb.42:
	s_load_b64 s[0:1], s[0:1], 0x50
	s_wait_dscnt 0x2
	v_dual_add_nc_u32 v3, v6, v3 :: v_dual_add_nc_u32 v2, v7, v2
	s_wait_dscnt 0x0
	v_dual_add_nc_u32 v5, v8, v1 :: v_dual_add_nc_u32 v6, v9, v0
	v_lshlrev_b32_e32 v4, 2, v4
	s_delay_alu instid0(VALU_DEP_3) | instskip(SKIP_1) | instid1(VALU_DEP_4)
	v_mul_lo_u32 v0, v3, s13
	v_mul_lo_u32 v1, v2, s13
	;; [unrolled: 1-line block ×4, first 2 shown]
	s_cmp_eq_u32 s14, 0
	s_cbranch_scc1 .LBB64_44
; %bb.43:
	v_ashrrev_i32_e32 v5, 31, v4
	s_mov_b32 s2, 0
	s_wait_kmcnt 0x0
	s_delay_alu instid0(VALU_DEP_1)
	v_lshl_add_u64 v[10:11], v[4:5], 2, s[0:1]
	global_load_b128 v[6:9], v[10:11], off
	s_wait_loadcnt 0x0
	v_mad_u32 v7, v7, s14, v1
	v_mad_u32 v6, v6, s14, v0
	;; [unrolled: 1-line block ×4, first 2 shown]
	global_store_b128 v[10:11], v[6:9], off
.LBB64_44:
	s_and_not1_b32 vcc_lo, exec_lo, s2
	s_cbranch_vccnz .LBB64_14
; %bb.45:
	v_ashrrev_i32_e32 v5, 31, v4
	s_wait_kmcnt 0x0
	s_delay_alu instid0(VALU_DEP_1)
	v_lshl_add_u64 v[4:5], v[4:5], 2, s[0:1]
	global_store_b128 v[4:5], v[0:3], off
	s_endpgm
	.section	.rodata,"a",@progbits
	.p2align	6, 0x0
	.amdhsa_kernel _ZN9rocsparseL18bsrxmvn_4x4_kernelILj128ELj64EiiiaaiEEvT3_20rocsparse_direction_NS_24const_host_device_scalarIT1_EES1_PKS1_PKT2_SA_S7_PKT4_PKT5_S5_PT6_21rocsparse_index_base_b
		.amdhsa_group_segment_fixed_size 0
		.amdhsa_private_segment_fixed_size 0
		.amdhsa_kernarg_size 96
		.amdhsa_user_sgpr_count 2
		.amdhsa_user_sgpr_dispatch_ptr 0
		.amdhsa_user_sgpr_queue_ptr 0
		.amdhsa_user_sgpr_kernarg_segment_ptr 1
		.amdhsa_user_sgpr_dispatch_id 0
		.amdhsa_user_sgpr_kernarg_preload_length 0
		.amdhsa_user_sgpr_kernarg_preload_offset 0
		.amdhsa_user_sgpr_private_segment_size 0
		.amdhsa_wavefront_size32 1
		.amdhsa_uses_dynamic_stack 0
		.amdhsa_enable_private_segment 0
		.amdhsa_system_sgpr_workgroup_id_x 1
		.amdhsa_system_sgpr_workgroup_id_y 0
		.amdhsa_system_sgpr_workgroup_id_z 0
		.amdhsa_system_sgpr_workgroup_info 0
		.amdhsa_system_vgpr_workitem_id 0
		.amdhsa_next_free_vgpr 61
		.amdhsa_next_free_sgpr 15
		.amdhsa_named_barrier_count 0
		.amdhsa_reserve_vcc 1
		.amdhsa_float_round_mode_32 0
		.amdhsa_float_round_mode_16_64 0
		.amdhsa_float_denorm_mode_32 3
		.amdhsa_float_denorm_mode_16_64 3
		.amdhsa_fp16_overflow 0
		.amdhsa_memory_ordered 1
		.amdhsa_forward_progress 1
		.amdhsa_inst_pref_size 39
		.amdhsa_round_robin_scheduling 0
		.amdhsa_exception_fp_ieee_invalid_op 0
		.amdhsa_exception_fp_denorm_src 0
		.amdhsa_exception_fp_ieee_div_zero 0
		.amdhsa_exception_fp_ieee_overflow 0
		.amdhsa_exception_fp_ieee_underflow 0
		.amdhsa_exception_fp_ieee_inexact 0
		.amdhsa_exception_int_div_zero 0
	.end_amdhsa_kernel
	.section	.text._ZN9rocsparseL18bsrxmvn_4x4_kernelILj128ELj64EiiiaaiEEvT3_20rocsparse_direction_NS_24const_host_device_scalarIT1_EES1_PKS1_PKT2_SA_S7_PKT4_PKT5_S5_PT6_21rocsparse_index_base_b,"axG",@progbits,_ZN9rocsparseL18bsrxmvn_4x4_kernelILj128ELj64EiiiaaiEEvT3_20rocsparse_direction_NS_24const_host_device_scalarIT1_EES1_PKS1_PKT2_SA_S7_PKT4_PKT5_S5_PT6_21rocsparse_index_base_b,comdat
.Lfunc_end64:
	.size	_ZN9rocsparseL18bsrxmvn_4x4_kernelILj128ELj64EiiiaaiEEvT3_20rocsparse_direction_NS_24const_host_device_scalarIT1_EES1_PKS1_PKT2_SA_S7_PKT4_PKT5_S5_PT6_21rocsparse_index_base_b, .Lfunc_end64-_ZN9rocsparseL18bsrxmvn_4x4_kernelILj128ELj64EiiiaaiEEvT3_20rocsparse_direction_NS_24const_host_device_scalarIT1_EES1_PKS1_PKT2_SA_S7_PKT4_PKT5_S5_PT6_21rocsparse_index_base_b
                                        ; -- End function
	.set _ZN9rocsparseL18bsrxmvn_4x4_kernelILj128ELj64EiiiaaiEEvT3_20rocsparse_direction_NS_24const_host_device_scalarIT1_EES1_PKS1_PKT2_SA_S7_PKT4_PKT5_S5_PT6_21rocsparse_index_base_b.num_vgpr, 61
	.set _ZN9rocsparseL18bsrxmvn_4x4_kernelILj128ELj64EiiiaaiEEvT3_20rocsparse_direction_NS_24const_host_device_scalarIT1_EES1_PKS1_PKT2_SA_S7_PKT4_PKT5_S5_PT6_21rocsparse_index_base_b.num_agpr, 0
	.set _ZN9rocsparseL18bsrxmvn_4x4_kernelILj128ELj64EiiiaaiEEvT3_20rocsparse_direction_NS_24const_host_device_scalarIT1_EES1_PKS1_PKT2_SA_S7_PKT4_PKT5_S5_PT6_21rocsparse_index_base_b.numbered_sgpr, 15
	.set _ZN9rocsparseL18bsrxmvn_4x4_kernelILj128ELj64EiiiaaiEEvT3_20rocsparse_direction_NS_24const_host_device_scalarIT1_EES1_PKS1_PKT2_SA_S7_PKT4_PKT5_S5_PT6_21rocsparse_index_base_b.num_named_barrier, 0
	.set _ZN9rocsparseL18bsrxmvn_4x4_kernelILj128ELj64EiiiaaiEEvT3_20rocsparse_direction_NS_24const_host_device_scalarIT1_EES1_PKS1_PKT2_SA_S7_PKT4_PKT5_S5_PT6_21rocsparse_index_base_b.private_seg_size, 0
	.set _ZN9rocsparseL18bsrxmvn_4x4_kernelILj128ELj64EiiiaaiEEvT3_20rocsparse_direction_NS_24const_host_device_scalarIT1_EES1_PKS1_PKT2_SA_S7_PKT4_PKT5_S5_PT6_21rocsparse_index_base_b.uses_vcc, 1
	.set _ZN9rocsparseL18bsrxmvn_4x4_kernelILj128ELj64EiiiaaiEEvT3_20rocsparse_direction_NS_24const_host_device_scalarIT1_EES1_PKS1_PKT2_SA_S7_PKT4_PKT5_S5_PT6_21rocsparse_index_base_b.uses_flat_scratch, 0
	.set _ZN9rocsparseL18bsrxmvn_4x4_kernelILj128ELj64EiiiaaiEEvT3_20rocsparse_direction_NS_24const_host_device_scalarIT1_EES1_PKS1_PKT2_SA_S7_PKT4_PKT5_S5_PT6_21rocsparse_index_base_b.has_dyn_sized_stack, 0
	.set _ZN9rocsparseL18bsrxmvn_4x4_kernelILj128ELj64EiiiaaiEEvT3_20rocsparse_direction_NS_24const_host_device_scalarIT1_EES1_PKS1_PKT2_SA_S7_PKT4_PKT5_S5_PT6_21rocsparse_index_base_b.has_recursion, 0
	.set _ZN9rocsparseL18bsrxmvn_4x4_kernelILj128ELj64EiiiaaiEEvT3_20rocsparse_direction_NS_24const_host_device_scalarIT1_EES1_PKS1_PKT2_SA_S7_PKT4_PKT5_S5_PT6_21rocsparse_index_base_b.has_indirect_call, 0
	.section	.AMDGPU.csdata,"",@progbits
; Kernel info:
; codeLenInByte = 4940
; TotalNumSgprs: 17
; NumVgprs: 61
; ScratchSize: 0
; MemoryBound: 0
; FloatMode: 240
; IeeeMode: 1
; LDSByteSize: 0 bytes/workgroup (compile time only)
; SGPRBlocks: 0
; VGPRBlocks: 3
; NumSGPRsForWavesPerEU: 17
; NumVGPRsForWavesPerEU: 61
; NamedBarCnt: 0
; Occupancy: 16
; WaveLimiterHint : 1
; COMPUTE_PGM_RSRC2:SCRATCH_EN: 0
; COMPUTE_PGM_RSRC2:USER_SGPR: 2
; COMPUTE_PGM_RSRC2:TRAP_HANDLER: 0
; COMPUTE_PGM_RSRC2:TGID_X_EN: 1
; COMPUTE_PGM_RSRC2:TGID_Y_EN: 0
; COMPUTE_PGM_RSRC2:TGID_Z_EN: 0
; COMPUTE_PGM_RSRC2:TIDIG_COMP_CNT: 0
	.section	.text._ZN9rocsparseL18bsrxmvn_4x4_kernelILj128ELj4EiliaaiEEvT3_20rocsparse_direction_NS_24const_host_device_scalarIT1_EES1_PKS1_PKT2_SA_S7_PKT4_PKT5_S5_PT6_21rocsparse_index_base_b,"axG",@progbits,_ZN9rocsparseL18bsrxmvn_4x4_kernelILj128ELj4EiliaaiEEvT3_20rocsparse_direction_NS_24const_host_device_scalarIT1_EES1_PKS1_PKT2_SA_S7_PKT4_PKT5_S5_PT6_21rocsparse_index_base_b,comdat
	.globl	_ZN9rocsparseL18bsrxmvn_4x4_kernelILj128ELj4EiliaaiEEvT3_20rocsparse_direction_NS_24const_host_device_scalarIT1_EES1_PKS1_PKT2_SA_S7_PKT4_PKT5_S5_PT6_21rocsparse_index_base_b ; -- Begin function _ZN9rocsparseL18bsrxmvn_4x4_kernelILj128ELj4EiliaaiEEvT3_20rocsparse_direction_NS_24const_host_device_scalarIT1_EES1_PKS1_PKT2_SA_S7_PKT4_PKT5_S5_PT6_21rocsparse_index_base_b
	.p2align	8
	.type	_ZN9rocsparseL18bsrxmvn_4x4_kernelILj128ELj4EiliaaiEEvT3_20rocsparse_direction_NS_24const_host_device_scalarIT1_EES1_PKS1_PKT2_SA_S7_PKT4_PKT5_S5_PT6_21rocsparse_index_base_b,@function
_ZN9rocsparseL18bsrxmvn_4x4_kernelILj128ELj4EiliaaiEEvT3_20rocsparse_direction_NS_24const_host_device_scalarIT1_EES1_PKS1_PKT2_SA_S7_PKT4_PKT5_S5_PT6_21rocsparse_index_base_b: ; @_ZN9rocsparseL18bsrxmvn_4x4_kernelILj128ELj4EiliaaiEEvT3_20rocsparse_direction_NS_24const_host_device_scalarIT1_EES1_PKS1_PKT2_SA_S7_PKT4_PKT5_S5_PT6_21rocsparse_index_base_b
; %bb.0:
	s_clause 0x1
	s_load_b64 s[12:13], s[0:1], 0x58
	s_load_b64 s[4:5], s[0:1], 0x8
	s_mov_b32 s7, -1
                                        ; implicit-def: $sgpr14
	s_wait_kmcnt 0x0
	s_bitcmp1_b32 s13, 0
	s_cselect_b32 s2, -1, 0
	s_delay_alu instid0(SALU_CYCLE_1) | instskip(NEXT) | instid1(SALU_CYCLE_1)
	s_xor_b32 s6, s2, -1
	s_and_b32 vcc_lo, exec_lo, s6
	s_cbranch_vccnz .LBB65_4
; %bb.1:
	s_load_b64 s[2:3], s[0:1], 0x48
	s_and_not1_b32 vcc_lo, exec_lo, s7
	s_cbranch_vccz .LBB65_5
.LBB65_2:
	s_and_b32 vcc_lo, exec_lo, s6
	s_cbranch_vccz .LBB65_6
.LBB65_3:
	s_wait_kmcnt 0x0
	s_load_b32 s15, s[2:3], 0x0
	s_wait_xcnt 0x0
	s_cbranch_execz .LBB65_7
	s_branch .LBB65_8
.LBB65_4:
	s_load_b32 s14, s[4:5], 0x0
	s_load_b64 s[2:3], s[0:1], 0x48
	s_cbranch_execnz .LBB65_2
.LBB65_5:
	s_wait_kmcnt 0x0
	s_mov_b32 s14, s4
	s_and_b32 vcc_lo, exec_lo, s6
	s_cbranch_vccnz .LBB65_3
.LBB65_6:
	s_wait_kmcnt 0x0
                                        ; implicit-def: $sgpr15
.LBB65_7:
	s_wait_kmcnt 0x0
	s_mov_b32 s15, s2
.LBB65_8:
	s_cmp_lg_u32 s14, 0
	s_mov_b32 s6, 0
	s_cselect_b32 s2, -1, 0
	s_wait_kmcnt 0x0
	s_cmp_lg_u32 s15, 1
	s_cselect_b32 s3, -1, 0
	s_delay_alu instid0(SALU_CYCLE_1) | instskip(NEXT) | instid1(SALU_CYCLE_1)
	s_or_b32 s2, s2, s3
	s_and_not1_b32 vcc_lo, exec_lo, s2
	s_cbranch_vccnz .LBB65_14
; %bb.9:
	s_clause 0x1
	s_load_b64 s[4:5], s[0:1], 0x18
	s_load_b64 s[2:3], s[0:1], 0x0
	s_bfe_u32 s7, ttmp6, 0x4000c
	s_and_b32 s8, ttmp6, 15
	s_add_co_i32 s7, s7, 1
	s_getreg_b32 s9, hwreg(HW_REG_IB_STS2, 6, 4)
	s_mul_i32 s7, ttmp9, s7
	v_lshrrev_b32_e32 v1, 2, v0
	s_add_co_i32 s8, s8, s7
	s_cmp_eq_u32 s9, 0
	s_cselect_b32 s7, ttmp9, s8
	s_delay_alu instid0(VALU_DEP_1) | instid1(SALU_CYCLE_1)
	v_lshl_or_b32 v4, s7, 5, v1
	s_wait_kmcnt 0x0
	s_cmp_lg_u64 s[4:5], 0
	s_cbranch_scc0 .LBB65_15
; %bb.10:
	s_load_b32 s6, s[0:1], 0x10
	s_mov_b32 s7, 0
                                        ; implicit-def: $vgpr1
	s_wait_kmcnt 0x0
	v_cmp_gt_i32_e32 vcc_lo, s6, v4
	s_mov_b32 s6, 0
	s_and_saveexec_b32 s8, vcc_lo
	s_delay_alu instid0(SALU_CYCLE_1)
	s_xor_b32 s8, exec_lo, s8
	s_cbranch_execz .LBB65_12
; %bb.11:
	global_load_b32 v1, v4, s[4:5] scale_offset
	s_mov_b32 s6, exec_lo
	s_wait_loadcnt 0x0
	v_subrev_nc_u32_e32 v1, s12, v1
.LBB65_12:
	s_or_b32 exec_lo, exec_lo, s8
	s_delay_alu instid0(SALU_CYCLE_1)
	s_and_b32 vcc_lo, exec_lo, s7
	s_cbranch_vccz .LBB65_16
.LBB65_13:
	v_cmp_gt_i32_e32 vcc_lo, s2, v4
	s_and_not1_b32 s2, s6, exec_lo
	s_and_b32 s4, vcc_lo, exec_lo
	s_delay_alu instid0(SALU_CYCLE_1) | instskip(NEXT) | instid1(SALU_CYCLE_1)
	s_or_b32 s6, s2, s4
	s_and_saveexec_b32 s2, s6
	s_cbranch_execnz .LBB65_17
.LBB65_14:
	s_endpgm
.LBB65_15:
                                        ; implicit-def: $vgpr1
	s_cbranch_execnz .LBB65_13
.LBB65_16:
	s_delay_alu instid0(VALU_DEP_1)
	v_mov_b32_e32 v4, v1
	s_and_saveexec_b32 s2, s6
	s_cbranch_execz .LBB65_14
.LBB65_17:
	s_load_b256 s[4:11], s[0:1], 0x20
	s_mov_b32 s13, 0
	v_dual_mov_b32 v1, 0 :: v_dual_bitop2_b32 v0, 3, v0 bitop3:0x40
	s_wait_kmcnt 0x0
	s_cmp_eq_u64 s[6:7], 0
	global_load_b64 v[12:13], v4, s[4:5] scale_offset
	s_cselect_b32 vcc_lo, -1, 0
	v_ashrrev_i32_e32 v5, 31, v4
	s_cmp_eq_u32 s3, 1
	s_delay_alu instid0(VALU_DEP_1) | instskip(NEXT) | instid1(VALU_DEP_1)
	v_lshlrev_b64_e32 v[2:3], 3, v[4:5]
	v_add_nc_u64_e32 v[6:7], s[4:5], v[2:3]
	v_add_nc_u64_e32 v[2:3], s[6:7], v[2:3]
	s_wait_xcnt 0x0
	s_load_b64 s[4:5], s[0:1], 0x40
	s_delay_alu instid0(VALU_DEP_2) | instskip(NEXT) | instid1(VALU_DEP_1)
	v_add_nc_u64_e32 v[6:7], 8, v[6:7]
	v_dual_cndmask_b32 v3, v3, v7 :: v_dual_cndmask_b32 v2, v2, v6
	global_load_b64 v[2:3], v[2:3], off
	s_wait_loadcnt 0x1
	v_sub_nc_u64_e64 v[6:7], v[12:13], s[12:13]
	s_delay_alu instid0(VALU_DEP_1) | instskip(SKIP_2) | instid1(VALU_DEP_2)
	v_add_nc_u64_e32 v[8:9], v[6:7], v[0:1]
	s_wait_loadcnt 0x0
	v_sub_nc_u64_e64 v[14:15], v[2:3], s[12:13]
	v_lshl_add_u64 v[2:3], v[8:9], 4, s[10:11]
	s_delay_alu instid0(VALU_DEP_2)
	v_cmp_lt_i64_e64 s2, v[8:9], v[14:15]
	s_cbranch_scc1 .LBB65_29
; %bb.18:
	v_dual_mov_b32 v7, v1 :: v_dual_mov_b32 v6, v1
	v_dual_mov_b32 v11, v1 :: v_dual_mov_b32 v10, v1
	s_and_saveexec_b32 s3, s2
	s_cbranch_execz .LBB65_28
; %bb.19:
	v_dual_mov_b32 v7, v1 :: v_dual_bitop2_b32 v6, 4, v0 bitop3:0x54
	v_sub_nc_u64_e32 v[10:11], s[12:13], v[0:1]
	v_not_b32_e32 v17, v13
	v_not_b32_e32 v16, v12
	v_mov_b64_e32 v[20:21], v[8:9]
	v_sub_nc_u64_e64 v[6:7], v[6:7], s[12:13]
	s_delay_alu instid0(VALU_DEP_3) | instskip(NEXT) | instid1(VALU_DEP_2)
	v_add_nc_u64_e32 v[10:11], v[10:11], v[16:17]
	v_add_nc_u64_e32 v[6:7], v[6:7], v[12:13]
	s_delay_alu instid0(VALU_DEP_1) | instskip(NEXT) | instid1(VALU_DEP_1)
	v_max_i64 v[6:7], v[6:7], v[14:15]
	v_add_nc_u64_e32 v[10:11], v[10:11], v[6:7]
	v_mov_b64_e32 v[6:7], 0
	s_delay_alu instid0(VALU_DEP_2) | instskip(SKIP_2) | instid1(VALU_DEP_3)
	v_lshrrev_b64 v[16:17], 2, v[10:11]
	v_cmp_lt_u64_e32 vcc_lo, 11, v[10:11]
	v_mov_b64_e32 v[10:11], 0
	v_add_nc_u64_e32 v[18:19], 1, v[16:17]
	v_mov_b64_e32 v[16:17], v[2:3]
	s_and_saveexec_b32 s6, vcc_lo
	s_cbranch_execz .LBB65_23
; %bb.20:
	v_lshl_add_u64 v[10:11], v[8:9], 2, s[8:9]
	v_mov_b64_e32 v[16:17], v[2:3]
	v_mov_b64_e32 v[20:21], v[8:9]
	v_dual_mov_b32 v23, v19 :: v_dual_bitop2_b32 v22, -4, v18 bitop3:0x40
	s_delay_alu instid0(VALU_DEP_4)
	v_add_nc_u64_e32 v[24:25], 32, v[10:11]
	v_dual_mov_b32 v7, 0 :: v_dual_mov_b32 v6, 0
	v_dual_mov_b32 v11, 0 :: v_dual_mov_b32 v10, 0
	s_mov_b32 s7, 0
.LBB65_21:                              ; =>This Inner Loop Header: Depth=1
	s_clause 0x3
	global_load_b32 v5, v[24:25], off offset:-32
	global_load_b32 v19, v[24:25], off offset:-16
	global_load_b32 v42, v[24:25], off
	global_load_b32 v43, v[24:25], off offset:16
	s_clause 0x3
	global_load_b128 v[26:29], v[16:17], off offset:64
	global_load_b128 v[30:33], v[16:17], off offset:128
	;; [unrolled: 1-line block ×3, first 2 shown]
	global_load_b128 v[38:41], v[16:17], off
	v_add_nc_u64_e32 v[22:23], -4, v[22:23]
	s_wait_xcnt 0x0
	v_add_nc_u64_e32 v[16:17], 0x100, v[16:17]
	v_add_nc_u64_e32 v[20:21], 16, v[20:21]
	;; [unrolled: 1-line block ×3, first 2 shown]
	s_delay_alu instid0(VALU_DEP_4)
	v_cmp_eq_u64_e32 vcc_lo, 0, v[22:23]
	s_or_b32 s7, vcc_lo, s7
	s_wait_loadcnt 0x7
	v_subrev_nc_u32_e32 v5, s12, v5
	s_wait_loadcnt 0x6
	v_subrev_nc_u32_e32 v19, s12, v19
	;; [unrolled: 2-line block ×4, first 2 shown]
	s_wait_kmcnt 0x0
	s_clause 0x3
	global_load_b32 v44, v5, s[4:5] scale_offset
	global_load_b32 v45, v19, s[4:5] scale_offset
	;; [unrolled: 1-line block ×4, first 2 shown]
	s_wait_loadcnt 0x7
	s_wait_xcnt 0x3
	v_lshrrev_b16 v5, 8, v29
	s_wait_loadcnt 0x4
	v_perm_b32 v54, v33, v41, 0xc0c0501
	s_wait_xcnt 0x2
	v_bfe_i32 v19, v26, 0, 8
	s_wait_xcnt 0x1
	v_dual_ashrrev_i32 v42, 24, v29 :: v_dual_ashrrev_i32 v49, 24, v34
	v_bfe_i32 v5, v5, 0, 8
	v_perm_b32 v26, v26, v26, 0xc030201
	s_wait_xcnt 0x0
	v_bfe_i32 v43, v29, 16, 8
	v_bfe_i32 v29, v29, 0, 8
	v_perm_b32 v53, v33, v41, 0xc0c0703
	v_perm_b32 v55, v33, v41, 0xc0c0602
	;; [unrolled: 1-line block ×3, first 2 shown]
	v_bfe_i32 v48, v30, 0, 8
	v_bfe_i32 v52, v37, 16, 8
	v_perm_b32 v30, v34, v30, 0x4030201
	v_bfe_i32 v50, v37, 0, 8
	v_bfe_i32 v51, v37, 8, 8
	v_perm_b32 v34, v34, v34, 0xc0c0201
	v_ashrrev_i32_e32 v37, 24, v37
	v_perm_b32 v35, v35, v35, 0x7060100
	s_wait_loadcnt 0x3
	v_dot4_i32_iu8 v11, v44, v39, v11 neg_lo:[1,1,0]
	s_wait_loadcnt 0x2
	v_lshrrev_b16 v39, 8, v45
	s_wait_loadcnt 0x1
	v_perm_b32 v62, v46, v44, 0xc0c0501
	v_dot4_i32_iu8 v10, v44, v38, v10 neg_lo:[1,1,0]
	v_dot4_i32_iu8 v6, v44, v40, v6 neg_lo:[1,1,0]
	v_bfe_i32 v38, v45, 0, 8
	v_bfe_i32 v39, v39, 0, 8
	v_bfe_i32 v41, v45, 16, 8
	v_perm_b32 v56, v45, v45, 0xc030201
	v_perm_b32 v59, v46, v44, 0xc0c0703
	v_mad_i32_i24 v10, v38, v19, v10
	v_mul_i32_i24_e32 v5, v5, v39
	v_bfe_i32 v57, v46, 0, 8
	s_wait_loadcnt 0x0
	v_bfe_i32 v58, v47, 16, 8
	v_mul_i32_i24_e32 v41, v43, v41
	v_perm_b32 v43, v46, v44, 0xc0c0602
	v_dot4_i32_iu8 v5, v54, v62, v5 neg_lo:[1,1,0]
	v_ashrrev_i32_e32 v40, 24, v45
	v_perm_b32 v44, v46, v44, 0xc0c0400
	v_mul_i32_i24_e32 v29, v29, v38
	v_dot4_i32_iu8 v10, v56, v26, v10 neg_lo:[1,1,0]
	v_bfe_i32 v61, v47, 8, 8
	v_mul_i32_i24_e32 v40, v42, v40
	v_bfe_i32 v63, v47, 0, 8
	v_perm_b32 v19, v47, v46, 0x4030201
	v_dot4_i32_iu8 v11, v45, v27, v11 neg_lo:[1,1,0]
	v_mul_i32_i24_e32 v27, v52, v58
	v_dot4_i32_iu8 v26, v53, v59, v40 neg_lo:[1,1,0]
	v_dot4_i32_iu8 v38, v55, v43, v41 neg_lo:[1,1,0]
	;; [unrolled: 1-line block ×3, first 2 shown]
	v_mad_i32_i24 v10, v57, v48, v10
	s_delay_alu instid0(VALU_DEP_4)
	v_dual_ashrrev_i32 v60, 24, v47 :: v_dual_add_nc_u32 v5, v5, v26
	v_perm_b32 v42, v47, v47, 0xc0c0201
	v_dot4_i32_iu8 v6, v45, v28, v6 neg_lo:[1,1,0]
	v_mul_i32_i24_e32 v26, v63, v50
	v_mad_i32_i24 v27, v61, v51, v27
	v_dot4_i32_iu8 v10, v19, v30, v10 neg_lo:[1,1,0]
	v_add3_u32 v5, v29, v38, v5
	v_mul_i32_i24_e32 v19, v37, v60
	v_dot4_i32_iu8 v11, v46, v31, v11 neg_lo:[1,1,0]
	v_dot4_i32_iu8 v6, v46, v32, v6 neg_lo:[1,1,0]
	;; [unrolled: 1-line block ×3, first 2 shown]
	v_add3_u32 v5, v5, v26, v27
	s_delay_alu instid0(VALU_DEP_4) | instskip(NEXT) | instid1(VALU_DEP_4)
	v_dot4_i32_iu8 v11, v35, v47, v11 neg_lo:[1,1,0]
	v_dot4_i32_iu8 v6, v36, v47, v6 neg_lo:[1,1,0]
	s_delay_alu instid0(VALU_DEP_4) | instskip(NEXT) | instid1(VALU_DEP_4)
	v_mad_i32_i24 v10, v60, v49, v10
	v_add3_u32 v7, v5, v7, v19
	s_and_not1_b32 exec_lo, exec_lo, s7
	s_cbranch_execnz .LBB65_21
; %bb.22:
	s_or_b32 exec_lo, exec_lo, s7
.LBB65_23:
	s_delay_alu instid0(SALU_CYCLE_1) | instskip(NEXT) | instid1(VALU_DEP_2)
	s_or_b32 exec_lo, exec_lo, s6
	v_dual_mov_b32 v19, 0 :: v_dual_bitop2_b32 v18, 3, v18 bitop3:0x40
	s_mov_b32 s6, exec_lo
	s_delay_alu instid0(VALU_DEP_1)
	v_cmpx_ne_u64_e32 0, v[18:19]
	s_cbranch_execz .LBB65_27
; %bb.24:
	v_lshl_add_u64 v[20:21], v[20:21], 2, s[8:9]
	v_lshlrev_b32_e32 v18, 2, v18
	s_mov_b32 s7, 0
.LBB65_25:                              ; =>This Inner Loop Header: Depth=1
	global_load_b32 v5, v[20:21], off
	v_add_nc_u64_e32 v[18:19], -4, v[18:19]
	s_wait_xcnt 0x0
	v_add_nc_u64_e32 v[20:21], 16, v[20:21]
	s_delay_alu instid0(VALU_DEP_2)
	v_cmp_eq_u64_e32 vcc_lo, 0, v[18:19]
	s_or_b32 s7, vcc_lo, s7
	s_wait_loadcnt 0x0
	v_subrev_nc_u32_e32 v5, s12, v5
	global_load_b128 v[22:25], v[16:17], off
	s_wait_kmcnt 0x0
	global_load_b32 v26, v5, s[4:5] scale_offset
	s_wait_xcnt 0x1
	v_add_nc_u64_e32 v[16:17], 64, v[16:17]
	s_wait_loadcnt 0x0
	v_dot4_i32_iu8 v11, v26, v23, v11 neg_lo:[1,1,0]
	v_dot4_i32_iu8 v10, v26, v22, v10 neg_lo:[1,1,0]
	;; [unrolled: 1-line block ×4, first 2 shown]
	s_and_not1_b32 exec_lo, exec_lo, s7
	s_cbranch_execnz .LBB65_25
; %bb.26:
	s_or_b32 exec_lo, exec_lo, s7
.LBB65_27:
	s_delay_alu instid0(SALU_CYCLE_1)
	s_or_b32 exec_lo, exec_lo, s6
.LBB65_28:
	s_delay_alu instid0(SALU_CYCLE_1)
	s_or_b32 exec_lo, exec_lo, s3
	s_cbranch_execz .LBB65_30
	s_branch .LBB65_41
.LBB65_29:
                                        ; implicit-def: $vgpr7
                                        ; implicit-def: $vgpr11
.LBB65_30:
	v_dual_mov_b32 v7, 0 :: v_dual_mov_b32 v6, 0
	v_dual_mov_b32 v11, 0 :: v_dual_mov_b32 v10, 0
	s_and_saveexec_b32 s3, s2
	s_cbranch_execz .LBB65_40
; %bb.31:
	v_dual_mov_b32 v7, v1 :: v_dual_bitop2_b32 v6, 4, v0 bitop3:0x54
	v_sub_nc_u64_e32 v[10:11], s[12:13], v[0:1]
	s_delay_alu instid0(VALU_DEP_2) | instskip(NEXT) | instid1(VALU_DEP_1)
	v_sub_nc_u64_e64 v[6:7], v[6:7], s[12:13]
	v_add_nc_u64_e32 v[6:7], v[6:7], v[12:13]
	v_not_b32_e32 v13, v13
	v_not_b32_e32 v12, v12
	s_delay_alu instid0(VALU_DEP_1) | instskip(NEXT) | instid1(VALU_DEP_4)
	v_add_nc_u64_e32 v[10:11], v[10:11], v[12:13]
	v_max_i64 v[6:7], v[6:7], v[14:15]
	s_delay_alu instid0(VALU_DEP_1) | instskip(SKIP_1) | instid1(VALU_DEP_2)
	v_add_nc_u64_e32 v[10:11], v[10:11], v[6:7]
	v_mov_b64_e32 v[6:7], 0
	v_lshrrev_b64 v[12:13], 2, v[10:11]
	v_cmp_lt_u64_e32 vcc_lo, 11, v[10:11]
	v_mov_b64_e32 v[10:11], 0
	s_delay_alu instid0(VALU_DEP_3)
	v_add_nc_u64_e32 v[12:13], 1, v[12:13]
	s_and_saveexec_b32 s2, vcc_lo
	s_cbranch_execz .LBB65_35
; %bb.32:
	v_lshl_add_u64 v[10:11], v[8:9], 2, s[8:9]
	s_delay_alu instid0(VALU_DEP_2) | instskip(SKIP_1) | instid1(VALU_DEP_3)
	v_dual_mov_b32 v15, v13 :: v_dual_bitop2_b32 v14, -4, v12 bitop3:0x40
	v_dual_mov_b32 v6, 0 :: v_dual_mov_b32 v7, 0
	v_add_nc_u64_e32 v[16:17], 32, v[10:11]
	v_dual_mov_b32 v10, 0 :: v_dual_mov_b32 v11, 0
	s_mov_b32 s6, 0
.LBB65_33:                              ; =>This Inner Loop Header: Depth=1
	s_clause 0x3
	global_load_b32 v1, v[16:17], off offset:-32
	global_load_b32 v5, v[16:17], off offset:16
	global_load_b32 v13, v[16:17], off offset:-16
	global_load_b32 v34, v[16:17], off
	s_clause 0x3
	global_load_b128 v[18:21], v[2:3], off
	global_load_b128 v[22:25], v[2:3], off offset:64
	global_load_b128 v[26:29], v[2:3], off offset:128
	;; [unrolled: 1-line block ×3, first 2 shown]
	v_add_nc_u64_e32 v[14:15], -4, v[14:15]
	s_wait_xcnt 0x0
	v_add_nc_u64_e32 v[2:3], 0x100, v[2:3]
	v_add_nc_u64_e32 v[8:9], 16, v[8:9]
	;; [unrolled: 1-line block ×3, first 2 shown]
	s_delay_alu instid0(VALU_DEP_4)
	v_cmp_eq_u64_e32 vcc_lo, 0, v[14:15]
	s_or_b32 s6, vcc_lo, s6
	s_wait_loadcnt 0x7
	v_subrev_nc_u32_e32 v1, s12, v1
	s_wait_loadcnt 0x6
	v_subrev_nc_u32_e32 v5, s12, v5
	;; [unrolled: 2-line block ×4, first 2 shown]
	s_wait_loadcnt 0x3
	v_perm_b32 v39, v20, v19, 0xc07030c
	s_wait_kmcnt 0x0
	s_clause 0x3
	global_load_b32 v35, v1, s[4:5] scale_offset
	global_load_b32 v36, v5, s[4:5] scale_offset
	;; [unrolled: 1-line block ×4, first 2 shown]
	s_wait_xcnt 0x3
	v_perm_b32 v1, v20, v19, 0xc05010c
	s_wait_xcnt 0x2
	v_perm_b32 v5, v18, v18, 0xc0c0c01
	;; [unrolled: 2-line block ×4, first 2 shown]
	v_perm_b32 v19, v20, v19, 0xc06020c
	s_wait_loadcnt 0x6
	v_perm_b32 v20, v22, v21, 0xc0c0400
	v_perm_b32 v41, v24, v23, 0x4000c0c
	;; [unrolled: 1-line block ×4, first 2 shown]
	s_wait_loadcnt 0x5
	v_perm_b32 v44, v26, v25, 0xc0c0501
	v_perm_b32 v45, v28, v27, 0x5010c0c
	;; [unrolled: 1-line block ×4, first 2 shown]
	s_wait_loadcnt 0x4
	v_dual_lshrrev_b32 v48, 8, v33 :: v_dual_lshrrev_b32 v49, 24, v33
	v_perm_b32 v51, v30, v29, 0xc0c0400
	v_perm_b32 v53, v30, v29, 0xc0c0501
	;; [unrolled: 1-line block ×14, first 2 shown]
	v_lshrrev_b32_e32 v50, 16, v33
	v_perm_b32 v52, v32, v31, 0x4000c0c
	v_perm_b32 v54, v32, v31, 0x5010c0c
	v_bfe_i32 v31, v33, 0, 8
	v_or_b32_e32 v1, v1, v5
	v_or_b32_e32 v5, v13, v34
	;; [unrolled: 1-line block ×4, first 2 shown]
	v_bfe_i32 v23, v48, 0, 8
	v_or_b32_e32 v25, v26, v25
	v_or_b32_e32 v26, v28, v27
	;; [unrolled: 1-line block ×3, first 2 shown]
	v_perm_b32 v40, v18, v18, 0xc0c0c03
	v_perm_b32 v23, v23, v31, 0x5040100
	;; [unrolled: 1-line block ×3, first 2 shown]
	v_bfe_i32 v24, v50, 0, 8
	v_or_b32_e32 v33, v47, v46
	v_or_b32_e32 v34, v52, v51
	s_wait_loadcnt 0x3
	v_perm_b32 v28, v35, v35, 0xc020100
	s_wait_loadcnt 0x2
	v_lshrrev_b32_e32 v29, 24, v36
	s_wait_loadcnt 0x1
	v_perm_b32 v30, v37, v35, 0x6050403
	s_wait_loadcnt 0x0
	v_perm_b32 v31, v38, v37, 0x6050403
	v_perm_b32 v35, v36, v38, 0x6050403
	v_dot4_i32_iu8 v5, v28, v5, v10 neg_lo:[1,1,0]
	v_bfe_i32 v10, v29, 0, 8
	v_dot4_i32_iu8 v1, v28, v1, v11 neg_lo:[1,1,0]
	s_delay_alu instid0(VALU_DEP_2) | instskip(SKIP_2) | instid1(VALU_DEP_2)
	v_pk_mul_lo_u16 v11, v10, v23 op_sel_hi:[0,1]
	v_or_b32_e32 v13, v39, v40
	v_or_b32_e32 v40, v56, v55
	v_dot4_i32_iu8 v7, v28, v13, v7 neg_lo:[1,1,0]
	s_delay_alu instid0(VALU_DEP_4)
	v_bfe_i32 v13, v11, 0, 16
	v_dual_ashrrev_i32 v11, 16, v11 :: v_dual_bitop2_b32 v18, v19, v18 bitop3:0x54
	v_or_b32_e32 v19, v41, v20
	v_bfe_i32 v41, v49, 0, 8
	v_or_b32_e32 v20, v43, v42
	v_dot4_i32_iu8 v7, v30, v21, v7 neg_lo:[1,1,0]
	s_delay_alu instid0(VALU_DEP_3) | instskip(NEXT) | instid1(VALU_DEP_3)
	v_perm_b32 v24, v41, v24, 0x5040100
	v_dot4_i32_iu8 v1, v30, v20, v1 neg_lo:[1,1,0]
	s_delay_alu instid0(VALU_DEP_3) | instskip(NEXT) | instid1(VALU_DEP_3)
	v_dot4_i32_iu8 v7, v31, v22, v7 neg_lo:[1,1,0]
	v_pk_mul_lo_u16 v10, v10, v24 op_sel_hi:[0,1]
	v_or_b32_e32 v32, v45, v44
	s_delay_alu instid0(VALU_DEP_3) | instskip(SKIP_1) | instid1(VALU_DEP_3)
	v_dot4_i32_iu8 v7, v35, v27, v7 neg_lo:[1,1,0]
	v_or_b32_e32 v39, v54, v53
	v_dot4_i32_iu8 v1, v31, v32, v1 neg_lo:[1,1,0]
	s_delay_alu instid0(VALU_DEP_1) | instskip(NEXT) | instid1(VALU_DEP_1)
	v_dot4_i32_iu8 v1, v35, v39, v1 neg_lo:[1,1,0]
	v_add_nc_u32_e32 v11, v1, v11
	v_dot4_i32_iu8 v6, v28, v18, v6 neg_lo:[1,1,0]
	v_bfe_i32 v18, v10, 0, 16
	s_delay_alu instid0(VALU_DEP_2) | instskip(NEXT) | instid1(VALU_DEP_1)
	v_dot4_i32_iu8 v6, v30, v40, v6 neg_lo:[1,1,0]
	v_dot4_i32_iu8 v6, v31, v25, v6 neg_lo:[1,1,0]
	s_delay_alu instid0(VALU_DEP_1) | instskip(NEXT) | instid1(VALU_DEP_1)
	v_dot4_i32_iu8 v6, v35, v26, v6 neg_lo:[1,1,0]
	v_add_nc_u32_e32 v6, v6, v18
	v_dot4_i32_iu8 v5, v30, v19, v5 neg_lo:[1,1,0]
	v_ashrrev_i32_e32 v19, 16, v10
	s_delay_alu instid0(VALU_DEP_2) | instskip(NEXT) | instid1(VALU_DEP_2)
	v_dot4_i32_iu8 v5, v31, v33, v5 neg_lo:[1,1,0]
	v_add_nc_u32_e32 v7, v7, v19
	s_delay_alu instid0(VALU_DEP_2) | instskip(NEXT) | instid1(VALU_DEP_1)
	v_dot4_i32_iu8 v5, v35, v34, v5 neg_lo:[1,1,0]
	v_add_nc_u32_e32 v10, v5, v13
	s_and_not1_b32 exec_lo, exec_lo, s6
	s_cbranch_execnz .LBB65_33
; %bb.34:
	s_or_b32 exec_lo, exec_lo, s6
.LBB65_35:
	s_delay_alu instid0(SALU_CYCLE_1) | instskip(NEXT) | instid1(VALU_DEP_1)
	s_or_b32 exec_lo, exec_lo, s2
	v_dual_mov_b32 v13, 0 :: v_dual_bitop2_b32 v12, 3, v12 bitop3:0x40
	s_mov_b32 s2, exec_lo
	s_delay_alu instid0(VALU_DEP_1)
	v_cmpx_ne_u64_e32 0, v[12:13]
	s_cbranch_execz .LBB65_39
; %bb.36:
	v_lshl_add_u64 v[8:9], v[8:9], 2, s[8:9]
	v_lshlrev_b32_e32 v12, 2, v12
	s_mov_b32 s6, 0
.LBB65_37:                              ; =>This Inner Loop Header: Depth=1
	global_load_b32 v1, v[8:9], off
	global_load_b128 v[14:17], v[2:3], off
	v_add_nc_u64_e32 v[12:13], -4, v[12:13]
	s_wait_xcnt 0x0
	v_add_nc_u64_e32 v[2:3], 64, v[2:3]
	v_add_nc_u64_e32 v[8:9], 16, v[8:9]
	s_delay_alu instid0(VALU_DEP_3)
	v_cmp_eq_u64_e32 vcc_lo, 0, v[12:13]
	s_or_b32 s6, vcc_lo, s6
	s_wait_loadcnt 0x1
	v_subrev_nc_u32_e32 v1, s12, v1
	s_wait_loadcnt 0x0
	v_perm_b32 v5, v15, v14, 0xc0c0501
	v_perm_b32 v18, v17, v16, 0x5010c0c
	;; [unrolled: 1-line block ×4, first 2 shown]
	s_wait_kmcnt 0x0
	global_load_b32 v1, v1, s[4:5] scale_offset
	v_perm_b32 v21, v15, v14, 0xc0c0703
	v_perm_b32 v22, v17, v16, 0x7030c0c
	;; [unrolled: 1-line block ×4, first 2 shown]
	v_or_b32_e32 v5, v18, v5
	v_or_b32_e32 v16, v20, v19
	;; [unrolled: 1-line block ×3, first 2 shown]
	s_delay_alu instid0(VALU_DEP_4)
	v_or_b32_e32 v14, v15, v14
	s_wait_loadcnt 0x0
	v_dot4_i32_iu8 v11, v1, v5, v11 neg_lo:[1,1,0]
	v_dot4_i32_iu8 v10, v1, v16, v10 neg_lo:[1,1,0]
	;; [unrolled: 1-line block ×4, first 2 shown]
	s_and_not1_b32 exec_lo, exec_lo, s6
	s_cbranch_execnz .LBB65_37
; %bb.38:
	s_or_b32 exec_lo, exec_lo, s6
.LBB65_39:
	s_delay_alu instid0(SALU_CYCLE_1)
	s_or_b32 exec_lo, exec_lo, s2
.LBB65_40:
	s_delay_alu instid0(SALU_CYCLE_1)
	s_or_b32 exec_lo, exec_lo, s3
.LBB65_41:
	v_mbcnt_lo_u32_b32 v1, -1, 0
	s_mov_b32 s2, -1
	s_delay_alu instid0(VALU_DEP_1) | instskip(NEXT) | instid1(VALU_DEP_1)
	v_xor_b32_e32 v2, 2, v1
	v_cmp_gt_i32_e32 vcc_lo, 32, v2
	v_cndmask_b32_e32 v2, v1, v2, vcc_lo
	s_delay_alu instid0(VALU_DEP_1)
	v_lshlrev_b32_e32 v2, 2, v2
	ds_bpermute_b32 v3, v2, v10
	ds_bpermute_b32 v5, v2, v11
	;; [unrolled: 1-line block ×4, first 2 shown]
	v_xor_b32_e32 v2, 1, v1
	s_delay_alu instid0(VALU_DEP_1) | instskip(SKIP_3) | instid1(VALU_DEP_2)
	v_cmp_gt_i32_e32 vcc_lo, 32, v2
	v_cndmask_b32_e32 v1, v1, v2, vcc_lo
	v_cmp_eq_u32_e32 vcc_lo, 3, v0
	s_wait_dscnt 0x3
	v_dual_lshlrev_b32 v12, 2, v1 :: v_dual_add_nc_u32 v2, v3, v10
	s_wait_dscnt 0x1
	v_dual_add_nc_u32 v1, v5, v11 :: v_dual_add_nc_u32 v5, v8, v6
	s_wait_dscnt 0x0
	v_add_nc_u32_e32 v3, v9, v7
	ds_bpermute_b32 v8, v12, v2
	ds_bpermute_b32 v9, v12, v1
	;; [unrolled: 1-line block ×4, first 2 shown]
	s_and_b32 exec_lo, exec_lo, vcc_lo
	s_cbranch_execz .LBB65_14
; %bb.42:
	s_load_b64 s[0:1], s[0:1], 0x50
	s_wait_dscnt 0x2
	v_dual_add_nc_u32 v0, v8, v2 :: v_dual_add_nc_u32 v1, v9, v1
	s_wait_dscnt 0x0
	v_dual_add_nc_u32 v2, v6, v5 :: v_dual_add_nc_u32 v3, v7, v3
	v_lshlrev_b32_e32 v4, 2, v4
	s_delay_alu instid0(VALU_DEP_3) | instskip(SKIP_1) | instid1(VALU_DEP_4)
	v_mul_lo_u32 v0, v0, s14
	v_mul_lo_u32 v1, v1, s14
	;; [unrolled: 1-line block ×4, first 2 shown]
	s_cmp_eq_u32 s15, 0
	s_cbranch_scc1 .LBB65_44
; %bb.43:
	v_ashrrev_i32_e32 v5, 31, v4
	s_mov_b32 s2, 0
	s_wait_kmcnt 0x0
	s_delay_alu instid0(VALU_DEP_1)
	v_lshl_add_u64 v[10:11], v[4:5], 2, s[0:1]
	global_load_b128 v[6:9], v[10:11], off
	s_wait_loadcnt 0x0
	v_mad_u32 v7, v7, s15, v1
	v_mad_u32 v6, v6, s15, v0
	;; [unrolled: 1-line block ×4, first 2 shown]
	global_store_b128 v[10:11], v[6:9], off
.LBB65_44:
	s_and_not1_b32 vcc_lo, exec_lo, s2
	s_cbranch_vccnz .LBB65_14
; %bb.45:
	v_ashrrev_i32_e32 v5, 31, v4
	s_wait_kmcnt 0x0
	s_delay_alu instid0(VALU_DEP_1)
	v_lshl_add_u64 v[4:5], v[4:5], 2, s[0:1]
	global_store_b128 v[4:5], v[0:3], off
	s_endpgm
	.section	.rodata,"a",@progbits
	.p2align	6, 0x0
	.amdhsa_kernel _ZN9rocsparseL18bsrxmvn_4x4_kernelILj128ELj4EiliaaiEEvT3_20rocsparse_direction_NS_24const_host_device_scalarIT1_EES1_PKS1_PKT2_SA_S7_PKT4_PKT5_S5_PT6_21rocsparse_index_base_b
		.amdhsa_group_segment_fixed_size 0
		.amdhsa_private_segment_fixed_size 0
		.amdhsa_kernarg_size 96
		.amdhsa_user_sgpr_count 2
		.amdhsa_user_sgpr_dispatch_ptr 0
		.amdhsa_user_sgpr_queue_ptr 0
		.amdhsa_user_sgpr_kernarg_segment_ptr 1
		.amdhsa_user_sgpr_dispatch_id 0
		.amdhsa_user_sgpr_kernarg_preload_length 0
		.amdhsa_user_sgpr_kernarg_preload_offset 0
		.amdhsa_user_sgpr_private_segment_size 0
		.amdhsa_wavefront_size32 1
		.amdhsa_uses_dynamic_stack 0
		.amdhsa_enable_private_segment 0
		.amdhsa_system_sgpr_workgroup_id_x 1
		.amdhsa_system_sgpr_workgroup_id_y 0
		.amdhsa_system_sgpr_workgroup_id_z 0
		.amdhsa_system_sgpr_workgroup_info 0
		.amdhsa_system_vgpr_workitem_id 0
		.amdhsa_next_free_vgpr 64
		.amdhsa_next_free_sgpr 16
		.amdhsa_named_barrier_count 0
		.amdhsa_reserve_vcc 1
		.amdhsa_float_round_mode_32 0
		.amdhsa_float_round_mode_16_64 0
		.amdhsa_float_denorm_mode_32 3
		.amdhsa_float_denorm_mode_16_64 3
		.amdhsa_fp16_overflow 0
		.amdhsa_memory_ordered 1
		.amdhsa_forward_progress 1
		.amdhsa_inst_pref_size 30
		.amdhsa_round_robin_scheduling 0
		.amdhsa_exception_fp_ieee_invalid_op 0
		.amdhsa_exception_fp_denorm_src 0
		.amdhsa_exception_fp_ieee_div_zero 0
		.amdhsa_exception_fp_ieee_overflow 0
		.amdhsa_exception_fp_ieee_underflow 0
		.amdhsa_exception_fp_ieee_inexact 0
		.amdhsa_exception_int_div_zero 0
	.end_amdhsa_kernel
	.section	.text._ZN9rocsparseL18bsrxmvn_4x4_kernelILj128ELj4EiliaaiEEvT3_20rocsparse_direction_NS_24const_host_device_scalarIT1_EES1_PKS1_PKT2_SA_S7_PKT4_PKT5_S5_PT6_21rocsparse_index_base_b,"axG",@progbits,_ZN9rocsparseL18bsrxmvn_4x4_kernelILj128ELj4EiliaaiEEvT3_20rocsparse_direction_NS_24const_host_device_scalarIT1_EES1_PKS1_PKT2_SA_S7_PKT4_PKT5_S5_PT6_21rocsparse_index_base_b,comdat
.Lfunc_end65:
	.size	_ZN9rocsparseL18bsrxmvn_4x4_kernelILj128ELj4EiliaaiEEvT3_20rocsparse_direction_NS_24const_host_device_scalarIT1_EES1_PKS1_PKT2_SA_S7_PKT4_PKT5_S5_PT6_21rocsparse_index_base_b, .Lfunc_end65-_ZN9rocsparseL18bsrxmvn_4x4_kernelILj128ELj4EiliaaiEEvT3_20rocsparse_direction_NS_24const_host_device_scalarIT1_EES1_PKS1_PKT2_SA_S7_PKT4_PKT5_S5_PT6_21rocsparse_index_base_b
                                        ; -- End function
	.set _ZN9rocsparseL18bsrxmvn_4x4_kernelILj128ELj4EiliaaiEEvT3_20rocsparse_direction_NS_24const_host_device_scalarIT1_EES1_PKS1_PKT2_SA_S7_PKT4_PKT5_S5_PT6_21rocsparse_index_base_b.num_vgpr, 64
	.set _ZN9rocsparseL18bsrxmvn_4x4_kernelILj128ELj4EiliaaiEEvT3_20rocsparse_direction_NS_24const_host_device_scalarIT1_EES1_PKS1_PKT2_SA_S7_PKT4_PKT5_S5_PT6_21rocsparse_index_base_b.num_agpr, 0
	.set _ZN9rocsparseL18bsrxmvn_4x4_kernelILj128ELj4EiliaaiEEvT3_20rocsparse_direction_NS_24const_host_device_scalarIT1_EES1_PKS1_PKT2_SA_S7_PKT4_PKT5_S5_PT6_21rocsparse_index_base_b.numbered_sgpr, 16
	.set _ZN9rocsparseL18bsrxmvn_4x4_kernelILj128ELj4EiliaaiEEvT3_20rocsparse_direction_NS_24const_host_device_scalarIT1_EES1_PKS1_PKT2_SA_S7_PKT4_PKT5_S5_PT6_21rocsparse_index_base_b.num_named_barrier, 0
	.set _ZN9rocsparseL18bsrxmvn_4x4_kernelILj128ELj4EiliaaiEEvT3_20rocsparse_direction_NS_24const_host_device_scalarIT1_EES1_PKS1_PKT2_SA_S7_PKT4_PKT5_S5_PT6_21rocsparse_index_base_b.private_seg_size, 0
	.set _ZN9rocsparseL18bsrxmvn_4x4_kernelILj128ELj4EiliaaiEEvT3_20rocsparse_direction_NS_24const_host_device_scalarIT1_EES1_PKS1_PKT2_SA_S7_PKT4_PKT5_S5_PT6_21rocsparse_index_base_b.uses_vcc, 1
	.set _ZN9rocsparseL18bsrxmvn_4x4_kernelILj128ELj4EiliaaiEEvT3_20rocsparse_direction_NS_24const_host_device_scalarIT1_EES1_PKS1_PKT2_SA_S7_PKT4_PKT5_S5_PT6_21rocsparse_index_base_b.uses_flat_scratch, 0
	.set _ZN9rocsparseL18bsrxmvn_4x4_kernelILj128ELj4EiliaaiEEvT3_20rocsparse_direction_NS_24const_host_device_scalarIT1_EES1_PKS1_PKT2_SA_S7_PKT4_PKT5_S5_PT6_21rocsparse_index_base_b.has_dyn_sized_stack, 0
	.set _ZN9rocsparseL18bsrxmvn_4x4_kernelILj128ELj4EiliaaiEEvT3_20rocsparse_direction_NS_24const_host_device_scalarIT1_EES1_PKS1_PKT2_SA_S7_PKT4_PKT5_S5_PT6_21rocsparse_index_base_b.has_recursion, 0
	.set _ZN9rocsparseL18bsrxmvn_4x4_kernelILj128ELj4EiliaaiEEvT3_20rocsparse_direction_NS_24const_host_device_scalarIT1_EES1_PKS1_PKT2_SA_S7_PKT4_PKT5_S5_PT6_21rocsparse_index_base_b.has_indirect_call, 0
	.section	.AMDGPU.csdata,"",@progbits
; Kernel info:
; codeLenInByte = 3776
; TotalNumSgprs: 18
; NumVgprs: 64
; ScratchSize: 0
; MemoryBound: 0
; FloatMode: 240
; IeeeMode: 1
; LDSByteSize: 0 bytes/workgroup (compile time only)
; SGPRBlocks: 0
; VGPRBlocks: 3
; NumSGPRsForWavesPerEU: 18
; NumVGPRsForWavesPerEU: 64
; NamedBarCnt: 0
; Occupancy: 16
; WaveLimiterHint : 1
; COMPUTE_PGM_RSRC2:SCRATCH_EN: 0
; COMPUTE_PGM_RSRC2:USER_SGPR: 2
; COMPUTE_PGM_RSRC2:TRAP_HANDLER: 0
; COMPUTE_PGM_RSRC2:TGID_X_EN: 1
; COMPUTE_PGM_RSRC2:TGID_Y_EN: 0
; COMPUTE_PGM_RSRC2:TGID_Z_EN: 0
; COMPUTE_PGM_RSRC2:TIDIG_COMP_CNT: 0
	.section	.text._ZN9rocsparseL18bsrxmvn_4x4_kernelILj128ELj8EiliaaiEEvT3_20rocsparse_direction_NS_24const_host_device_scalarIT1_EES1_PKS1_PKT2_SA_S7_PKT4_PKT5_S5_PT6_21rocsparse_index_base_b,"axG",@progbits,_ZN9rocsparseL18bsrxmvn_4x4_kernelILj128ELj8EiliaaiEEvT3_20rocsparse_direction_NS_24const_host_device_scalarIT1_EES1_PKS1_PKT2_SA_S7_PKT4_PKT5_S5_PT6_21rocsparse_index_base_b,comdat
	.globl	_ZN9rocsparseL18bsrxmvn_4x4_kernelILj128ELj8EiliaaiEEvT3_20rocsparse_direction_NS_24const_host_device_scalarIT1_EES1_PKS1_PKT2_SA_S7_PKT4_PKT5_S5_PT6_21rocsparse_index_base_b ; -- Begin function _ZN9rocsparseL18bsrxmvn_4x4_kernelILj128ELj8EiliaaiEEvT3_20rocsparse_direction_NS_24const_host_device_scalarIT1_EES1_PKS1_PKT2_SA_S7_PKT4_PKT5_S5_PT6_21rocsparse_index_base_b
	.p2align	8
	.type	_ZN9rocsparseL18bsrxmvn_4x4_kernelILj128ELj8EiliaaiEEvT3_20rocsparse_direction_NS_24const_host_device_scalarIT1_EES1_PKS1_PKT2_SA_S7_PKT4_PKT5_S5_PT6_21rocsparse_index_base_b,@function
_ZN9rocsparseL18bsrxmvn_4x4_kernelILj128ELj8EiliaaiEEvT3_20rocsparse_direction_NS_24const_host_device_scalarIT1_EES1_PKS1_PKT2_SA_S7_PKT4_PKT5_S5_PT6_21rocsparse_index_base_b: ; @_ZN9rocsparseL18bsrxmvn_4x4_kernelILj128ELj8EiliaaiEEvT3_20rocsparse_direction_NS_24const_host_device_scalarIT1_EES1_PKS1_PKT2_SA_S7_PKT4_PKT5_S5_PT6_21rocsparse_index_base_b
; %bb.0:
	s_clause 0x1
	s_load_b64 s[12:13], s[0:1], 0x58
	s_load_b64 s[4:5], s[0:1], 0x8
	s_mov_b32 s7, -1
                                        ; implicit-def: $sgpr14
	s_wait_kmcnt 0x0
	s_bitcmp1_b32 s13, 0
	s_cselect_b32 s2, -1, 0
	s_delay_alu instid0(SALU_CYCLE_1) | instskip(NEXT) | instid1(SALU_CYCLE_1)
	s_xor_b32 s6, s2, -1
	s_and_b32 vcc_lo, exec_lo, s6
	s_cbranch_vccnz .LBB66_4
; %bb.1:
	s_load_b64 s[2:3], s[0:1], 0x48
	s_and_not1_b32 vcc_lo, exec_lo, s7
	s_cbranch_vccz .LBB66_5
.LBB66_2:
	s_and_b32 vcc_lo, exec_lo, s6
	s_cbranch_vccz .LBB66_6
.LBB66_3:
	s_wait_kmcnt 0x0
	s_load_b32 s15, s[2:3], 0x0
	s_wait_xcnt 0x0
	s_cbranch_execz .LBB66_7
	s_branch .LBB66_8
.LBB66_4:
	s_load_b32 s14, s[4:5], 0x0
	s_load_b64 s[2:3], s[0:1], 0x48
	s_cbranch_execnz .LBB66_2
.LBB66_5:
	s_wait_kmcnt 0x0
	s_mov_b32 s14, s4
	s_and_b32 vcc_lo, exec_lo, s6
	s_cbranch_vccnz .LBB66_3
.LBB66_6:
	s_wait_kmcnt 0x0
                                        ; implicit-def: $sgpr15
.LBB66_7:
	s_wait_kmcnt 0x0
	s_mov_b32 s15, s2
.LBB66_8:
	s_cmp_lg_u32 s14, 0
	s_mov_b32 s6, 0
	s_cselect_b32 s2, -1, 0
	s_wait_kmcnt 0x0
	s_cmp_lg_u32 s15, 1
	s_cselect_b32 s3, -1, 0
	s_delay_alu instid0(SALU_CYCLE_1) | instskip(NEXT) | instid1(SALU_CYCLE_1)
	s_or_b32 s2, s2, s3
	s_and_not1_b32 vcc_lo, exec_lo, s2
	s_cbranch_vccnz .LBB66_14
; %bb.9:
	s_clause 0x1
	s_load_b64 s[4:5], s[0:1], 0x18
	s_load_b64 s[2:3], s[0:1], 0x0
	s_bfe_u32 s7, ttmp6, 0x4000c
	s_and_b32 s8, ttmp6, 15
	s_add_co_i32 s7, s7, 1
	s_getreg_b32 s9, hwreg(HW_REG_IB_STS2, 6, 4)
	s_mul_i32 s7, ttmp9, s7
	v_lshrrev_b32_e32 v1, 3, v0
	s_add_co_i32 s8, s8, s7
	s_cmp_eq_u32 s9, 0
	s_cselect_b32 s7, ttmp9, s8
	s_delay_alu instid0(VALU_DEP_1) | instid1(SALU_CYCLE_1)
	v_lshl_or_b32 v4, s7, 4, v1
	s_wait_kmcnt 0x0
	s_cmp_lg_u64 s[4:5], 0
	s_cbranch_scc0 .LBB66_15
; %bb.10:
	s_load_b32 s6, s[0:1], 0x10
	s_mov_b32 s7, 0
                                        ; implicit-def: $vgpr1
	s_wait_kmcnt 0x0
	v_cmp_gt_i32_e32 vcc_lo, s6, v4
	s_mov_b32 s6, 0
	s_and_saveexec_b32 s8, vcc_lo
	s_delay_alu instid0(SALU_CYCLE_1)
	s_xor_b32 s8, exec_lo, s8
	s_cbranch_execz .LBB66_12
; %bb.11:
	global_load_b32 v1, v4, s[4:5] scale_offset
	s_mov_b32 s6, exec_lo
	s_wait_loadcnt 0x0
	v_subrev_nc_u32_e32 v1, s12, v1
.LBB66_12:
	s_or_b32 exec_lo, exec_lo, s8
	s_delay_alu instid0(SALU_CYCLE_1)
	s_and_b32 vcc_lo, exec_lo, s7
	s_cbranch_vccz .LBB66_16
.LBB66_13:
	v_cmp_gt_i32_e32 vcc_lo, s2, v4
	s_and_not1_b32 s2, s6, exec_lo
	s_and_b32 s4, vcc_lo, exec_lo
	s_delay_alu instid0(SALU_CYCLE_1) | instskip(NEXT) | instid1(SALU_CYCLE_1)
	s_or_b32 s6, s2, s4
	s_and_saveexec_b32 s2, s6
	s_cbranch_execnz .LBB66_17
.LBB66_14:
	s_sendmsg sendmsg(MSG_DEALLOC_VGPRS)
	s_endpgm
.LBB66_15:
                                        ; implicit-def: $vgpr1
	s_cbranch_execnz .LBB66_13
.LBB66_16:
	s_delay_alu instid0(VALU_DEP_1)
	v_mov_b32_e32 v4, v1
	s_and_saveexec_b32 s2, s6
	s_cbranch_execz .LBB66_14
.LBB66_17:
	s_load_b256 s[4:11], s[0:1], 0x20
	s_mov_b32 s13, 0
	v_dual_mov_b32 v1, 0 :: v_dual_bitop2_b32 v0, 7, v0 bitop3:0x40
	s_wait_kmcnt 0x0
	s_cmp_eq_u64 s[6:7], 0
	global_load_b64 v[12:13], v4, s[4:5] scale_offset
	s_cselect_b32 vcc_lo, -1, 0
	v_ashrrev_i32_e32 v5, 31, v4
	s_cmp_eq_u32 s3, 1
	s_delay_alu instid0(VALU_DEP_1) | instskip(NEXT) | instid1(VALU_DEP_1)
	v_lshlrev_b64_e32 v[2:3], 3, v[4:5]
	v_add_nc_u64_e32 v[6:7], s[4:5], v[2:3]
	v_add_nc_u64_e32 v[2:3], s[6:7], v[2:3]
	s_wait_xcnt 0x0
	s_load_b64 s[4:5], s[0:1], 0x40
	s_delay_alu instid0(VALU_DEP_2) | instskip(NEXT) | instid1(VALU_DEP_1)
	v_add_nc_u64_e32 v[6:7], 8, v[6:7]
	v_dual_cndmask_b32 v3, v3, v7 :: v_dual_cndmask_b32 v2, v2, v6
	global_load_b64 v[2:3], v[2:3], off
	s_wait_loadcnt 0x1
	v_sub_nc_u64_e64 v[6:7], v[12:13], s[12:13]
	s_delay_alu instid0(VALU_DEP_1) | instskip(SKIP_2) | instid1(VALU_DEP_2)
	v_add_nc_u64_e32 v[8:9], v[6:7], v[0:1]
	s_wait_loadcnt 0x0
	v_sub_nc_u64_e64 v[14:15], v[2:3], s[12:13]
	v_lshl_add_u64 v[2:3], v[8:9], 4, s[10:11]
	s_delay_alu instid0(VALU_DEP_2)
	v_cmp_lt_i64_e64 s2, v[8:9], v[14:15]
	s_cbranch_scc1 .LBB66_29
; %bb.18:
	v_dual_mov_b32 v7, v1 :: v_dual_mov_b32 v6, v1
	v_dual_mov_b32 v11, v1 :: v_dual_mov_b32 v10, v1
	s_and_saveexec_b32 s3, s2
	s_cbranch_execz .LBB66_28
; %bb.19:
	v_dual_mov_b32 v7, v1 :: v_dual_bitop2_b32 v6, 8, v0 bitop3:0x54
	v_sub_nc_u64_e32 v[10:11], s[12:13], v[0:1]
	v_not_b32_e32 v17, v13
	v_not_b32_e32 v16, v12
	v_mov_b64_e32 v[20:21], v[8:9]
	v_sub_nc_u64_e64 v[6:7], v[6:7], s[12:13]
	s_delay_alu instid0(VALU_DEP_3) | instskip(NEXT) | instid1(VALU_DEP_2)
	v_add_nc_u64_e32 v[10:11], v[10:11], v[16:17]
	v_add_nc_u64_e32 v[6:7], v[6:7], v[12:13]
	s_delay_alu instid0(VALU_DEP_1) | instskip(NEXT) | instid1(VALU_DEP_1)
	v_max_i64 v[6:7], v[6:7], v[14:15]
	v_add_nc_u64_e32 v[10:11], v[10:11], v[6:7]
	v_mov_b64_e32 v[6:7], 0
	s_delay_alu instid0(VALU_DEP_2) | instskip(SKIP_2) | instid1(VALU_DEP_3)
	v_lshrrev_b64 v[16:17], 3, v[10:11]
	v_cmp_lt_u64_e32 vcc_lo, 23, v[10:11]
	v_mov_b64_e32 v[10:11], 0
	v_add_nc_u64_e32 v[18:19], 1, v[16:17]
	v_mov_b64_e32 v[16:17], v[2:3]
	s_and_saveexec_b32 s6, vcc_lo
	s_cbranch_execz .LBB66_23
; %bb.20:
	v_lshl_add_u64 v[10:11], v[8:9], 2, s[8:9]
	v_mov_b64_e32 v[16:17], v[2:3]
	v_mov_b64_e32 v[20:21], v[8:9]
	v_dual_mov_b32 v23, v19 :: v_dual_bitop2_b32 v22, -4, v18 bitop3:0x40
	s_delay_alu instid0(VALU_DEP_4)
	v_add_nc_u64_e32 v[24:25], 64, v[10:11]
	v_dual_mov_b32 v7, 0 :: v_dual_mov_b32 v6, 0
	v_dual_mov_b32 v11, 0 :: v_dual_mov_b32 v10, 0
	s_mov_b32 s7, 0
.LBB66_21:                              ; =>This Inner Loop Header: Depth=1
	s_clause 0x3
	global_load_b32 v5, v[24:25], off offset:-64
	global_load_b32 v19, v[24:25], off offset:-32
	global_load_b32 v38, v[24:25], off
	global_load_b32 v39, v[24:25], off offset:32
	s_clause 0x2
	global_load_b128 v[26:29], v[16:17], off
	global_load_b128 v[30:33], v[16:17], off offset:128
	global_load_b128 v[34:37], v[16:17], off offset:256
	v_add_nc_u64_e32 v[22:23], -4, v[22:23]
	v_add_nc_u64_e32 v[20:21], 32, v[20:21]
	s_wait_xcnt 0x3
	v_add_nc_u64_e32 v[24:25], 0x80, v[24:25]
	s_delay_alu instid0(VALU_DEP_3)
	v_cmp_eq_u64_e32 vcc_lo, 0, v[22:23]
	s_or_b32 s7, vcc_lo, s7
	s_wait_loadcnt 0x6
	v_subrev_nc_u32_e32 v5, s12, v5
	s_wait_loadcnt 0x5
	v_subrev_nc_u32_e32 v19, s12, v19
	s_wait_loadcnt 0x4
	v_subrev_nc_u32_e32 v38, s12, v38
	s_wait_kmcnt 0x0
	s_clause 0x2
	global_load_b32 v42, v5, s[4:5] scale_offset
	global_load_b32 v43, v19, s[4:5] scale_offset
	global_load_b32 v44, v38, s[4:5] scale_offset
	s_wait_loadcnt 0x6
	s_wait_xcnt 0x2
	v_subrev_nc_u32_e32 v5, s12, v39
	s_wait_loadcnt 0x5
	v_bfe_i32 v45, v26, 0, 8
	s_wait_loadcnt 0x4
	v_lshrrev_b16 v48, 8, v33
	global_load_b128 v[38:41], v[16:17], off offset:384
	global_load_b32 v19, v5, s[4:5] scale_offset
	s_wait_xcnt 0x0
	v_lshrrev_b16 v5, 8, v29
	v_ashrrev_i32_e32 v50, 24, v33
	s_wait_loadcnt 0x5
	v_bfe_i32 v53, v37, 0, 8
	v_bfe_i32 v54, v37, 8, 8
	v_bfe_i32 v55, v37, 16, 8
	v_ashrrev_i32_e32 v37, 24, v37
	v_perm_b32 v26, v26, v26, 0xc030201
	v_dual_ashrrev_i32 v46, 24, v29 :: v_dual_ashrrev_i32 v52, 24, v34
	v_bfe_i32 v51, v33, 16, 8
	v_bfe_i32 v33, v33, 0, 8
	;; [unrolled: 1-line block ×7, first 2 shown]
	v_perm_b32 v30, v34, v30, 0x4030201
	v_perm_b32 v34, v34, v34, 0xc0c0201
	;; [unrolled: 1-line block ×3, first 2 shown]
	v_add_nc_u64_e32 v[16:17], 0x200, v[16:17]
	s_wait_loadcnt 0x4
	v_bfe_i32 v56, v42, 0, 8
	v_dot4_i32_iu8 v11, v42, v27, v11 neg_lo:[1,1,0]
	v_lshrrev_b16 v27, 8, v42
	s_wait_loadcnt 0x3
	v_ashrrev_i32_e32 v58, 24, v43
	v_lshrrev_b16 v59, 8, v43
	v_dot4_i32_iu8 v6, v42, v28, v6 neg_lo:[1,1,0]
	v_ashrrev_i32_e32 v28, 24, v42
	v_bfe_i32 v57, v42, 16, 8
	v_perm_b32 v42, v42, v42, 0xc030201
	v_bfe_i32 v60, v43, 16, 8
	v_bfe_i32 v61, v43, 0, 8
	v_mad_i32_i24 v10, v56, v45, v10
	v_mul_i32_i24_e32 v50, v50, v58
	v_bfe_i32 v27, v27, 0, 8
	v_bfe_i32 v58, v59, 0, 8
	s_wait_loadcnt 0x2
	v_bfe_i32 v62, v44, 16, 8
	v_mul_i32_i24_e32 v51, v51, v60
	v_mul_i32_i24_e32 v33, v33, v61
	v_dot4_i32_iu8 v10, v42, v26, v10 neg_lo:[1,1,0]
	v_mad_i32_i24 v26, v46, v28, v50
	v_mul_i32_i24_e32 v5, v5, v27
	v_mul_i32_i24_e32 v27, v48, v58
	v_bfe_i32 v64, v44, 8, 8
	v_bfe_i32 v45, v44, 0, 8
	v_perm_b32 v65, v44, v43, 0x4030201
	v_mul_i32_i24_e32 v28, v55, v62
	v_mad_i32_i24 v29, v29, v57, v51
	v_mad_i32_i24 v33, v47, v56, v33
	;; [unrolled: 1-line block ×3, first 2 shown]
	v_add3_u32 v5, v5, v27, v26
	v_ashrrev_i32_e32 v63, 24, v44
	v_perm_b32 v26, v44, v44, 0xc0c0201
	v_mul_i32_i24_e32 v27, v45, v53
	v_mad_i32_i24 v28, v64, v54, v28
	v_dot4_i32_iu8 v10, v65, v30, v10 neg_lo:[1,1,0]
	v_add3_u32 v5, v33, v29, v5
	v_dot4_i32_iu8 v11, v43, v31, v11 neg_lo:[1,1,0]
	v_dot4_i32_iu8 v6, v43, v32, v6 neg_lo:[1,1,0]
	v_mul_i32_i24_e32 v29, v37, v63
	v_dot4_i32_iu8 v10, v26, v34, v10 neg_lo:[1,1,0]
	v_add3_u32 v5, v5, v27, v28
	v_dot4_i32_iu8 v11, v35, v44, v11 neg_lo:[1,1,0]
	v_dot4_i32_iu8 v6, v36, v44, v6 neg_lo:[1,1,0]
	s_delay_alu instid0(VALU_DEP_4) | instskip(NEXT) | instid1(VALU_DEP_4)
	v_mad_i32_i24 v10, v63, v52, v10
	v_add3_u32 v5, v5, v7, v29
	s_wait_loadcnt 0x0
	v_dot4_i32_iu8 v11, v19, v39, v11 neg_lo:[1,1,0]
	v_dot4_i32_iu8 v6, v19, v40, v6 neg_lo:[1,1,0]
	;; [unrolled: 1-line block ×4, first 2 shown]
	s_and_not1_b32 exec_lo, exec_lo, s7
	s_cbranch_execnz .LBB66_21
; %bb.22:
	s_or_b32 exec_lo, exec_lo, s7
.LBB66_23:
	s_delay_alu instid0(SALU_CYCLE_1) | instskip(NEXT) | instid1(VALU_DEP_2)
	s_or_b32 exec_lo, exec_lo, s6
	v_dual_mov_b32 v19, 0 :: v_dual_bitop2_b32 v18, 3, v18 bitop3:0x40
	s_mov_b32 s6, exec_lo
	s_delay_alu instid0(VALU_DEP_1)
	v_cmpx_ne_u64_e32 0, v[18:19]
	s_cbranch_execz .LBB66_27
; %bb.24:
	v_lshl_add_u64 v[20:21], v[20:21], 2, s[8:9]
	v_lshlrev_b32_e32 v18, 2, v18
	s_mov_b32 s7, 0
.LBB66_25:                              ; =>This Inner Loop Header: Depth=1
	global_load_b32 v5, v[20:21], off
	v_add_nc_u64_e32 v[18:19], -4, v[18:19]
	s_wait_xcnt 0x0
	v_add_nc_u64_e32 v[20:21], 32, v[20:21]
	s_delay_alu instid0(VALU_DEP_2)
	v_cmp_eq_u64_e32 vcc_lo, 0, v[18:19]
	s_or_b32 s7, vcc_lo, s7
	s_wait_loadcnt 0x0
	v_subrev_nc_u32_e32 v5, s12, v5
	global_load_b128 v[22:25], v[16:17], off
	s_wait_kmcnt 0x0
	global_load_b32 v26, v5, s[4:5] scale_offset
	s_wait_xcnt 0x1
	v_add_nc_u64_e32 v[16:17], 0x80, v[16:17]
	s_wait_loadcnt 0x0
	v_dot4_i32_iu8 v11, v26, v23, v11 neg_lo:[1,1,0]
	v_dot4_i32_iu8 v10, v26, v22, v10 neg_lo:[1,1,0]
	;; [unrolled: 1-line block ×4, first 2 shown]
	s_and_not1_b32 exec_lo, exec_lo, s7
	s_cbranch_execnz .LBB66_25
; %bb.26:
	s_or_b32 exec_lo, exec_lo, s7
.LBB66_27:
	s_delay_alu instid0(SALU_CYCLE_1)
	s_or_b32 exec_lo, exec_lo, s6
.LBB66_28:
	s_delay_alu instid0(SALU_CYCLE_1)
	s_or_b32 exec_lo, exec_lo, s3
	s_cbranch_execz .LBB66_30
	s_branch .LBB66_41
.LBB66_29:
                                        ; implicit-def: $vgpr7
                                        ; implicit-def: $vgpr11
.LBB66_30:
	v_dual_mov_b32 v7, 0 :: v_dual_mov_b32 v6, 0
	v_dual_mov_b32 v11, 0 :: v_dual_mov_b32 v10, 0
	s_and_saveexec_b32 s3, s2
	s_cbranch_execz .LBB66_40
; %bb.31:
	v_dual_mov_b32 v7, v1 :: v_dual_bitop2_b32 v6, 8, v0 bitop3:0x54
	v_sub_nc_u64_e32 v[10:11], s[12:13], v[0:1]
	s_delay_alu instid0(VALU_DEP_2) | instskip(NEXT) | instid1(VALU_DEP_1)
	v_sub_nc_u64_e64 v[6:7], v[6:7], s[12:13]
	v_add_nc_u64_e32 v[6:7], v[6:7], v[12:13]
	v_not_b32_e32 v13, v13
	v_not_b32_e32 v12, v12
	s_delay_alu instid0(VALU_DEP_1) | instskip(NEXT) | instid1(VALU_DEP_4)
	v_add_nc_u64_e32 v[10:11], v[10:11], v[12:13]
	v_max_i64 v[6:7], v[6:7], v[14:15]
	s_delay_alu instid0(VALU_DEP_1) | instskip(SKIP_1) | instid1(VALU_DEP_2)
	v_add_nc_u64_e32 v[10:11], v[10:11], v[6:7]
	v_mov_b64_e32 v[6:7], 0
	v_lshrrev_b64 v[12:13], 3, v[10:11]
	v_cmp_lt_u64_e32 vcc_lo, 23, v[10:11]
	v_mov_b64_e32 v[10:11], 0
	s_delay_alu instid0(VALU_DEP_3)
	v_add_nc_u64_e32 v[12:13], 1, v[12:13]
	s_and_saveexec_b32 s2, vcc_lo
	s_cbranch_execz .LBB66_35
; %bb.32:
	v_lshl_add_u64 v[10:11], v[8:9], 2, s[8:9]
	s_delay_alu instid0(VALU_DEP_2) | instskip(SKIP_1) | instid1(VALU_DEP_3)
	v_dual_mov_b32 v15, v13 :: v_dual_bitop2_b32 v14, -4, v12 bitop3:0x40
	v_dual_mov_b32 v7, 0 :: v_dual_mov_b32 v6, 0
	v_add_nc_u64_e32 v[16:17], 64, v[10:11]
	v_dual_mov_b32 v11, 0 :: v_dual_mov_b32 v10, 0
	s_mov_b32 s6, 0
.LBB66_33:                              ; =>This Inner Loop Header: Depth=1
	s_clause 0x3
	global_load_b32 v1, v[16:17], off offset:-64
	global_load_b32 v5, v[16:17], off offset:-32
	global_load_b32 v13, v[16:17], off
	global_load_b32 v34, v[16:17], off offset:32
	s_clause 0x2
	global_load_b128 v[18:21], v[2:3], off
	global_load_b128 v[22:25], v[2:3], off offset:128
	global_load_b128 v[26:29], v[2:3], off offset:256
	v_add_nc_u64_e32 v[14:15], -4, v[14:15]
	v_add_nc_u64_e32 v[8:9], 32, v[8:9]
	s_wait_xcnt 0x3
	v_add_nc_u64_e32 v[16:17], 0x80, v[16:17]
	s_delay_alu instid0(VALU_DEP_3)
	v_cmp_eq_u64_e32 vcc_lo, 0, v[14:15]
	s_or_b32 s6, vcc_lo, s6
	s_wait_loadcnt 0x6
	v_subrev_nc_u32_e32 v1, s12, v1
	s_wait_loadcnt 0x5
	v_subrev_nc_u32_e32 v5, s12, v5
	;; [unrolled: 2-line block ×3, first 2 shown]
	s_wait_kmcnt 0x0
	s_clause 0x2
	global_load_b32 v35, v1, s[4:5] scale_offset
	global_load_b32 v36, v5, s[4:5] scale_offset
	;; [unrolled: 1-line block ×3, first 2 shown]
	global_load_b128 v[30:33], v[2:3], off offset:384
	s_wait_loadcnt 0x7
	s_wait_xcnt 0x3
	v_subrev_nc_u32_e32 v1, s12, v34
	s_wait_loadcnt 0x6
	s_wait_xcnt 0x2
	v_perm_b32 v5, v20, v19, 0xc05010c
	s_wait_xcnt 0x1
	v_perm_b32 v13, v18, v18, 0xc0c0c01
	v_perm_b32 v34, v20, v19, 0xc04000c
	;; [unrolled: 1-line block ×3, first 2 shown]
	global_load_b32 v1, v1, s[4:5] scale_offset
	s_wait_loadcnt 0x6
	v_perm_b32 v39, v22, v21, 0xc0c0400
	v_perm_b32 v40, v24, v23, 0x4000c0c
	v_perm_b32 v41, v22, v21, 0xc0c0501
	v_perm_b32 v42, v24, v23, 0x5010c0c
	s_wait_loadcnt 0x5
	v_dual_lshrrev_b32 v43, 8, v29 :: v_dual_lshrrev_b32 v44, 24, v29
	v_lshrrev_b32_e32 v45, 16, v29
	v_perm_b32 v46, v26, v25, 0xc0c0501
	v_perm_b32 v48, v26, v25, 0xc0c0400
	;; [unrolled: 1-line block ×16, first 2 shown]
	v_bfe_i32 v27, v29, 0, 8
	v_or_b32_e32 v5, v5, v13
	v_or_b32_e32 v13, v34, v38
	;; [unrolled: 1-line block ×7, first 2 shown]
	v_bfe_i32 v23, v43, 0, 8
	v_bfe_i32 v24, v45, 0, 8
	;; [unrolled: 1-line block ×3, first 2 shown]
	s_wait_xcnt 0x1
	v_add_nc_u64_e32 v[2:3], 0x200, v[2:3]
	v_perm_b32 v23, v23, v27, 0x5040100
	s_delay_alu instid0(VALU_DEP_3)
	v_perm_b32 v24, v25, v24, 0x5040100
	s_wait_loadcnt 0x4
	v_perm_b32 v25, v35, v35, 0xc020100
	s_wait_loadcnt 0x3
	;; [unrolled: 2-line block ×4, first 2 shown]
	v_perm_b32 v28, v31, v30, 0xc0c0501
	v_perm_b32 v29, v33, v32, 0x5010c0c
	;; [unrolled: 1-line block ×8, first 2 shown]
	v_dual_lshrrev_b32 v27, 24, v37 :: v_dual_bitop2_b32 v32, v40, v39 bitop3:0x54
	v_dot4_i32_iu8 v5, v25, v5, v11 neg_lo:[1,1,0]
	v_dot4_i32_iu8 v10, v25, v13, v10 neg_lo:[1,1,0]
	;; [unrolled: 1-line block ×3, first 2 shown]
	v_or_b32_e32 v26, v29, v28
	v_bfe_i32 v11, v27, 0, 8
	v_or_b32_e32 v28, v54, v53
	v_dot4_i32_iu8 v10, v35, v32, v10 neg_lo:[1,1,0]
	v_dot4_i32_iu8 v6, v35, v19, v6 neg_lo:[1,1,0]
	v_or_b32_e32 v29, v56, v55
	v_pk_mul_lo_u16 v13, v11, v23 op_sel_hi:[0,1]
	v_pk_mul_lo_u16 v11, v11, v24 op_sel_hi:[0,1]
	v_or_b32_e32 v33, v42, v41
	v_dot4_i32_iu8 v6, v36, v22, v6 neg_lo:[1,1,0]
	s_delay_alu instid0(VALU_DEP_4) | instskip(NEXT) | instid1(VALU_DEP_4)
	v_dual_ashrrev_i32 v18, 16, v13 :: v_dual_bitop2_b32 v39, v50, v51 bitop3:0x54
	v_ashrrev_i32_e32 v19, 16, v11
	s_delay_alu instid0(VALU_DEP_4) | instskip(SKIP_3) | instid1(VALU_DEP_2)
	v_dot4_i32_iu8 v5, v35, v33, v5 neg_lo:[1,1,0]
	v_bfe_i32 v13, v13, 0, 16
	v_bfe_i32 v11, v11, 0, 16
	v_dot4_i32_iu8 v7, v25, v39, v7 neg_lo:[1,1,0]
	v_add_nc_u32_e32 v6, v6, v11
	s_delay_alu instid0(VALU_DEP_2) | instskip(SKIP_1) | instid1(VALU_DEP_2)
	v_dot4_i32_iu8 v7, v35, v20, v7 neg_lo:[1,1,0]
	v_or_b32_e32 v20, v31, v30
	v_dot4_i32_iu8 v7, v36, v21, v7 neg_lo:[1,1,0]
	v_or_b32_e32 v38, v49, v48
	s_wait_loadcnt 0x0
	s_delay_alu instid0(VALU_DEP_3) | instskip(NEXT) | instid1(VALU_DEP_3)
	v_dot4_i32_iu8 v6, v1, v20, v6 neg_lo:[1,1,0]
	v_add_nc_u32_e32 v7, v7, v19
	s_delay_alu instid0(VALU_DEP_3) | instskip(SKIP_1) | instid1(VALU_DEP_3)
	v_dot4_i32_iu8 v10, v36, v38, v10 neg_lo:[1,1,0]
	v_or_b32_e32 v34, v47, v46
	v_dot4_i32_iu8 v7, v1, v29, v7 neg_lo:[1,1,0]
	s_delay_alu instid0(VALU_DEP_3) | instskip(NEXT) | instid1(VALU_DEP_3)
	v_add_nc_u32_e32 v10, v10, v13
	v_dot4_i32_iu8 v5, v36, v34, v5 neg_lo:[1,1,0]
	s_delay_alu instid0(VALU_DEP_2) | instskip(NEXT) | instid1(VALU_DEP_2)
	v_dot4_i32_iu8 v10, v1, v28, v10 neg_lo:[1,1,0]
	v_add_nc_u32_e32 v5, v5, v18
	s_delay_alu instid0(VALU_DEP_1)
	v_dot4_i32_iu8 v11, v1, v26, v5 neg_lo:[1,1,0]
	s_and_not1_b32 exec_lo, exec_lo, s6
	s_cbranch_execnz .LBB66_33
; %bb.34:
	s_or_b32 exec_lo, exec_lo, s6
.LBB66_35:
	s_delay_alu instid0(SALU_CYCLE_1) | instskip(NEXT) | instid1(VALU_DEP_1)
	s_or_b32 exec_lo, exec_lo, s2
	v_dual_mov_b32 v13, 0 :: v_dual_bitop2_b32 v12, 3, v12 bitop3:0x40
	s_mov_b32 s2, exec_lo
	s_delay_alu instid0(VALU_DEP_1)
	v_cmpx_ne_u64_e32 0, v[12:13]
	s_cbranch_execz .LBB66_39
; %bb.36:
	v_lshl_add_u64 v[8:9], v[8:9], 2, s[8:9]
	v_lshlrev_b32_e32 v12, 2, v12
	s_mov_b32 s6, 0
.LBB66_37:                              ; =>This Inner Loop Header: Depth=1
	global_load_b32 v1, v[8:9], off
	global_load_b128 v[14:17], v[2:3], off
	v_add_nc_u64_e32 v[12:13], -4, v[12:13]
	s_wait_xcnt 0x0
	v_add_nc_u64_e32 v[2:3], 0x80, v[2:3]
	v_add_nc_u64_e32 v[8:9], 32, v[8:9]
	s_delay_alu instid0(VALU_DEP_3)
	v_cmp_eq_u64_e32 vcc_lo, 0, v[12:13]
	s_or_b32 s6, vcc_lo, s6
	s_wait_loadcnt 0x1
	v_subrev_nc_u32_e32 v1, s12, v1
	s_wait_loadcnt 0x0
	v_perm_b32 v5, v15, v14, 0xc0c0501
	v_perm_b32 v18, v17, v16, 0x5010c0c
	;; [unrolled: 1-line block ×4, first 2 shown]
	s_wait_kmcnt 0x0
	global_load_b32 v1, v1, s[4:5] scale_offset
	v_perm_b32 v21, v15, v14, 0xc0c0703
	v_perm_b32 v22, v17, v16, 0x7030c0c
	;; [unrolled: 1-line block ×4, first 2 shown]
	v_or_b32_e32 v5, v18, v5
	v_or_b32_e32 v16, v20, v19
	;; [unrolled: 1-line block ×3, first 2 shown]
	s_delay_alu instid0(VALU_DEP_4)
	v_or_b32_e32 v14, v15, v14
	s_wait_loadcnt 0x0
	v_dot4_i32_iu8 v11, v1, v5, v11 neg_lo:[1,1,0]
	v_dot4_i32_iu8 v10, v1, v16, v10 neg_lo:[1,1,0]
	;; [unrolled: 1-line block ×4, first 2 shown]
	s_and_not1_b32 exec_lo, exec_lo, s6
	s_cbranch_execnz .LBB66_37
; %bb.38:
	s_or_b32 exec_lo, exec_lo, s6
.LBB66_39:
	s_delay_alu instid0(SALU_CYCLE_1)
	s_or_b32 exec_lo, exec_lo, s2
.LBB66_40:
	s_delay_alu instid0(SALU_CYCLE_1)
	s_or_b32 exec_lo, exec_lo, s3
.LBB66_41:
	v_mbcnt_lo_u32_b32 v1, -1, 0
	s_mov_b32 s2, -1
	s_delay_alu instid0(VALU_DEP_1) | instskip(SKIP_1) | instid1(VALU_DEP_2)
	v_xor_b32_e32 v2, 4, v1
	v_xor_b32_e32 v9, 2, v1
	v_cmp_gt_i32_e32 vcc_lo, 32, v2
	v_cndmask_b32_e32 v2, v1, v2, vcc_lo
	s_delay_alu instid0(VALU_DEP_3) | instskip(NEXT) | instid1(VALU_DEP_2)
	v_cmp_gt_i32_e32 vcc_lo, 32, v9
	v_dual_cndmask_b32 v9, v1, v9 :: v_dual_lshlrev_b32 v2, 2, v2
	ds_bpermute_b32 v3, v2, v10
	ds_bpermute_b32 v5, v2, v11
	ds_bpermute_b32 v8, v2, v6
	ds_bpermute_b32 v2, v2, v7
	s_wait_dscnt 0x3
	v_dual_lshlrev_b32 v9, 2, v9 :: v_dual_add_nc_u32 v3, v3, v10
	s_wait_dscnt 0x1
	v_dual_add_nc_u32 v5, v5, v11 :: v_dual_add_nc_u32 v6, v8, v6
	s_wait_dscnt 0x0
	v_add_nc_u32_e32 v7, v2, v7
	ds_bpermute_b32 v2, v9, v3
	ds_bpermute_b32 v8, v9, v5
	;; [unrolled: 1-line block ×4, first 2 shown]
	s_wait_dscnt 0x3
	v_dual_add_nc_u32 v2, v2, v3 :: v_dual_bitop2_b32 v11, 1, v1 bitop3:0x14
	s_delay_alu instid0(VALU_DEP_1) | instskip(SKIP_4) | instid1(VALU_DEP_2)
	v_cmp_gt_i32_e32 vcc_lo, 32, v11
	s_wait_dscnt 0x0
	v_add_nc_u32_e32 v3, v9, v7
	v_cndmask_b32_e32 v1, v1, v11, vcc_lo
	v_cmp_eq_u32_e32 vcc_lo, 7, v0
	v_lshlrev_b32_e32 v11, 2, v1
	v_dual_add_nc_u32 v1, v8, v5 :: v_dual_add_nc_u32 v5, v10, v6
	ds_bpermute_b32 v8, v11, v2
	ds_bpermute_b32 v9, v11, v1
	;; [unrolled: 1-line block ×4, first 2 shown]
	s_and_b32 exec_lo, exec_lo, vcc_lo
	s_cbranch_execz .LBB66_14
; %bb.42:
	s_load_b64 s[0:1], s[0:1], 0x50
	s_wait_dscnt 0x2
	v_dual_add_nc_u32 v0, v8, v2 :: v_dual_add_nc_u32 v1, v9, v1
	s_wait_dscnt 0x0
	v_dual_add_nc_u32 v2, v6, v5 :: v_dual_add_nc_u32 v3, v7, v3
	v_lshlrev_b32_e32 v4, 2, v4
	s_delay_alu instid0(VALU_DEP_3) | instskip(SKIP_1) | instid1(VALU_DEP_4)
	v_mul_lo_u32 v0, v0, s14
	v_mul_lo_u32 v1, v1, s14
	;; [unrolled: 1-line block ×4, first 2 shown]
	s_cmp_eq_u32 s15, 0
	s_cbranch_scc1 .LBB66_44
; %bb.43:
	v_ashrrev_i32_e32 v5, 31, v4
	s_mov_b32 s2, 0
	s_wait_kmcnt 0x0
	s_delay_alu instid0(VALU_DEP_1)
	v_lshl_add_u64 v[10:11], v[4:5], 2, s[0:1]
	global_load_b128 v[6:9], v[10:11], off
	s_wait_loadcnt 0x0
	v_mad_u32 v7, v7, s15, v1
	v_mad_u32 v6, v6, s15, v0
	;; [unrolled: 1-line block ×4, first 2 shown]
	global_store_b128 v[10:11], v[6:9], off
.LBB66_44:
	s_and_not1_b32 vcc_lo, exec_lo, s2
	s_cbranch_vccnz .LBB66_14
; %bb.45:
	v_ashrrev_i32_e32 v5, 31, v4
	s_wait_kmcnt 0x0
	s_delay_alu instid0(VALU_DEP_1)
	v_lshl_add_u64 v[4:5], v[4:5], 2, s[0:1]
	global_store_b128 v[4:5], v[0:3], off
	s_sendmsg sendmsg(MSG_DEALLOC_VGPRS)
	s_endpgm
	.section	.rodata,"a",@progbits
	.p2align	6, 0x0
	.amdhsa_kernel _ZN9rocsparseL18bsrxmvn_4x4_kernelILj128ELj8EiliaaiEEvT3_20rocsparse_direction_NS_24const_host_device_scalarIT1_EES1_PKS1_PKT2_SA_S7_PKT4_PKT5_S5_PT6_21rocsparse_index_base_b
		.amdhsa_group_segment_fixed_size 0
		.amdhsa_private_segment_fixed_size 0
		.amdhsa_kernarg_size 96
		.amdhsa_user_sgpr_count 2
		.amdhsa_user_sgpr_dispatch_ptr 0
		.amdhsa_user_sgpr_queue_ptr 0
		.amdhsa_user_sgpr_kernarg_segment_ptr 1
		.amdhsa_user_sgpr_dispatch_id 0
		.amdhsa_user_sgpr_kernarg_preload_length 0
		.amdhsa_user_sgpr_kernarg_preload_offset 0
		.amdhsa_user_sgpr_private_segment_size 0
		.amdhsa_wavefront_size32 1
		.amdhsa_uses_dynamic_stack 0
		.amdhsa_enable_private_segment 0
		.amdhsa_system_sgpr_workgroup_id_x 1
		.amdhsa_system_sgpr_workgroup_id_y 0
		.amdhsa_system_sgpr_workgroup_id_z 0
		.amdhsa_system_sgpr_workgroup_info 0
		.amdhsa_system_vgpr_workitem_id 0
		.amdhsa_next_free_vgpr 66
		.amdhsa_next_free_sgpr 16
		.amdhsa_named_barrier_count 0
		.amdhsa_reserve_vcc 1
		.amdhsa_float_round_mode_32 0
		.amdhsa_float_round_mode_16_64 0
		.amdhsa_float_denorm_mode_32 3
		.amdhsa_float_denorm_mode_16_64 3
		.amdhsa_fp16_overflow 0
		.amdhsa_memory_ordered 1
		.amdhsa_forward_progress 1
		.amdhsa_inst_pref_size 30
		.amdhsa_round_robin_scheduling 0
		.amdhsa_exception_fp_ieee_invalid_op 0
		.amdhsa_exception_fp_denorm_src 0
		.amdhsa_exception_fp_ieee_div_zero 0
		.amdhsa_exception_fp_ieee_overflow 0
		.amdhsa_exception_fp_ieee_underflow 0
		.amdhsa_exception_fp_ieee_inexact 0
		.amdhsa_exception_int_div_zero 0
	.end_amdhsa_kernel
	.section	.text._ZN9rocsparseL18bsrxmvn_4x4_kernelILj128ELj8EiliaaiEEvT3_20rocsparse_direction_NS_24const_host_device_scalarIT1_EES1_PKS1_PKT2_SA_S7_PKT4_PKT5_S5_PT6_21rocsparse_index_base_b,"axG",@progbits,_ZN9rocsparseL18bsrxmvn_4x4_kernelILj128ELj8EiliaaiEEvT3_20rocsparse_direction_NS_24const_host_device_scalarIT1_EES1_PKS1_PKT2_SA_S7_PKT4_PKT5_S5_PT6_21rocsparse_index_base_b,comdat
.Lfunc_end66:
	.size	_ZN9rocsparseL18bsrxmvn_4x4_kernelILj128ELj8EiliaaiEEvT3_20rocsparse_direction_NS_24const_host_device_scalarIT1_EES1_PKS1_PKT2_SA_S7_PKT4_PKT5_S5_PT6_21rocsparse_index_base_b, .Lfunc_end66-_ZN9rocsparseL18bsrxmvn_4x4_kernelILj128ELj8EiliaaiEEvT3_20rocsparse_direction_NS_24const_host_device_scalarIT1_EES1_PKS1_PKT2_SA_S7_PKT4_PKT5_S5_PT6_21rocsparse_index_base_b
                                        ; -- End function
	.set _ZN9rocsparseL18bsrxmvn_4x4_kernelILj128ELj8EiliaaiEEvT3_20rocsparse_direction_NS_24const_host_device_scalarIT1_EES1_PKS1_PKT2_SA_S7_PKT4_PKT5_S5_PT6_21rocsparse_index_base_b.num_vgpr, 66
	.set _ZN9rocsparseL18bsrxmvn_4x4_kernelILj128ELj8EiliaaiEEvT3_20rocsparse_direction_NS_24const_host_device_scalarIT1_EES1_PKS1_PKT2_SA_S7_PKT4_PKT5_S5_PT6_21rocsparse_index_base_b.num_agpr, 0
	.set _ZN9rocsparseL18bsrxmvn_4x4_kernelILj128ELj8EiliaaiEEvT3_20rocsparse_direction_NS_24const_host_device_scalarIT1_EES1_PKS1_PKT2_SA_S7_PKT4_PKT5_S5_PT6_21rocsparse_index_base_b.numbered_sgpr, 16
	.set _ZN9rocsparseL18bsrxmvn_4x4_kernelILj128ELj8EiliaaiEEvT3_20rocsparse_direction_NS_24const_host_device_scalarIT1_EES1_PKS1_PKT2_SA_S7_PKT4_PKT5_S5_PT6_21rocsparse_index_base_b.num_named_barrier, 0
	.set _ZN9rocsparseL18bsrxmvn_4x4_kernelILj128ELj8EiliaaiEEvT3_20rocsparse_direction_NS_24const_host_device_scalarIT1_EES1_PKS1_PKT2_SA_S7_PKT4_PKT5_S5_PT6_21rocsparse_index_base_b.private_seg_size, 0
	.set _ZN9rocsparseL18bsrxmvn_4x4_kernelILj128ELj8EiliaaiEEvT3_20rocsparse_direction_NS_24const_host_device_scalarIT1_EES1_PKS1_PKT2_SA_S7_PKT4_PKT5_S5_PT6_21rocsparse_index_base_b.uses_vcc, 1
	.set _ZN9rocsparseL18bsrxmvn_4x4_kernelILj128ELj8EiliaaiEEvT3_20rocsparse_direction_NS_24const_host_device_scalarIT1_EES1_PKS1_PKT2_SA_S7_PKT4_PKT5_S5_PT6_21rocsparse_index_base_b.uses_flat_scratch, 0
	.set _ZN9rocsparseL18bsrxmvn_4x4_kernelILj128ELj8EiliaaiEEvT3_20rocsparse_direction_NS_24const_host_device_scalarIT1_EES1_PKS1_PKT2_SA_S7_PKT4_PKT5_S5_PT6_21rocsparse_index_base_b.has_dyn_sized_stack, 0
	.set _ZN9rocsparseL18bsrxmvn_4x4_kernelILj128ELj8EiliaaiEEvT3_20rocsparse_direction_NS_24const_host_device_scalarIT1_EES1_PKS1_PKT2_SA_S7_PKT4_PKT5_S5_PT6_21rocsparse_index_base_b.has_recursion, 0
	.set _ZN9rocsparseL18bsrxmvn_4x4_kernelILj128ELj8EiliaaiEEvT3_20rocsparse_direction_NS_24const_host_device_scalarIT1_EES1_PKS1_PKT2_SA_S7_PKT4_PKT5_S5_PT6_21rocsparse_index_base_b.has_indirect_call, 0
	.section	.AMDGPU.csdata,"",@progbits
; Kernel info:
; codeLenInByte = 3828
; TotalNumSgprs: 18
; NumVgprs: 66
; ScratchSize: 0
; MemoryBound: 0
; FloatMode: 240
; IeeeMode: 1
; LDSByteSize: 0 bytes/workgroup (compile time only)
; SGPRBlocks: 0
; VGPRBlocks: 4
; NumSGPRsForWavesPerEU: 18
; NumVGPRsForWavesPerEU: 66
; NamedBarCnt: 0
; Occupancy: 12
; WaveLimiterHint : 1
; COMPUTE_PGM_RSRC2:SCRATCH_EN: 0
; COMPUTE_PGM_RSRC2:USER_SGPR: 2
; COMPUTE_PGM_RSRC2:TRAP_HANDLER: 0
; COMPUTE_PGM_RSRC2:TGID_X_EN: 1
; COMPUTE_PGM_RSRC2:TGID_Y_EN: 0
; COMPUTE_PGM_RSRC2:TGID_Z_EN: 0
; COMPUTE_PGM_RSRC2:TIDIG_COMP_CNT: 0
	.section	.text._ZN9rocsparseL18bsrxmvn_4x4_kernelILj128ELj16EiliaaiEEvT3_20rocsparse_direction_NS_24const_host_device_scalarIT1_EES1_PKS1_PKT2_SA_S7_PKT4_PKT5_S5_PT6_21rocsparse_index_base_b,"axG",@progbits,_ZN9rocsparseL18bsrxmvn_4x4_kernelILj128ELj16EiliaaiEEvT3_20rocsparse_direction_NS_24const_host_device_scalarIT1_EES1_PKS1_PKT2_SA_S7_PKT4_PKT5_S5_PT6_21rocsparse_index_base_b,comdat
	.globl	_ZN9rocsparseL18bsrxmvn_4x4_kernelILj128ELj16EiliaaiEEvT3_20rocsparse_direction_NS_24const_host_device_scalarIT1_EES1_PKS1_PKT2_SA_S7_PKT4_PKT5_S5_PT6_21rocsparse_index_base_b ; -- Begin function _ZN9rocsparseL18bsrxmvn_4x4_kernelILj128ELj16EiliaaiEEvT3_20rocsparse_direction_NS_24const_host_device_scalarIT1_EES1_PKS1_PKT2_SA_S7_PKT4_PKT5_S5_PT6_21rocsparse_index_base_b
	.p2align	8
	.type	_ZN9rocsparseL18bsrxmvn_4x4_kernelILj128ELj16EiliaaiEEvT3_20rocsparse_direction_NS_24const_host_device_scalarIT1_EES1_PKS1_PKT2_SA_S7_PKT4_PKT5_S5_PT6_21rocsparse_index_base_b,@function
_ZN9rocsparseL18bsrxmvn_4x4_kernelILj128ELj16EiliaaiEEvT3_20rocsparse_direction_NS_24const_host_device_scalarIT1_EES1_PKS1_PKT2_SA_S7_PKT4_PKT5_S5_PT6_21rocsparse_index_base_b: ; @_ZN9rocsparseL18bsrxmvn_4x4_kernelILj128ELj16EiliaaiEEvT3_20rocsparse_direction_NS_24const_host_device_scalarIT1_EES1_PKS1_PKT2_SA_S7_PKT4_PKT5_S5_PT6_21rocsparse_index_base_b
; %bb.0:
	s_clause 0x1
	s_load_b64 s[12:13], s[0:1], 0x58
	s_load_b64 s[4:5], s[0:1], 0x8
	s_mov_b32 s7, -1
                                        ; implicit-def: $sgpr14
	s_wait_kmcnt 0x0
	s_bitcmp1_b32 s13, 0
	s_cselect_b32 s2, -1, 0
	s_delay_alu instid0(SALU_CYCLE_1) | instskip(NEXT) | instid1(SALU_CYCLE_1)
	s_xor_b32 s6, s2, -1
	s_and_b32 vcc_lo, exec_lo, s6
	s_cbranch_vccnz .LBB67_4
; %bb.1:
	s_load_b64 s[2:3], s[0:1], 0x48
	s_and_not1_b32 vcc_lo, exec_lo, s7
	s_cbranch_vccz .LBB67_5
.LBB67_2:
	s_and_b32 vcc_lo, exec_lo, s6
	s_cbranch_vccz .LBB67_6
.LBB67_3:
	s_wait_kmcnt 0x0
	s_load_b32 s15, s[2:3], 0x0
	s_wait_xcnt 0x0
	s_cbranch_execz .LBB67_7
	s_branch .LBB67_8
.LBB67_4:
	s_load_b32 s14, s[4:5], 0x0
	s_load_b64 s[2:3], s[0:1], 0x48
	s_cbranch_execnz .LBB67_2
.LBB67_5:
	s_wait_kmcnt 0x0
	s_mov_b32 s14, s4
	s_and_b32 vcc_lo, exec_lo, s6
	s_cbranch_vccnz .LBB67_3
.LBB67_6:
	s_wait_kmcnt 0x0
                                        ; implicit-def: $sgpr15
.LBB67_7:
	s_wait_kmcnt 0x0
	s_mov_b32 s15, s2
.LBB67_8:
	s_cmp_lg_u32 s14, 0
	s_mov_b32 s6, 0
	s_cselect_b32 s2, -1, 0
	s_wait_kmcnt 0x0
	s_cmp_lg_u32 s15, 1
	s_cselect_b32 s3, -1, 0
	s_delay_alu instid0(SALU_CYCLE_1) | instskip(NEXT) | instid1(SALU_CYCLE_1)
	s_or_b32 s2, s2, s3
	s_and_not1_b32 vcc_lo, exec_lo, s2
	s_cbranch_vccnz .LBB67_14
; %bb.9:
	s_clause 0x1
	s_load_b64 s[4:5], s[0:1], 0x18
	s_load_b64 s[2:3], s[0:1], 0x0
	s_bfe_u32 s7, ttmp6, 0x4000c
	s_and_b32 s8, ttmp6, 15
	s_add_co_i32 s7, s7, 1
	s_getreg_b32 s9, hwreg(HW_REG_IB_STS2, 6, 4)
	s_mul_i32 s7, ttmp9, s7
	v_lshrrev_b32_e32 v1, 4, v0
	s_add_co_i32 s8, s8, s7
	s_cmp_eq_u32 s9, 0
	s_cselect_b32 s7, ttmp9, s8
	s_delay_alu instid0(VALU_DEP_1) | instid1(SALU_CYCLE_1)
	v_lshl_or_b32 v4, s7, 3, v1
	s_wait_kmcnt 0x0
	s_cmp_lg_u64 s[4:5], 0
	s_cbranch_scc0 .LBB67_15
; %bb.10:
	s_load_b32 s6, s[0:1], 0x10
	s_mov_b32 s7, 0
                                        ; implicit-def: $vgpr1
	s_wait_kmcnt 0x0
	v_cmp_gt_i32_e32 vcc_lo, s6, v4
	s_mov_b32 s6, 0
	s_and_saveexec_b32 s8, vcc_lo
	s_delay_alu instid0(SALU_CYCLE_1)
	s_xor_b32 s8, exec_lo, s8
	s_cbranch_execz .LBB67_12
; %bb.11:
	global_load_b32 v1, v4, s[4:5] scale_offset
	s_mov_b32 s6, exec_lo
	s_wait_loadcnt 0x0
	v_subrev_nc_u32_e32 v1, s12, v1
.LBB67_12:
	s_or_b32 exec_lo, exec_lo, s8
	s_delay_alu instid0(SALU_CYCLE_1)
	s_and_b32 vcc_lo, exec_lo, s7
	s_cbranch_vccz .LBB67_16
.LBB67_13:
	v_cmp_gt_i32_e32 vcc_lo, s2, v4
	s_and_not1_b32 s2, s6, exec_lo
	s_and_b32 s4, vcc_lo, exec_lo
	s_delay_alu instid0(SALU_CYCLE_1) | instskip(NEXT) | instid1(SALU_CYCLE_1)
	s_or_b32 s6, s2, s4
	s_and_saveexec_b32 s2, s6
	s_cbranch_execnz .LBB67_17
.LBB67_14:
	s_endpgm
.LBB67_15:
                                        ; implicit-def: $vgpr1
	s_cbranch_execnz .LBB67_13
.LBB67_16:
	s_delay_alu instid0(VALU_DEP_1)
	v_mov_b32_e32 v4, v1
	s_and_saveexec_b32 s2, s6
	s_cbranch_execz .LBB67_14
.LBB67_17:
	s_load_b256 s[4:11], s[0:1], 0x20
	s_mov_b32 s13, 0
	v_dual_mov_b32 v1, 0 :: v_dual_bitop2_b32 v0, 15, v0 bitop3:0x40
	s_wait_kmcnt 0x0
	s_cmp_eq_u64 s[6:7], 0
	global_load_b64 v[8:9], v4, s[4:5] scale_offset
	s_cselect_b32 vcc_lo, -1, 0
	v_ashrrev_i32_e32 v5, 31, v4
	s_cmp_eq_u32 s3, 1
	s_delay_alu instid0(VALU_DEP_1) | instskip(NEXT) | instid1(VALU_DEP_1)
	v_lshlrev_b64_e32 v[2:3], 3, v[4:5]
	v_add_nc_u64_e32 v[6:7], s[4:5], v[2:3]
	v_add_nc_u64_e32 v[2:3], s[6:7], v[2:3]
	s_wait_xcnt 0x0
	s_load_b64 s[4:5], s[0:1], 0x40
	s_delay_alu instid0(VALU_DEP_2) | instskip(NEXT) | instid1(VALU_DEP_1)
	v_add_nc_u64_e32 v[6:7], 8, v[6:7]
	v_dual_cndmask_b32 v3, v3, v7 :: v_dual_cndmask_b32 v2, v2, v6
	global_load_b64 v[2:3], v[2:3], off
	s_wait_loadcnt 0x1
	v_sub_nc_u64_e64 v[6:7], v[8:9], s[12:13]
	s_delay_alu instid0(VALU_DEP_1) | instskip(SKIP_2) | instid1(VALU_DEP_2)
	v_add_nc_u64_e32 v[6:7], v[6:7], v[0:1]
	s_wait_loadcnt 0x0
	v_sub_nc_u64_e64 v[10:11], v[2:3], s[12:13]
	v_lshl_add_u64 v[2:3], v[6:7], 4, s[10:11]
	s_delay_alu instid0(VALU_DEP_2)
	v_cmp_lt_i64_e64 s2, v[6:7], v[10:11]
	s_cbranch_scc1 .LBB67_29
; %bb.18:
	v_dual_mov_b32 v22, v1 :: v_dual_mov_b32 v23, v1
	v_dual_mov_b32 v24, v1 :: v_dual_mov_b32 v5, v1
	s_and_saveexec_b32 s3, s2
	s_cbranch_execz .LBB67_28
; %bb.19:
	v_dual_mov_b32 v13, v1 :: v_dual_bitop2_b32 v12, 16, v0 bitop3:0x54
	v_sub_nc_u64_e32 v[14:15], s[12:13], v[0:1]
	v_not_b32_e32 v17, v9
	v_not_b32_e32 v16, v8
	v_dual_mov_b32 v5, 0 :: v_dual_mov_b32 v24, 0
	v_sub_nc_u64_e64 v[12:13], v[12:13], s[12:13]
	v_dual_mov_b32 v23, 0 :: v_dual_mov_b32 v22, 0
	s_delay_alu instid0(VALU_DEP_4) | instskip(SKIP_1) | instid1(VALU_DEP_4)
	v_add_nc_u64_e32 v[14:15], v[14:15], v[16:17]
	v_mov_b64_e32 v[16:17], v[6:7]
	v_add_nc_u64_e32 v[12:13], v[12:13], v[8:9]
	s_delay_alu instid0(VALU_DEP_1) | instskip(NEXT) | instid1(VALU_DEP_1)
	v_max_i64 v[12:13], v[12:13], v[10:11]
	v_add_nc_u64_e32 v[12:13], v[14:15], v[12:13]
	s_delay_alu instid0(VALU_DEP_1) | instskip(SKIP_2) | instid1(VALU_DEP_3)
	v_lshrrev_b64 v[14:15], 4, v[12:13]
	v_cmp_lt_u64_e32 vcc_lo, 47, v[12:13]
	v_mov_b64_e32 v[12:13], v[2:3]
	v_add_nc_u64_e32 v[14:15], 1, v[14:15]
	s_and_saveexec_b32 s6, vcc_lo
	s_cbranch_execz .LBB67_23
; %bb.20:
	v_lshl_add_u64 v[12:13], v[6:7], 2, s[8:9]
	v_mov_b64_e32 v[16:17], v[6:7]
	s_delay_alu instid0(VALU_DEP_3) | instskip(SKIP_1) | instid1(VALU_DEP_4)
	v_dual_mov_b32 v19, v15 :: v_dual_bitop2_b32 v18, -4, v14 bitop3:0x40
	v_dual_mov_b32 v22, 0 :: v_dual_mov_b32 v23, 0
	v_add_nc_u64_e32 v[20:21], 0x80, v[12:13]
	v_mov_b64_e32 v[12:13], v[2:3]
	v_dual_mov_b32 v24, 0 :: v_dual_mov_b32 v5, 0
	s_mov_b32 s7, 0
.LBB67_21:                              ; =>This Inner Loop Header: Depth=1
	s_clause 0x3
	global_load_b32 v15, v[20:21], off offset:-128
	global_load_b32 v25, v[20:21], off offset:-64
	global_load_b32 v42, v[20:21], off
	global_load_b32 v43, v[20:21], off offset:64
	global_load_b128 v[26:29], v[12:13], off
	v_add_nc_u64_e32 v[18:19], -4, v[18:19]
	v_add_nc_u64_e32 v[16:17], 64, v[16:17]
	s_wait_xcnt 0x1
	v_add_nc_u64_e32 v[20:21], 0x100, v[20:21]
	s_delay_alu instid0(VALU_DEP_3)
	v_cmp_eq_u64_e32 vcc_lo, 0, v[18:19]
	s_or_b32 s7, vcc_lo, s7
	s_wait_loadcnt 0x4
	v_subrev_nc_u32_e32 v15, s12, v15
	s_wait_kmcnt 0x0
	global_load_b32 v44, v15, s[4:5] scale_offset
	s_clause 0x2
	global_load_b128 v[30:33], v[12:13], off offset:768
	global_load_b128 v[34:37], v[12:13], off offset:512
	;; [unrolled: 1-line block ×3, first 2 shown]
	s_wait_loadcnt 0x7
	s_wait_xcnt 0x3
	v_subrev_nc_u32_e32 v15, s12, v25
	s_wait_loadcnt 0x6
	v_subrev_nc_u32_e32 v25, s12, v42
	s_wait_loadcnt 0x5
	;; [unrolled: 2-line block ×3, first 2 shown]
	v_perm_b32 v47, v26, v26, 0xc0c0100
	s_clause 0x2
	global_load_b32 v43, v15, s[4:5] scale_offset
	global_load_b32 v45, v42, s[4:5] scale_offset
	;; [unrolled: 1-line block ×3, first 2 shown]
	s_wait_xcnt 0x2
	v_perm_b32 v15, v29, v29, 0xc0c0100
	s_wait_xcnt 0x0
	v_perm_b32 v25, v28, v28, 0xc0c0100
	v_perm_b32 v42, v27, v27, 0xc0c0100
	;; [unrolled: 1-line block ×6, first 2 shown]
	v_add_nc_u64_e32 v[12:13], 0x400, v[12:13]
	s_wait_loadcnt 0x6
	v_perm_b32 v52, v44, v44, 0xc0c0100
	v_perm_b32 v44, v44, v44, 0xc0c0302
	s_wait_loadcnt 0x5
	v_bfe_i32 v48, v30, 0, 8
	v_bfe_i32 v49, v31, 0, 8
	v_bfe_i32 v50, v32, 0, 8
	v_dot4_i32_iu8 v5, v52, v47, v5 neg_lo:[1,1,0]
	v_dot4_i32_iu8 v24, v42, v52, v24 neg_lo:[1,1,0]
	;; [unrolled: 1-line block ×4, first 2 shown]
	v_bfe_i32 v51, v33, 0, 8
	v_dot4_i32_iu8 v5, v44, v26, v5 neg_lo:[1,1,0]
	v_dot4_i32_iu8 v24, v44, v27, v24 neg_lo:[1,1,0]
	;; [unrolled: 1-line block ×4, first 2 shown]
	s_wait_loadcnt 0x1
	v_bfe_i32 v26, v45, 0, 8
	v_dot4_i32_iu8 v5, v43, v38, v5 neg_lo:[1,1,0]
	v_dot4_i32_iu8 v24, v43, v39, v24 neg_lo:[1,1,0]
	;; [unrolled: 1-line block ×4, first 2 shown]
	v_perm_b32 v30, v30, v30, 0xc030201
	s_wait_loadcnt 0x0
	v_dot4_i32_iu8 v5, v46, v34, v5 neg_lo:[1,1,0]
	v_dot4_i32_iu8 v24, v46, v35, v24 neg_lo:[1,1,0]
	v_dot4_i32_iu8 v23, v46, v36, v23 neg_lo:[1,1,0]
	v_dot4_i32_iu8 v15, v46, v37, v15 neg_lo:[1,1,0]
	v_perm_b32 v31, v31, v31, 0xc030201
	v_perm_b32 v22, v32, v32, 0xc030201
	;; [unrolled: 1-line block ×4, first 2 shown]
	v_mad_i32_i24 v5, v26, v48, v5
	v_mad_i32_i24 v24, v49, v26, v24
	;; [unrolled: 1-line block ×4, first 2 shown]
	s_delay_alu instid0(VALU_DEP_4) | instskip(NEXT) | instid1(VALU_DEP_4)
	v_dot4_i32_iu8 v5, v27, v30, v5 neg_lo:[1,1,0]
	v_dot4_i32_iu8 v24, v27, v31, v24 neg_lo:[1,1,0]
	s_delay_alu instid0(VALU_DEP_4) | instskip(NEXT) | instid1(VALU_DEP_4)
	v_dot4_i32_iu8 v23, v27, v22, v23 neg_lo:[1,1,0]
	v_dot4_i32_iu8 v22, v27, v25, v15 neg_lo:[1,1,0]
	s_and_not1_b32 exec_lo, exec_lo, s7
	s_cbranch_execnz .LBB67_21
; %bb.22:
	s_or_b32 exec_lo, exec_lo, s7
.LBB67_23:
	s_delay_alu instid0(SALU_CYCLE_1) | instskip(NEXT) | instid1(VALU_DEP_1)
	s_or_b32 exec_lo, exec_lo, s6
	v_dual_mov_b32 v15, 0 :: v_dual_bitop2_b32 v14, 3, v14 bitop3:0x40
	s_mov_b32 s6, exec_lo
	s_delay_alu instid0(VALU_DEP_1)
	v_cmpx_ne_u64_e32 0, v[14:15]
	s_cbranch_execz .LBB67_27
; %bb.24:
	v_lshl_add_u64 v[16:17], v[16:17], 2, s[8:9]
	v_lshlrev_b32_e32 v14, 2, v14
	s_mov_b32 s7, 0
.LBB67_25:                              ; =>This Inner Loop Header: Depth=1
	global_load_b32 v18, v[16:17], off
	v_add_nc_u64_e32 v[14:15], -4, v[14:15]
	s_wait_xcnt 0x0
	v_add_nc_u64_e32 v[16:17], 64, v[16:17]
	s_delay_alu instid0(VALU_DEP_2)
	v_cmp_eq_u64_e32 vcc_lo, 0, v[14:15]
	s_or_b32 s7, vcc_lo, s7
	s_wait_loadcnt 0x0
	v_subrev_nc_u32_e32 v25, s12, v18
	global_load_b128 v[18:21], v[12:13], off
	s_wait_kmcnt 0x0
	global_load_b32 v26, v25, s[4:5] scale_offset
	s_wait_xcnt 0x1
	v_add_nc_u64_e32 v[12:13], 0x100, v[12:13]
	s_wait_loadcnt 0x0
	v_dot4_i32_iu8 v5, v26, v18, v5 neg_lo:[1,1,0]
	v_dot4_i32_iu8 v24, v26, v19, v24 neg_lo:[1,1,0]
	;; [unrolled: 1-line block ×4, first 2 shown]
	s_and_not1_b32 exec_lo, exec_lo, s7
	s_cbranch_execnz .LBB67_25
; %bb.26:
	s_or_b32 exec_lo, exec_lo, s7
.LBB67_27:
	s_delay_alu instid0(SALU_CYCLE_1)
	s_or_b32 exec_lo, exec_lo, s6
.LBB67_28:
	s_delay_alu instid0(SALU_CYCLE_1)
	s_or_b32 exec_lo, exec_lo, s3
	s_cbranch_execz .LBB67_30
	s_branch .LBB67_41
.LBB67_29:
                                        ; implicit-def: $vgpr22
                                        ; implicit-def: $vgpr23
                                        ; implicit-def: $vgpr24
                                        ; implicit-def: $vgpr5
.LBB67_30:
	v_dual_mov_b32 v22, 0 :: v_dual_mov_b32 v23, 0
	v_dual_mov_b32 v24, 0 :: v_dual_mov_b32 v5, 0
	s_and_saveexec_b32 s3, s2
	s_cbranch_execz .LBB67_40
; %bb.31:
	v_dual_mov_b32 v13, v1 :: v_dual_bitop2_b32 v12, 16, v0 bitop3:0x54
	v_dual_mov_b32 v5, 0 :: v_dual_mov_b32 v24, 0
	v_dual_mov_b32 v23, 0 :: v_dual_mov_b32 v22, 0
	s_delay_alu instid0(VALU_DEP_3) | instskip(NEXT) | instid1(VALU_DEP_1)
	v_sub_nc_u64_e64 v[12:13], v[12:13], s[12:13]
	v_add_nc_u64_e32 v[12:13], v[12:13], v[8:9]
	v_not_b32_e32 v9, v9
	v_not_b32_e32 v8, v8
	s_delay_alu instid0(VALU_DEP_3) | instskip(SKIP_1) | instid1(VALU_DEP_1)
	v_max_i64 v[10:11], v[12:13], v[10:11]
	v_sub_nc_u64_e32 v[12:13], s[12:13], v[0:1]
	v_add_nc_u64_e32 v[8:9], v[12:13], v[8:9]
	s_delay_alu instid0(VALU_DEP_1) | instskip(NEXT) | instid1(VALU_DEP_1)
	v_add_nc_u64_e32 v[8:9], v[8:9], v[10:11]
	v_lshrrev_b64 v[10:11], 4, v[8:9]
	v_cmp_lt_u64_e32 vcc_lo, 47, v[8:9]
	s_delay_alu instid0(VALU_DEP_2)
	v_add_nc_u64_e32 v[8:9], 1, v[10:11]
	s_and_saveexec_b32 s2, vcc_lo
	s_cbranch_execz .LBB67_35
; %bb.32:
	v_lshl_add_u64 v[12:13], v[6:7], 2, s[8:9]
	s_delay_alu instid0(VALU_DEP_2) | instskip(SKIP_1) | instid1(VALU_DEP_3)
	v_dual_mov_b32 v11, v9 :: v_dual_bitop2_b32 v10, -4, v8 bitop3:0x40
	v_dual_mov_b32 v5, 0 :: v_dual_mov_b32 v24, 0
	v_add_nc_u64_e32 v[12:13], 0x80, v[12:13]
	v_dual_mov_b32 v23, 0 :: v_dual_mov_b32 v22, 0
	s_mov_b32 s6, 0
.LBB67_33:                              ; =>This Inner Loop Header: Depth=1
	s_clause 0x3
	global_load_b32 v1, v[12:13], off offset:-128
	global_load_b32 v9, v[12:13], off offset:-64
	global_load_b32 v25, v[12:13], off
	global_load_b32 v34, v[12:13], off offset:64
	s_clause 0x3
	global_load_b128 v[14:17], v[2:3], off
	global_load_b128 v[18:21], v[2:3], off offset:256
	global_load_b128 v[26:29], v[2:3], off offset:512
	;; [unrolled: 1-line block ×3, first 2 shown]
	v_add_nc_u64_e32 v[10:11], -4, v[10:11]
	s_wait_xcnt 0x0
	v_add_nc_u64_e32 v[2:3], 0x400, v[2:3]
	v_add_nc_u64_e32 v[6:7], 64, v[6:7]
	;; [unrolled: 1-line block ×3, first 2 shown]
	s_delay_alu instid0(VALU_DEP_4)
	v_cmp_eq_u64_e32 vcc_lo, 0, v[10:11]
	s_or_b32 s6, vcc_lo, s6
	s_wait_loadcnt 0x7
	v_subrev_nc_u32_e32 v1, s12, v1
	s_wait_loadcnt 0x6
	v_subrev_nc_u32_e32 v9, s12, v9
	;; [unrolled: 2-line block ×4, first 2 shown]
	s_wait_loadcnt 0x3
	v_ashrrev_i16 v39, 8, v15
	s_wait_loadcnt 0x2
	v_perm_b32 v44, v19, v18, 0xc0c0501
	v_perm_b32 v45, v21, v20, 0x5010c0c
	s_wait_kmcnt 0x0
	s_clause 0x3
	global_load_b32 v35, v1, s[4:5] scale_offset
	global_load_b32 v36, v34, s[4:5] scale_offset
	;; [unrolled: 1-line block ×4, first 2 shown]
	s_wait_xcnt 0x2
	v_dual_lshrrev_b32 v1, 16, v15 :: v_dual_ashrrev_i32 v34, 24, v14
	v_bfe_i32 v15, v15, 0, 8
	s_wait_loadcnt 0x4
	v_perm_b32 v52, v33, v32, 0xc07030c
	v_perm_b32 v53, v31, v31, 0xc0c0c03
	;; [unrolled: 1-line block ×26, first 2 shown]
	v_dual_lshrrev_b32 v28, 16, v30 :: v_dual_bitop2_b32 v17, v43, v17 bitop3:0x54
	v_ashrrev_i16 v33, 8, v1
	v_bfe_i32 v1, v1, 0, 8
	v_perm_b32 v15, v39, v15, 0x5040100
	v_or_b32_e32 v39, v45, v44
	v_or_b32_e32 v31, v32, v31
	v_ashrrev_i16 v29, 8, v30
	v_bfe_i32 v30, v30, 0, 8
	v_or_b32_e32 v26, v27, v26
	v_ashrrev_i16 v27, 8, v28
	v_bfe_i32 v28, v28, 0, 8
	v_perm_b32 v1, v33, v1, 0x5040100
	s_wait_xcnt 0x1
	v_bfe_i32 v9, v14, 0, 8
	s_wait_xcnt 0x0
	v_bfe_i32 v25, v14, 8, 8
	v_bfe_i32 v14, v14, 16, 8
	v_perm_b32 v29, v29, v30, 0x5040100
	v_perm_b32 v27, v27, v28, 0x5040100
	s_wait_loadcnt 0x3
	v_dual_lshrrev_b32 v32, 8, v35 :: v_dual_bitop2_b32 v45, v56, v57 bitop3:0x54
	v_bfe_i32 v28, v35, 0, 8
	v_perm_b32 v33, v35, v35, 0xc0c0302
	s_wait_loadcnt 0x2
	v_bfe_i32 v35, v36, 0, 8
	v_bfe_i32 v32, v32, 0, 8
	v_mul_i32_i24_e32 v25, v28, v25
	v_mul_i32_i24_e32 v9, v28, v9
	;; [unrolled: 1-line block ×4, first 2 shown]
	v_pk_mul_lo_u16 v1, v32, v1 op_sel_hi:[0,1]
	v_or_b32_e32 v43, v47, v46
	v_pk_mul_lo_u16 v28, v35, v29 op_sel_hi:[0,1]
	v_pk_mul_lo_u16 v15, v32, v15 op_sel_hi:[0,1]
	s_delay_alu instid0(VALU_DEP_4) | instskip(SKIP_2) | instid1(VALU_DEP_4)
	v_dual_ashrrev_i32 v29, 16, v1 :: v_dual_bitop2_b32 v18, v19, v18 bitop3:0x54
	v_bfe_i32 v1, v1, 0, 16
	v_pk_mul_lo_u16 v27, v35, v27 op_sel_hi:[0,1]
	v_ashrrev_i32_e32 v32, 16, v15
	v_bfe_i32 v15, v15, 0, 16
	v_add3_u32 v22, v34, v22, v29
	v_add3_u32 v1, v14, v23, v1
	v_dual_ashrrev_i32 v35, 16, v27 :: v_dual_bitop2_b32 v19, v21, v20 bitop3:0x54
	s_delay_alu instid0(VALU_DEP_4) | instskip(NEXT) | instid1(VALU_DEP_4)
	v_add3_u32 v5, v9, v5, v15
	v_dot4_i32_iu8 v15, v33, v40, v22 neg_lo:[1,1,0]
	v_add3_u32 v14, v25, v24, v32
	v_dot4_i32_iu8 v1, v33, v41, v1 neg_lo:[1,1,0]
	v_or_b32_e32 v21, v51, v50
	v_dot4_i32_iu8 v5, v33, v16, v5 neg_lo:[1,1,0]
	s_wait_loadcnt 0x1
	v_dot4_i32_iu8 v15, v37, v18, v15 neg_lo:[1,1,0]
	v_dot4_i32_iu8 v14, v33, v42, v14 neg_lo:[1,1,0]
	;; [unrolled: 1-line block ×3, first 2 shown]
	v_bfe_i32 v9, v27, 0, 16
	v_dot4_i32_iu8 v5, v37, v17, v5 neg_lo:[1,1,0]
	s_wait_loadcnt 0x0
	v_dot4_i32_iu8 v15, v38, v19, v15 neg_lo:[1,1,0]
	v_or_b32_e32 v20, v49, v48
	v_dot4_i32_iu8 v14, v37, v39, v14 neg_lo:[1,1,0]
	v_ashrrev_i32_e32 v16, 16, v28
	v_bfe_i32 v17, v28, 0, 16
	v_add_nc_u32_e32 v15, v15, v35
	v_dot4_i32_iu8 v1, v38, v20, v1 neg_lo:[1,1,0]
	v_dot4_i32_iu8 v14, v38, v21, v14 neg_lo:[1,1,0]
	v_or_b32_e32 v30, v52, v53
	v_perm_b32 v18, v36, v36, 0xc030201
	s_delay_alu instid0(VALU_DEP_4) | instskip(SKIP_4) | instid1(VALU_DEP_4)
	v_add_nc_u32_e32 v1, v1, v9
	v_dot4_i32_iu8 v5, v38, v26, v5 neg_lo:[1,1,0]
	v_or_b32_e32 v44, v54, v55
	v_add_nc_u32_e32 v9, v14, v16
	v_dot4_i32_iu8 v22, v18, v30, v15 neg_lo:[1,1,0]
	v_add_nc_u32_e32 v5, v5, v17
	s_delay_alu instid0(VALU_DEP_4) | instskip(NEXT) | instid1(VALU_DEP_4)
	v_dot4_i32_iu8 v23, v18, v44, v1 neg_lo:[1,1,0]
	v_dot4_i32_iu8 v24, v18, v45, v9 neg_lo:[1,1,0]
	s_delay_alu instid0(VALU_DEP_3)
	v_dot4_i32_iu8 v5, v18, v31, v5 neg_lo:[1,1,0]
	s_and_not1_b32 exec_lo, exec_lo, s6
	s_cbranch_execnz .LBB67_33
; %bb.34:
	s_or_b32 exec_lo, exec_lo, s6
.LBB67_35:
	s_delay_alu instid0(SALU_CYCLE_1) | instskip(NEXT) | instid1(VALU_DEP_1)
	s_or_b32 exec_lo, exec_lo, s2
	v_dual_mov_b32 v9, 0 :: v_dual_bitop2_b32 v8, 3, v8 bitop3:0x40
	s_mov_b32 s2, exec_lo
	s_delay_alu instid0(VALU_DEP_1)
	v_cmpx_ne_u64_e32 0, v[8:9]
	s_cbranch_execz .LBB67_39
; %bb.36:
	v_lshl_add_u64 v[6:7], v[6:7], 2, s[8:9]
	v_lshlrev_b32_e32 v8, 2, v8
	s_mov_b32 s6, 0
.LBB67_37:                              ; =>This Inner Loop Header: Depth=1
	global_load_b32 v1, v[6:7], off
	global_load_b128 v[10:13], v[2:3], off
	v_add_nc_u64_e32 v[8:9], -4, v[8:9]
	s_wait_xcnt 0x1
	v_add_nc_u64_e32 v[6:7], 64, v[6:7]
	s_wait_xcnt 0x0
	v_add_nc_u64_e32 v[2:3], 0x100, v[2:3]
	s_delay_alu instid0(VALU_DEP_3)
	v_cmp_eq_u64_e32 vcc_lo, 0, v[8:9]
	s_or_b32 s6, vcc_lo, s6
	s_wait_loadcnt 0x1
	v_subrev_nc_u32_e32 v1, s12, v1
	s_wait_loadcnt 0x0
	v_perm_b32 v14, v11, v10, 0xc0c0400
	v_perm_b32 v15, v13, v12, 0x4000c0c
	;; [unrolled: 1-line block ×4, first 2 shown]
	s_wait_kmcnt 0x0
	global_load_b32 v1, v1, s[4:5] scale_offset
	v_perm_b32 v18, v11, v10, 0xc0c0602
	v_perm_b32 v19, v13, v12, 0x6020c0c
	;; [unrolled: 1-line block ×4, first 2 shown]
	v_or_b32_e32 v12, v15, v14
	v_or_b32_e32 v13, v17, v16
	;; [unrolled: 1-line block ×3, first 2 shown]
	s_delay_alu instid0(VALU_DEP_4)
	v_or_b32_e32 v10, v11, v10
	s_wait_loadcnt 0x0
	v_dot4_i32_iu8 v5, v1, v12, v5 neg_lo:[1,1,0]
	v_dot4_i32_iu8 v24, v1, v13, v24 neg_lo:[1,1,0]
	;; [unrolled: 1-line block ×4, first 2 shown]
	s_and_not1_b32 exec_lo, exec_lo, s6
	s_cbranch_execnz .LBB67_37
; %bb.38:
	s_or_b32 exec_lo, exec_lo, s6
.LBB67_39:
	s_delay_alu instid0(SALU_CYCLE_1)
	s_or_b32 exec_lo, exec_lo, s2
.LBB67_40:
	s_delay_alu instid0(SALU_CYCLE_1)
	s_or_b32 exec_lo, exec_lo, s3
.LBB67_41:
	v_mbcnt_lo_u32_b32 v1, -1, 0
	s_mov_b32 s2, -1
	s_delay_alu instid0(VALU_DEP_1) | instskip(SKIP_1) | instid1(VALU_DEP_1)
	v_xor_b32_e32 v8, 4, v1
	v_xor_b32_e32 v2, 8, v1
	v_cmp_gt_i32_e32 vcc_lo, 32, v2
	v_cndmask_b32_e32 v2, v1, v2, vcc_lo
	s_delay_alu instid0(VALU_DEP_4) | instskip(SKIP_1) | instid1(VALU_DEP_1)
	v_cmp_gt_i32_e32 vcc_lo, 32, v8
	v_cndmask_b32_e32 v8, v1, v8, vcc_lo
	v_dual_lshlrev_b32 v8, 2, v8 :: v_dual_lshlrev_b32 v2, 2, v2
	ds_bpermute_b32 v3, v2, v5
	s_wait_dscnt 0x0
	v_add_nc_u32_e32 v3, v3, v5
	ds_bpermute_b32 v6, v2, v24
	ds_bpermute_b32 v7, v2, v23
	;; [unrolled: 1-line block ×3, first 2 shown]
	s_wait_dscnt 0x1
	v_dual_add_nc_u32 v5, v6, v24 :: v_dual_add_nc_u32 v6, v7, v23
	s_wait_dscnt 0x0
	v_add_nc_u32_e32 v2, v2, v22
	ds_bpermute_b32 v7, v8, v3
	v_xor_b32_e32 v11, 2, v1
	ds_bpermute_b32 v9, v8, v5
	ds_bpermute_b32 v10, v8, v6
	;; [unrolled: 1-line block ×3, first 2 shown]
	s_wait_dscnt 0x3
	v_add_nc_u32_e32 v3, v7, v3
	v_cmp_gt_i32_e32 vcc_lo, 32, v11
	s_wait_dscnt 0x1
	v_dual_add_nc_u32 v7, v9, v5 :: v_dual_add_nc_u32 v6, v10, v6
	s_wait_dscnt 0x0
	v_dual_add_nc_u32 v8, v8, v2 :: v_dual_bitop2_b32 v5, 1, v1 bitop3:0x14
	v_cndmask_b32_e32 v11, v1, v11, vcc_lo
	s_delay_alu instid0(VALU_DEP_2) | instskip(NEXT) | instid1(VALU_DEP_2)
	v_cmp_gt_i32_e32 vcc_lo, 32, v5
	v_lshlrev_b32_e32 v11, 2, v11
	ds_bpermute_b32 v2, v11, v3
	ds_bpermute_b32 v9, v11, v7
	;; [unrolled: 1-line block ×4, first 2 shown]
	v_cndmask_b32_e32 v1, v1, v5, vcc_lo
	v_cmp_eq_u32_e32 vcc_lo, 15, v0
	s_wait_dscnt 0x3
	s_delay_alu instid0(VALU_DEP_2)
	v_dual_add_nc_u32 v5, v2, v3 :: v_dual_lshlrev_b32 v12, 2, v1
	s_wait_dscnt 0x1
	v_dual_add_nc_u32 v3, v9, v7 :: v_dual_add_nc_u32 v2, v10, v6
	s_wait_dscnt 0x0
	v_add_nc_u32_e32 v1, v11, v8
	ds_bpermute_b32 v6, v12, v5
	ds_bpermute_b32 v7, v12, v3
	;; [unrolled: 1-line block ×4, first 2 shown]
	s_and_b32 exec_lo, exec_lo, vcc_lo
	s_cbranch_execz .LBB67_14
; %bb.42:
	s_load_b64 s[0:1], s[0:1], 0x50
	s_wait_dscnt 0x2
	v_dual_add_nc_u32 v0, v6, v5 :: v_dual_add_nc_u32 v3, v7, v3
	s_wait_dscnt 0x0
	v_dual_add_nc_u32 v2, v8, v2 :: v_dual_add_nc_u32 v5, v9, v1
	v_lshlrev_b32_e32 v4, 2, v4
	s_delay_alu instid0(VALU_DEP_3) | instskip(SKIP_1) | instid1(VALU_DEP_4)
	v_mul_lo_u32 v0, v0, s14
	v_mul_lo_u32 v1, v3, s14
	;; [unrolled: 1-line block ×4, first 2 shown]
	s_cmp_eq_u32 s15, 0
	s_cbranch_scc1 .LBB67_44
; %bb.43:
	v_ashrrev_i32_e32 v5, 31, v4
	s_mov_b32 s2, 0
	s_wait_kmcnt 0x0
	s_delay_alu instid0(VALU_DEP_1)
	v_lshl_add_u64 v[10:11], v[4:5], 2, s[0:1]
	global_load_b128 v[6:9], v[10:11], off
	s_wait_loadcnt 0x0
	v_mad_u32 v7, v7, s15, v1
	v_mad_u32 v6, v6, s15, v0
	;; [unrolled: 1-line block ×4, first 2 shown]
	global_store_b128 v[10:11], v[6:9], off
.LBB67_44:
	s_and_not1_b32 vcc_lo, exec_lo, s2
	s_cbranch_vccnz .LBB67_14
; %bb.45:
	v_ashrrev_i32_e32 v5, 31, v4
	s_wait_kmcnt 0x0
	s_delay_alu instid0(VALU_DEP_1)
	v_lshl_add_u64 v[4:5], v[4:5], 2, s[0:1]
	global_store_b128 v[4:5], v[0:3], off
	s_endpgm
	.section	.rodata,"a",@progbits
	.p2align	6, 0x0
	.amdhsa_kernel _ZN9rocsparseL18bsrxmvn_4x4_kernelILj128ELj16EiliaaiEEvT3_20rocsparse_direction_NS_24const_host_device_scalarIT1_EES1_PKS1_PKT2_SA_S7_PKT4_PKT5_S5_PT6_21rocsparse_index_base_b
		.amdhsa_group_segment_fixed_size 0
		.amdhsa_private_segment_fixed_size 0
		.amdhsa_kernarg_size 96
		.amdhsa_user_sgpr_count 2
		.amdhsa_user_sgpr_dispatch_ptr 0
		.amdhsa_user_sgpr_queue_ptr 0
		.amdhsa_user_sgpr_kernarg_segment_ptr 1
		.amdhsa_user_sgpr_dispatch_id 0
		.amdhsa_user_sgpr_kernarg_preload_length 0
		.amdhsa_user_sgpr_kernarg_preload_offset 0
		.amdhsa_user_sgpr_private_segment_size 0
		.amdhsa_wavefront_size32 1
		.amdhsa_uses_dynamic_stack 0
		.amdhsa_enable_private_segment 0
		.amdhsa_system_sgpr_workgroup_id_x 1
		.amdhsa_system_sgpr_workgroup_id_y 0
		.amdhsa_system_sgpr_workgroup_id_z 0
		.amdhsa_system_sgpr_workgroup_info 0
		.amdhsa_system_vgpr_workitem_id 0
		.amdhsa_next_free_vgpr 58
		.amdhsa_next_free_sgpr 16
		.amdhsa_named_barrier_count 0
		.amdhsa_reserve_vcc 1
		.amdhsa_float_round_mode_32 0
		.amdhsa_float_round_mode_16_64 0
		.amdhsa_float_denorm_mode_32 3
		.amdhsa_float_denorm_mode_16_64 3
		.amdhsa_fp16_overflow 0
		.amdhsa_memory_ordered 1
		.amdhsa_forward_progress 1
		.amdhsa_inst_pref_size 31
		.amdhsa_round_robin_scheduling 0
		.amdhsa_exception_fp_ieee_invalid_op 0
		.amdhsa_exception_fp_denorm_src 0
		.amdhsa_exception_fp_ieee_div_zero 0
		.amdhsa_exception_fp_ieee_overflow 0
		.amdhsa_exception_fp_ieee_underflow 0
		.amdhsa_exception_fp_ieee_inexact 0
		.amdhsa_exception_int_div_zero 0
	.end_amdhsa_kernel
	.section	.text._ZN9rocsparseL18bsrxmvn_4x4_kernelILj128ELj16EiliaaiEEvT3_20rocsparse_direction_NS_24const_host_device_scalarIT1_EES1_PKS1_PKT2_SA_S7_PKT4_PKT5_S5_PT6_21rocsparse_index_base_b,"axG",@progbits,_ZN9rocsparseL18bsrxmvn_4x4_kernelILj128ELj16EiliaaiEEvT3_20rocsparse_direction_NS_24const_host_device_scalarIT1_EES1_PKS1_PKT2_SA_S7_PKT4_PKT5_S5_PT6_21rocsparse_index_base_b,comdat
.Lfunc_end67:
	.size	_ZN9rocsparseL18bsrxmvn_4x4_kernelILj128ELj16EiliaaiEEvT3_20rocsparse_direction_NS_24const_host_device_scalarIT1_EES1_PKS1_PKT2_SA_S7_PKT4_PKT5_S5_PT6_21rocsparse_index_base_b, .Lfunc_end67-_ZN9rocsparseL18bsrxmvn_4x4_kernelILj128ELj16EiliaaiEEvT3_20rocsparse_direction_NS_24const_host_device_scalarIT1_EES1_PKS1_PKT2_SA_S7_PKT4_PKT5_S5_PT6_21rocsparse_index_base_b
                                        ; -- End function
	.set _ZN9rocsparseL18bsrxmvn_4x4_kernelILj128ELj16EiliaaiEEvT3_20rocsparse_direction_NS_24const_host_device_scalarIT1_EES1_PKS1_PKT2_SA_S7_PKT4_PKT5_S5_PT6_21rocsparse_index_base_b.num_vgpr, 58
	.set _ZN9rocsparseL18bsrxmvn_4x4_kernelILj128ELj16EiliaaiEEvT3_20rocsparse_direction_NS_24const_host_device_scalarIT1_EES1_PKS1_PKT2_SA_S7_PKT4_PKT5_S5_PT6_21rocsparse_index_base_b.num_agpr, 0
	.set _ZN9rocsparseL18bsrxmvn_4x4_kernelILj128ELj16EiliaaiEEvT3_20rocsparse_direction_NS_24const_host_device_scalarIT1_EES1_PKS1_PKT2_SA_S7_PKT4_PKT5_S5_PT6_21rocsparse_index_base_b.numbered_sgpr, 16
	.set _ZN9rocsparseL18bsrxmvn_4x4_kernelILj128ELj16EiliaaiEEvT3_20rocsparse_direction_NS_24const_host_device_scalarIT1_EES1_PKS1_PKT2_SA_S7_PKT4_PKT5_S5_PT6_21rocsparse_index_base_b.num_named_barrier, 0
	.set _ZN9rocsparseL18bsrxmvn_4x4_kernelILj128ELj16EiliaaiEEvT3_20rocsparse_direction_NS_24const_host_device_scalarIT1_EES1_PKS1_PKT2_SA_S7_PKT4_PKT5_S5_PT6_21rocsparse_index_base_b.private_seg_size, 0
	.set _ZN9rocsparseL18bsrxmvn_4x4_kernelILj128ELj16EiliaaiEEvT3_20rocsparse_direction_NS_24const_host_device_scalarIT1_EES1_PKS1_PKT2_SA_S7_PKT4_PKT5_S5_PT6_21rocsparse_index_base_b.uses_vcc, 1
	.set _ZN9rocsparseL18bsrxmvn_4x4_kernelILj128ELj16EiliaaiEEvT3_20rocsparse_direction_NS_24const_host_device_scalarIT1_EES1_PKS1_PKT2_SA_S7_PKT4_PKT5_S5_PT6_21rocsparse_index_base_b.uses_flat_scratch, 0
	.set _ZN9rocsparseL18bsrxmvn_4x4_kernelILj128ELj16EiliaaiEEvT3_20rocsparse_direction_NS_24const_host_device_scalarIT1_EES1_PKS1_PKT2_SA_S7_PKT4_PKT5_S5_PT6_21rocsparse_index_base_b.has_dyn_sized_stack, 0
	.set _ZN9rocsparseL18bsrxmvn_4x4_kernelILj128ELj16EiliaaiEEvT3_20rocsparse_direction_NS_24const_host_device_scalarIT1_EES1_PKS1_PKT2_SA_S7_PKT4_PKT5_S5_PT6_21rocsparse_index_base_b.has_recursion, 0
	.set _ZN9rocsparseL18bsrxmvn_4x4_kernelILj128ELj16EiliaaiEEvT3_20rocsparse_direction_NS_24const_host_device_scalarIT1_EES1_PKS1_PKT2_SA_S7_PKT4_PKT5_S5_PT6_21rocsparse_index_base_b.has_indirect_call, 0
	.section	.AMDGPU.csdata,"",@progbits
; Kernel info:
; codeLenInByte = 3912
; TotalNumSgprs: 18
; NumVgprs: 58
; ScratchSize: 0
; MemoryBound: 0
; FloatMode: 240
; IeeeMode: 1
; LDSByteSize: 0 bytes/workgroup (compile time only)
; SGPRBlocks: 0
; VGPRBlocks: 3
; NumSGPRsForWavesPerEU: 18
; NumVGPRsForWavesPerEU: 58
; NamedBarCnt: 0
; Occupancy: 16
; WaveLimiterHint : 1
; COMPUTE_PGM_RSRC2:SCRATCH_EN: 0
; COMPUTE_PGM_RSRC2:USER_SGPR: 2
; COMPUTE_PGM_RSRC2:TRAP_HANDLER: 0
; COMPUTE_PGM_RSRC2:TGID_X_EN: 1
; COMPUTE_PGM_RSRC2:TGID_Y_EN: 0
; COMPUTE_PGM_RSRC2:TGID_Z_EN: 0
; COMPUTE_PGM_RSRC2:TIDIG_COMP_CNT: 0
	.section	.text._ZN9rocsparseL18bsrxmvn_4x4_kernelILj128ELj32EiliaaiEEvT3_20rocsparse_direction_NS_24const_host_device_scalarIT1_EES1_PKS1_PKT2_SA_S7_PKT4_PKT5_S5_PT6_21rocsparse_index_base_b,"axG",@progbits,_ZN9rocsparseL18bsrxmvn_4x4_kernelILj128ELj32EiliaaiEEvT3_20rocsparse_direction_NS_24const_host_device_scalarIT1_EES1_PKS1_PKT2_SA_S7_PKT4_PKT5_S5_PT6_21rocsparse_index_base_b,comdat
	.globl	_ZN9rocsparseL18bsrxmvn_4x4_kernelILj128ELj32EiliaaiEEvT3_20rocsparse_direction_NS_24const_host_device_scalarIT1_EES1_PKS1_PKT2_SA_S7_PKT4_PKT5_S5_PT6_21rocsparse_index_base_b ; -- Begin function _ZN9rocsparseL18bsrxmvn_4x4_kernelILj128ELj32EiliaaiEEvT3_20rocsparse_direction_NS_24const_host_device_scalarIT1_EES1_PKS1_PKT2_SA_S7_PKT4_PKT5_S5_PT6_21rocsparse_index_base_b
	.p2align	8
	.type	_ZN9rocsparseL18bsrxmvn_4x4_kernelILj128ELj32EiliaaiEEvT3_20rocsparse_direction_NS_24const_host_device_scalarIT1_EES1_PKS1_PKT2_SA_S7_PKT4_PKT5_S5_PT6_21rocsparse_index_base_b,@function
_ZN9rocsparseL18bsrxmvn_4x4_kernelILj128ELj32EiliaaiEEvT3_20rocsparse_direction_NS_24const_host_device_scalarIT1_EES1_PKS1_PKT2_SA_S7_PKT4_PKT5_S5_PT6_21rocsparse_index_base_b: ; @_ZN9rocsparseL18bsrxmvn_4x4_kernelILj128ELj32EiliaaiEEvT3_20rocsparse_direction_NS_24const_host_device_scalarIT1_EES1_PKS1_PKT2_SA_S7_PKT4_PKT5_S5_PT6_21rocsparse_index_base_b
; %bb.0:
	s_clause 0x1
	s_load_b64 s[12:13], s[0:1], 0x58
	s_load_b64 s[4:5], s[0:1], 0x8
	s_mov_b32 s7, -1
                                        ; implicit-def: $sgpr14
	s_wait_kmcnt 0x0
	s_bitcmp1_b32 s13, 0
	s_cselect_b32 s2, -1, 0
	s_delay_alu instid0(SALU_CYCLE_1) | instskip(NEXT) | instid1(SALU_CYCLE_1)
	s_xor_b32 s6, s2, -1
	s_and_b32 vcc_lo, exec_lo, s6
	s_cbranch_vccnz .LBB68_4
; %bb.1:
	s_load_b64 s[2:3], s[0:1], 0x48
	s_and_not1_b32 vcc_lo, exec_lo, s7
	s_cbranch_vccz .LBB68_5
.LBB68_2:
	s_and_b32 vcc_lo, exec_lo, s6
	s_cbranch_vccz .LBB68_6
.LBB68_3:
	s_wait_kmcnt 0x0
	s_load_b32 s15, s[2:3], 0x0
	s_wait_xcnt 0x0
	s_cbranch_execz .LBB68_7
	s_branch .LBB68_8
.LBB68_4:
	s_load_b32 s14, s[4:5], 0x0
	s_load_b64 s[2:3], s[0:1], 0x48
	s_cbranch_execnz .LBB68_2
.LBB68_5:
	s_wait_kmcnt 0x0
	s_mov_b32 s14, s4
	s_and_b32 vcc_lo, exec_lo, s6
	s_cbranch_vccnz .LBB68_3
.LBB68_6:
	s_wait_kmcnt 0x0
                                        ; implicit-def: $sgpr15
.LBB68_7:
	s_wait_kmcnt 0x0
	s_mov_b32 s15, s2
.LBB68_8:
	s_cmp_lg_u32 s14, 0
	s_mov_b32 s6, 0
	s_cselect_b32 s2, -1, 0
	s_wait_kmcnt 0x0
	s_cmp_lg_u32 s15, 1
	s_cselect_b32 s3, -1, 0
	s_delay_alu instid0(SALU_CYCLE_1) | instskip(NEXT) | instid1(SALU_CYCLE_1)
	s_or_b32 s2, s2, s3
	s_and_not1_b32 vcc_lo, exec_lo, s2
	s_cbranch_vccnz .LBB68_14
; %bb.9:
	s_clause 0x1
	s_load_b64 s[4:5], s[0:1], 0x18
	s_load_b64 s[2:3], s[0:1], 0x0
	s_bfe_u32 s7, ttmp6, 0x4000c
	s_and_b32 s8, ttmp6, 15
	s_add_co_i32 s7, s7, 1
	s_getreg_b32 s9, hwreg(HW_REG_IB_STS2, 6, 4)
	s_mul_i32 s7, ttmp9, s7
	v_lshrrev_b32_e32 v1, 5, v0
	s_add_co_i32 s8, s8, s7
	s_cmp_eq_u32 s9, 0
	s_cselect_b32 s7, ttmp9, s8
	s_delay_alu instid0(VALU_DEP_1) | instid1(SALU_CYCLE_1)
	v_lshl_or_b32 v4, s7, 2, v1
	s_wait_kmcnt 0x0
	s_cmp_lg_u64 s[4:5], 0
	s_cbranch_scc0 .LBB68_15
; %bb.10:
	s_load_b32 s6, s[0:1], 0x10
	s_mov_b32 s7, 0
                                        ; implicit-def: $vgpr1
	s_wait_kmcnt 0x0
	v_cmp_gt_i32_e32 vcc_lo, s6, v4
	s_mov_b32 s6, 0
	s_and_saveexec_b32 s8, vcc_lo
	s_delay_alu instid0(SALU_CYCLE_1)
	s_xor_b32 s8, exec_lo, s8
	s_cbranch_execz .LBB68_12
; %bb.11:
	global_load_b32 v1, v4, s[4:5] scale_offset
	s_mov_b32 s6, exec_lo
	s_wait_loadcnt 0x0
	v_subrev_nc_u32_e32 v1, s12, v1
.LBB68_12:
	s_or_b32 exec_lo, exec_lo, s8
	s_delay_alu instid0(SALU_CYCLE_1)
	s_and_b32 vcc_lo, exec_lo, s7
	s_cbranch_vccz .LBB68_16
.LBB68_13:
	v_cmp_gt_i32_e32 vcc_lo, s2, v4
	s_and_not1_b32 s2, s6, exec_lo
	s_and_b32 s4, vcc_lo, exec_lo
	s_delay_alu instid0(SALU_CYCLE_1) | instskip(NEXT) | instid1(SALU_CYCLE_1)
	s_or_b32 s6, s2, s4
	s_and_saveexec_b32 s2, s6
	s_cbranch_execnz .LBB68_17
.LBB68_14:
	s_sendmsg sendmsg(MSG_DEALLOC_VGPRS)
	s_endpgm
.LBB68_15:
                                        ; implicit-def: $vgpr1
	s_cbranch_execnz .LBB68_13
.LBB68_16:
	s_delay_alu instid0(VALU_DEP_1)
	v_mov_b32_e32 v4, v1
	s_and_saveexec_b32 s2, s6
	s_cbranch_execz .LBB68_14
.LBB68_17:
	s_load_b256 s[4:11], s[0:1], 0x20
	s_mov_b32 s13, 0
	v_dual_mov_b32 v1, 0 :: v_dual_bitop2_b32 v0, 31, v0 bitop3:0x40
	s_wait_kmcnt 0x0
	s_cmp_eq_u64 s[6:7], 0
	global_load_b64 v[8:9], v4, s[4:5] scale_offset
	s_cselect_b32 vcc_lo, -1, 0
	v_ashrrev_i32_e32 v5, 31, v4
	s_cmp_eq_u32 s3, 1
	s_delay_alu instid0(VALU_DEP_1) | instskip(NEXT) | instid1(VALU_DEP_1)
	v_lshlrev_b64_e32 v[2:3], 3, v[4:5]
	v_add_nc_u64_e32 v[6:7], s[4:5], v[2:3]
	v_add_nc_u64_e32 v[2:3], s[6:7], v[2:3]
	s_wait_xcnt 0x0
	s_load_b64 s[4:5], s[0:1], 0x40
	s_delay_alu instid0(VALU_DEP_2) | instskip(NEXT) | instid1(VALU_DEP_1)
	v_add_nc_u64_e32 v[6:7], 8, v[6:7]
	v_dual_cndmask_b32 v3, v3, v7 :: v_dual_cndmask_b32 v2, v2, v6
	global_load_b64 v[2:3], v[2:3], off
	s_wait_loadcnt 0x1
	v_sub_nc_u64_e64 v[6:7], v[8:9], s[12:13]
	s_delay_alu instid0(VALU_DEP_1) | instskip(SKIP_2) | instid1(VALU_DEP_2)
	v_add_nc_u64_e32 v[6:7], v[6:7], v[0:1]
	s_wait_loadcnt 0x0
	v_sub_nc_u64_e64 v[10:11], v[2:3], s[12:13]
	v_lshl_add_u64 v[2:3], v[6:7], 4, s[10:11]
	s_delay_alu instid0(VALU_DEP_2)
	v_cmp_lt_i64_e64 s2, v[6:7], v[10:11]
	s_cbranch_scc1 .LBB68_29
; %bb.18:
	v_dual_mov_b32 v5, v1 :: v_dual_mov_b32 v22, v1
	v_dual_mov_b32 v23, v1 :: v_dual_mov_b32 v24, v1
	s_and_saveexec_b32 s3, s2
	s_cbranch_execz .LBB68_28
; %bb.19:
	v_dual_mov_b32 v13, v1 :: v_dual_bitop2_b32 v12, 32, v0 bitop3:0x54
	v_sub_nc_u64_e32 v[14:15], s[12:13], v[0:1]
	v_not_b32_e32 v17, v9
	v_not_b32_e32 v16, v8
	v_dual_mov_b32 v24, 0 :: v_dual_mov_b32 v23, 0
	v_sub_nc_u64_e64 v[12:13], v[12:13], s[12:13]
	v_dual_mov_b32 v22, 0 :: v_dual_mov_b32 v5, 0
	s_delay_alu instid0(VALU_DEP_4) | instskip(SKIP_1) | instid1(VALU_DEP_4)
	v_add_nc_u64_e32 v[14:15], v[14:15], v[16:17]
	v_mov_b64_e32 v[16:17], v[6:7]
	v_add_nc_u64_e32 v[12:13], v[12:13], v[8:9]
	s_delay_alu instid0(VALU_DEP_1) | instskip(NEXT) | instid1(VALU_DEP_1)
	v_max_i64 v[12:13], v[12:13], v[10:11]
	v_add_nc_u64_e32 v[12:13], v[14:15], v[12:13]
	s_delay_alu instid0(VALU_DEP_1) | instskip(SKIP_2) | instid1(VALU_DEP_3)
	v_lshrrev_b64 v[14:15], 5, v[12:13]
	v_cmp_lt_u64_e32 vcc_lo, 0x5f, v[12:13]
	v_mov_b64_e32 v[12:13], v[2:3]
	v_add_nc_u64_e32 v[14:15], 1, v[14:15]
	s_and_saveexec_b32 s6, vcc_lo
	s_cbranch_execz .LBB68_23
; %bb.20:
	v_lshl_add_u64 v[12:13], v[6:7], 2, s[8:9]
	v_mov_b64_e32 v[16:17], v[6:7]
	s_delay_alu instid0(VALU_DEP_3) | instskip(SKIP_1) | instid1(VALU_DEP_4)
	v_dual_mov_b32 v19, v15 :: v_dual_bitop2_b32 v18, -4, v14 bitop3:0x40
	v_dual_mov_b32 v5, 0 :: v_dual_mov_b32 v22, 0
	v_add_nc_u64_e32 v[20:21], 0x100, v[12:13]
	v_mov_b64_e32 v[12:13], v[2:3]
	v_dual_mov_b32 v23, 0 :: v_dual_mov_b32 v24, 0
	s_mov_b32 s7, 0
.LBB68_21:                              ; =>This Inner Loop Header: Depth=1
	s_clause 0x3
	global_load_b32 v15, v[20:21], off offset:-256
	global_load_b32 v25, v[20:21], off offset:-128
	global_load_b32 v42, v[20:21], off
	global_load_b32 v43, v[20:21], off offset:128
	s_clause 0x3
	global_load_b128 v[26:29], v[12:13], off
	global_load_b128 v[30:33], v[12:13], off offset:512
	global_load_b128 v[34:37], v[12:13], off offset:1024
	global_load_b128 v[38:41], v[12:13], off offset:1536
	v_add_nc_u64_e32 v[18:19], -4, v[18:19]
	s_wait_xcnt 0x0
	v_add_nc_u64_e32 v[12:13], 0x800, v[12:13]
	v_add_nc_u64_e32 v[16:17], 0x80, v[16:17]
	;; [unrolled: 1-line block ×3, first 2 shown]
	s_delay_alu instid0(VALU_DEP_4)
	v_cmp_eq_u64_e32 vcc_lo, 0, v[18:19]
	s_or_b32 s7, vcc_lo, s7
	s_wait_loadcnt 0x7
	v_subrev_nc_u32_e32 v15, s12, v15
	s_wait_loadcnt 0x6
	v_subrev_nc_u32_e32 v25, s12, v25
	;; [unrolled: 2-line block ×4, first 2 shown]
	s_wait_kmcnt 0x0
	s_clause 0x3
	global_load_b32 v44, v15, s[4:5] scale_offset
	global_load_b32 v45, v25, s[4:5] scale_offset
	;; [unrolled: 1-line block ×4, first 2 shown]
	s_wait_loadcnt 0x7
	s_wait_xcnt 0x3
	v_perm_b32 v15, v26, v26, 0x7060100
	v_perm_b32 v26, v28, v28, 0xc0c0100
	s_wait_loadcnt 0x6
	s_wait_xcnt 0x1
	v_lshrrev_b16 v42, 8, v33
	s_wait_loadcnt 0x5
	v_perm_b32 v54, v37, v29, 0xc0c0501
	v_perm_b32 v25, v27, v27, 0xc0c0100
	s_wait_xcnt 0x0
	v_bfe_i32 v43, v30, 0, 8
	v_bfe_i32 v49, v33, 16, 8
	;; [unrolled: 1-line block ×3, first 2 shown]
	v_perm_b32 v30, v30, v30, 0xc030201
	v_perm_b32 v53, v37, v29, 0xc0c0703
	;; [unrolled: 1-line block ×6, first 2 shown]
	v_bfe_i32 v50, v34, 8, 8
	v_bfe_i32 v51, v34, 0, 8
	s_wait_loadcnt 0x4
	v_bfe_i32 v52, v41, 0, 8
	v_perm_b32 v31, v35, v31, 0x5040302
	v_perm_b32 v32, v36, v32, 0x5040302
	v_bfe_i32 v37, v41, 8, 8
	v_perm_b32 v34, v38, v34, 0x5040302
	v_perm_b32 v56, v39, v39, 0xc0c0302
	;; [unrolled: 1-line block ×5, first 2 shown]
	s_wait_loadcnt 0x3
	v_dot4_i32_iu8 v15, v44, v15, v24 neg_lo:[1,1,0]
	v_perm_b32 v24, v44, v44, 0xc0c0100
	s_wait_loadcnt 0x2
	v_lshrrev_b16 v58, 8, v45
	s_wait_loadcnt 0x1
	v_perm_b32 v69, v46, v44, 0xc0c0501
	v_ashrrev_i32_e32 v59, 24, v45
	v_bfe_i32 v60, v45, 16, 8
	v_dot4_i32_iu8 v22, v24, v26, v22 neg_lo:[1,1,0]
	v_bfe_i32 v26, v58, 0, 8
	v_bfe_i32 v61, v45, 0, 8
	v_perm_b32 v62, v45, v45, 0xc030201
	v_perm_b32 v63, v45, v44, 0x5040302
	v_lshrrev_b16 v64, 8, v46
	v_mul_i32_i24_e32 v26, v42, v26
	v_perm_b32 v68, v46, v44, 0xc0c0703
	v_perm_b32 v70, v46, v44, 0xc0c0602
	;; [unrolled: 1-line block ×3, first 2 shown]
	v_dot4_i32_iu8 v23, v24, v25, v23 neg_lo:[1,1,0]
	v_dot4_i32_iu8 v26, v54, v69, v26 neg_lo:[1,1,0]
	v_ashrrev_i32_e32 v48, 24, v33
	v_bfe_i32 v33, v33, 0, 8
	v_mad_i32_i24 v15, v61, v43, v15
	v_mul_i32_i24_e32 v25, v49, v60
	v_bfe_i32 v65, v46, 0, 8
	s_wait_loadcnt 0x0
	v_bfe_i32 v66, v47, 0, 8
	v_mul_i32_i24_e32 v24, v33, v61
	v_mul_i32_i24_e32 v33, v48, v59
	v_bfe_i32 v43, v64, 0, 8
	v_dot4_i32_iu8 v15, v62, v30, v15 neg_lo:[1,1,0]
	v_dot4_i32_iu8 v25, v55, v70, v25 neg_lo:[1,1,0]
	;; [unrolled: 1-line block ×4, first 2 shown]
	v_perm_b32 v45, v46, v45, 0x5040302
	v_bfe_i32 v67, v47, 8, 8
	v_mul_i32_i24_e32 v48, v65, v51
	v_mul_i32_i24_e32 v49, v52, v66
	v_dot4_i32_iu8 v23, v63, v27, v23 neg_lo:[1,1,0]
	v_mul_i32_i24_e32 v27, v43, v50
	v_dot4_i32_iu8 v22, v63, v28, v22 neg_lo:[1,1,0]
	v_dual_add_nc_u32 v24, v24, v25 :: v_dual_add_nc_u32 v25, v26, v30
	v_perm_b32 v36, v47, v36, 0x5040302
	v_perm_b32 v35, v47, v35, 0x5040302
	;; [unrolled: 1-line block ×5, first 2 shown]
	v_mul_i32_i24_e32 v26, v37, v67
	v_add3_u32 v15, v15, v48, v27
	v_dot4_i32_iu8 v23, v45, v31, v23 neg_lo:[1,1,0]
	v_dot4_i32_iu8 v22, v45, v32, v22 neg_lo:[1,1,0]
	v_add3_u32 v24, v24, v25, v49
	v_perm_b32 v25, v47, v47, 0xc0c0302
	v_dot4_i32_iu8 v15, v46, v34, v15 neg_lo:[1,1,0]
	v_dot4_i32_iu8 v23, v39, v35, v23 neg_lo:[1,1,0]
	;; [unrolled: 1-line block ×3, first 2 shown]
	v_add3_u32 v5, v24, v5, v26
	s_delay_alu instid0(VALU_DEP_4) | instskip(NEXT) | instid1(VALU_DEP_4)
	v_dot4_i32_iu8 v24, v25, v38, v15 neg_lo:[1,1,0]
	v_dot4_i32_iu8 v23, v25, v56, v23 neg_lo:[1,1,0]
	s_delay_alu instid0(VALU_DEP_4) | instskip(NEXT) | instid1(VALU_DEP_4)
	v_dot4_i32_iu8 v22, v25, v57, v22 neg_lo:[1,1,0]
	v_dot4_i32_iu8 v5, v25, v41, v5 neg_lo:[1,1,0]
	s_and_not1_b32 exec_lo, exec_lo, s7
	s_cbranch_execnz .LBB68_21
; %bb.22:
	s_or_b32 exec_lo, exec_lo, s7
.LBB68_23:
	s_delay_alu instid0(SALU_CYCLE_1) | instskip(NEXT) | instid1(VALU_DEP_1)
	s_or_b32 exec_lo, exec_lo, s6
	v_dual_mov_b32 v15, 0 :: v_dual_bitop2_b32 v14, 3, v14 bitop3:0x40
	s_mov_b32 s6, exec_lo
	s_delay_alu instid0(VALU_DEP_1)
	v_cmpx_ne_u64_e32 0, v[14:15]
	s_cbranch_execz .LBB68_27
; %bb.24:
	v_lshl_add_u64 v[16:17], v[16:17], 2, s[8:9]
	v_lshlrev_b32_e32 v14, 2, v14
	s_mov_b32 s7, 0
.LBB68_25:                              ; =>This Inner Loop Header: Depth=1
	global_load_b32 v18, v[16:17], off
	v_add_nc_u64_e32 v[14:15], -4, v[14:15]
	s_wait_xcnt 0x0
	v_add_nc_u64_e32 v[16:17], 0x80, v[16:17]
	s_delay_alu instid0(VALU_DEP_2)
	v_cmp_eq_u64_e32 vcc_lo, 0, v[14:15]
	s_or_b32 s7, vcc_lo, s7
	s_wait_loadcnt 0x0
	v_subrev_nc_u32_e32 v25, s12, v18
	global_load_b128 v[18:21], v[12:13], off
	s_wait_kmcnt 0x0
	global_load_b32 v26, v25, s[4:5] scale_offset
	s_wait_xcnt 0x1
	v_add_nc_u64_e32 v[12:13], 0x200, v[12:13]
	s_wait_loadcnt 0x1
	s_wait_xcnt 0x0
	v_bfe_i32 v25, v18, 0, 8
	v_bfe_i32 v27, v19, 0, 8
	;; [unrolled: 1-line block ×4, first 2 shown]
	s_wait_loadcnt 0x0
	v_bfe_i32 v30, v26, 0, 8
	v_perm_b32 v18, v18, v18, 0xc030201
	v_perm_b32 v19, v19, v19, 0xc030201
	v_perm_b32 v20, v20, v20, 0xc030201
	v_perm_b32 v21, v21, v21, 0xc030201
	v_perm_b32 v26, v26, v26, 0xc030201
	v_mad_i32_i24 v24, v30, v25, v24
	v_mad_i32_i24 v23, v27, v30, v23
	;; [unrolled: 1-line block ×4, first 2 shown]
	s_delay_alu instid0(VALU_DEP_4) | instskip(NEXT) | instid1(VALU_DEP_4)
	v_dot4_i32_iu8 v24, v26, v18, v24 neg_lo:[1,1,0]
	v_dot4_i32_iu8 v23, v26, v19, v23 neg_lo:[1,1,0]
	s_delay_alu instid0(VALU_DEP_4) | instskip(NEXT) | instid1(VALU_DEP_4)
	v_dot4_i32_iu8 v22, v26, v20, v22 neg_lo:[1,1,0]
	v_dot4_i32_iu8 v5, v26, v21, v5 neg_lo:[1,1,0]
	s_and_not1_b32 exec_lo, exec_lo, s7
	s_cbranch_execnz .LBB68_25
; %bb.26:
	s_or_b32 exec_lo, exec_lo, s7
.LBB68_27:
	s_delay_alu instid0(SALU_CYCLE_1)
	s_or_b32 exec_lo, exec_lo, s6
.LBB68_28:
	s_delay_alu instid0(SALU_CYCLE_1)
	s_or_b32 exec_lo, exec_lo, s3
	s_cbranch_execz .LBB68_30
	s_branch .LBB68_41
.LBB68_29:
                                        ; implicit-def: $vgpr5
                                        ; implicit-def: $vgpr22
                                        ; implicit-def: $vgpr23
                                        ; implicit-def: $vgpr24
.LBB68_30:
	v_dual_mov_b32 v5, 0 :: v_dual_mov_b32 v22, 0
	v_dual_mov_b32 v23, 0 :: v_dual_mov_b32 v24, 0
	s_and_saveexec_b32 s3, s2
	s_cbranch_execz .LBB68_40
; %bb.31:
	v_dual_mov_b32 v13, v1 :: v_dual_bitop2_b32 v12, 32, v0 bitop3:0x54
	v_dual_mov_b32 v24, 0 :: v_dual_mov_b32 v23, 0
	v_dual_mov_b32 v22, 0 :: v_dual_mov_b32 v5, 0
	s_delay_alu instid0(VALU_DEP_3) | instskip(NEXT) | instid1(VALU_DEP_1)
	v_sub_nc_u64_e64 v[12:13], v[12:13], s[12:13]
	v_add_nc_u64_e32 v[12:13], v[12:13], v[8:9]
	v_not_b32_e32 v9, v9
	v_not_b32_e32 v8, v8
	s_delay_alu instid0(VALU_DEP_3) | instskip(SKIP_1) | instid1(VALU_DEP_1)
	v_max_i64 v[10:11], v[12:13], v[10:11]
	v_sub_nc_u64_e32 v[12:13], s[12:13], v[0:1]
	v_add_nc_u64_e32 v[8:9], v[12:13], v[8:9]
	s_delay_alu instid0(VALU_DEP_1) | instskip(NEXT) | instid1(VALU_DEP_1)
	v_add_nc_u64_e32 v[8:9], v[8:9], v[10:11]
	v_lshrrev_b64 v[10:11], 5, v[8:9]
	v_cmp_lt_u64_e32 vcc_lo, 0x5f, v[8:9]
	s_delay_alu instid0(VALU_DEP_2)
	v_add_nc_u64_e32 v[8:9], 1, v[10:11]
	s_and_saveexec_b32 s2, vcc_lo
	s_cbranch_execz .LBB68_35
; %bb.32:
	v_lshl_add_u64 v[12:13], v[6:7], 2, s[8:9]
	s_delay_alu instid0(VALU_DEP_2) | instskip(SKIP_1) | instid1(VALU_DEP_3)
	v_dual_mov_b32 v11, v9 :: v_dual_bitop2_b32 v10, -4, v8 bitop3:0x40
	v_dual_mov_b32 v24, 0 :: v_dual_mov_b32 v23, 0
	v_add_nc_u64_e32 v[12:13], 0x100, v[12:13]
	v_dual_mov_b32 v22, 0 :: v_dual_mov_b32 v5, 0
	s_mov_b32 s6, 0
.LBB68_33:                              ; =>This Inner Loop Header: Depth=1
	s_clause 0x3
	global_load_b32 v1, v[12:13], off offset:-256
	global_load_b32 v9, v[12:13], off offset:128
	global_load_b32 v25, v[12:13], off offset:-128
	global_load_b32 v34, v[12:13], off
	s_clause 0x3
	global_load_b128 v[14:17], v[2:3], off
	global_load_b128 v[18:21], v[2:3], off offset:512
	global_load_b128 v[26:29], v[2:3], off offset:1024
	;; [unrolled: 1-line block ×3, first 2 shown]
	v_add_nc_u64_e32 v[10:11], -4, v[10:11]
	s_wait_xcnt 0x0
	v_add_nc_u64_e32 v[2:3], 0x800, v[2:3]
	v_add_nc_u64_e32 v[6:7], 0x80, v[6:7]
	;; [unrolled: 1-line block ×3, first 2 shown]
	s_delay_alu instid0(VALU_DEP_4)
	v_cmp_eq_u64_e32 vcc_lo, 0, v[10:11]
	s_or_b32 s6, vcc_lo, s6
	s_wait_loadcnt 0x7
	v_subrev_nc_u32_e32 v1, s12, v1
	s_wait_loadcnt 0x6
	v_subrev_nc_u32_e32 v9, s12, v9
	;; [unrolled: 2-line block ×4, first 2 shown]
	s_wait_kmcnt 0x0
	s_clause 0x3
	global_load_b32 v35, v1, s[4:5] scale_offset
	global_load_b32 v36, v9, s[4:5] scale_offset
	;; [unrolled: 1-line block ×4, first 2 shown]
	s_wait_loadcnt 0x7
	s_wait_xcnt 0x3
	v_lshrrev_b32_e32 v1, 16, v16
	s_wait_xcnt 0x2
	v_perm_b32 v9, v15, v14, 0xc0c0501
	s_wait_xcnt 0x1
	v_perm_b32 v25, v15, v14, 0xc0c0400
	;; [unrolled: 2-line block ×3, first 2 shown]
	v_perm_b32 v14, v15, v14, 0xc0c0602
	v_ashrrev_i16 v15, 8, v16
	v_bfe_i32 v16, v16, 0, 8
	s_wait_loadcnt 0x6
	v_perm_b32 v39, v18, v17, 0xc0c0703
	v_perm_b32 v40, v18, v17, 0xc0c0602
	;; [unrolled: 1-line block ×5, first 2 shown]
	s_wait_loadcnt 0x5
	v_perm_b32 v42, v26, v21, 0x4000c0c
	v_perm_b32 v43, v20, v19, 0xc0c0501
	;; [unrolled: 1-line block ×8, first 2 shown]
	s_wait_loadcnt 0x4
	v_perm_b32 v47, v30, v29, 0x7030c0c
	v_perm_b32 v48, v28, v27, 0xc0c0602
	;; [unrolled: 1-line block ×7, first 2 shown]
	v_ashrrev_i16 v29, 8, v31
	v_bfe_i32 v30, v31, 0, 8
	v_lshrrev_b32_e32 v21, 16, v31
	v_perm_b32 v31, v33, v32, 0xc0c0703
	v_perm_b32 v52, v33, v32, 0xc0c0602
	;; [unrolled: 1-line block ×4, first 2 shown]
	v_ashrrev_i16 v33, 8, v1
	v_bfe_i32 v1, v1, 0, 8
	v_perm_b32 v15, v15, v16, 0x5040100
	v_or_b32_e32 v16, v42, v18
	v_or_b32_e32 v27, v28, v27
	v_perm_b32 v28, v29, v30, 0x5040100
	v_or_b32_e32 v18, v44, v43
	v_ashrrev_i16 v43, 8, v21
	v_bfe_i32 v21, v21, 0, 8
	v_perm_b32 v1, v33, v1, 0x5040100
	s_delay_alu instid0(VALU_DEP_2)
	v_perm_b32 v21, v43, v21, 0x5040100
	s_wait_loadcnt 0x3
	v_lshrrev_b32_e32 v29, 16, v35
	v_perm_b32 v30, v35, v35, 0xc0c0100
	s_wait_loadcnt 0x2
	v_lshrrev_b32_e32 v33, 8, v36
	s_wait_loadcnt 0x1
	v_perm_b32 v35, v37, v35, 0xc0c0403
	s_wait_loadcnt 0x0
	v_perm_b32 v37, v38, v37, 0x4030201
	v_perm_b32 v38, v36, v38, 0x4030201
	v_dot4_i32_iu8 v9, v30, v9, v23 neg_lo:[1,1,0]
	v_bfe_i32 v23, v29, 0, 8
	v_dot4_i32_iu8 v24, v30, v25, v24 neg_lo:[1,1,0]
	v_bfe_i32 v25, v33, 0, 8
	v_dot4_i32_iu8 v5, v30, v34, v5 neg_lo:[1,1,0]
	v_dot4_i32_iu8 v14, v30, v14, v22 neg_lo:[1,1,0]
	v_pk_mul_lo_u16 v1, v23, v1 op_sel_hi:[0,1]
	v_pk_mul_lo_u16 v15, v23, v15 op_sel_hi:[0,1]
	v_or_b32_e32 v42, v46, v45
	v_or_b32_e32 v19, v20, v19
	v_pk_mul_lo_u16 v22, v25, v28 op_sel_hi:[0,1]
	v_pk_mul_lo_u16 v21, v25, v21 op_sel_hi:[0,1]
	v_ashrrev_i32_e32 v23, 16, v1
	v_bfe_i32 v1, v1, 0, 16
	v_ashrrev_i32_e32 v25, 16, v15
	v_bfe_i32 v15, v15, 0, 16
	v_dual_ashrrev_i32 v28, 16, v21 :: v_dual_bitop2_b32 v20, v47, v26 bitop3:0x54
	s_delay_alu instid0(VALU_DEP_4) | instskip(SKIP_1) | instid1(VALU_DEP_4)
	v_dual_add_nc_u32 v1, v14, v1 :: v_dual_bitop2_b32 v26, v49, v48 bitop3:0x54
	v_dual_add_nc_u32 v5, v5, v23 :: v_dual_bitop2_b32 v44, v51, v50 bitop3:0x54
	v_dual_add_nc_u32 v9, v9, v25 :: v_dual_add_nc_u32 v14, v24, v15
	s_delay_alu instid0(VALU_DEP_3) | instskip(SKIP_1) | instid1(VALU_DEP_4)
	v_dot4_i32_iu8 v1, v35, v40, v1 neg_lo:[1,1,0]
	v_bfe_i32 v15, v21, 0, 16
	v_dot4_i32_iu8 v5, v35, v39, v5 neg_lo:[1,1,0]
	s_delay_alu instid0(VALU_DEP_4)
	v_dot4_i32_iu8 v9, v35, v41, v9 neg_lo:[1,1,0]
	v_dot4_i32_iu8 v14, v35, v17, v14 neg_lo:[1,1,0]
	;; [unrolled: 1-line block ×3, first 2 shown]
	v_ashrrev_i32_e32 v17, 16, v22
	v_dot4_i32_iu8 v5, v37, v19, v5 neg_lo:[1,1,0]
	v_dot4_i32_iu8 v9, v37, v18, v9 neg_lo:[1,1,0]
	;; [unrolled: 1-line block ×3, first 2 shown]
	v_bfe_i32 v16, v22, 0, 16
	v_dot4_i32_iu8 v1, v38, v26, v1 neg_lo:[1,1,0]
	v_dot4_i32_iu8 v5, v38, v20, v5 neg_lo:[1,1,0]
	;; [unrolled: 1-line block ×4, first 2 shown]
	v_perm_b32 v18, v36, v36, 0xc0c0302
	v_add_nc_u32_e32 v1, v1, v15
	v_add_nc_u32_e32 v5, v5, v28
	s_delay_alu instid0(VALU_DEP_4) | instskip(NEXT) | instid1(VALU_DEP_3)
	v_dual_add_nc_u32 v9, v9, v17 :: v_dual_add_nc_u32 v14, v14, v16
	v_dot4_i32_iu8 v22, v18, v52, v1 neg_lo:[1,1,0]
	s_delay_alu instid0(VALU_DEP_3) | instskip(NEXT) | instid1(VALU_DEP_3)
	v_dot4_i32_iu8 v5, v18, v31, v5 neg_lo:[1,1,0]
	v_dot4_i32_iu8 v23, v18, v53, v9 neg_lo:[1,1,0]
	s_delay_alu instid0(VALU_DEP_4)
	v_dot4_i32_iu8 v24, v18, v32, v14 neg_lo:[1,1,0]
	s_and_not1_b32 exec_lo, exec_lo, s6
	s_cbranch_execnz .LBB68_33
; %bb.34:
	s_or_b32 exec_lo, exec_lo, s6
.LBB68_35:
	s_delay_alu instid0(SALU_CYCLE_1) | instskip(NEXT) | instid1(VALU_DEP_1)
	s_or_b32 exec_lo, exec_lo, s2
	v_dual_mov_b32 v9, 0 :: v_dual_bitop2_b32 v8, 3, v8 bitop3:0x40
	s_mov_b32 s2, exec_lo
	s_delay_alu instid0(VALU_DEP_1)
	v_cmpx_ne_u64_e32 0, v[8:9]
	s_cbranch_execz .LBB68_39
; %bb.36:
	v_lshl_add_u64 v[6:7], v[6:7], 2, s[8:9]
	v_lshlrev_b32_e32 v8, 2, v8
	s_mov_b32 s6, 0
.LBB68_37:                              ; =>This Inner Loop Header: Depth=1
	global_load_b32 v1, v[6:7], off
	global_load_b128 v[10:13], v[2:3], off
	v_add_nc_u64_e32 v[8:9], -4, v[8:9]
	s_wait_xcnt 0x1
	v_add_nc_u64_e32 v[6:7], 0x80, v[6:7]
	s_wait_xcnt 0x0
	v_add_nc_u64_e32 v[2:3], 0x200, v[2:3]
	s_delay_alu instid0(VALU_DEP_3)
	v_cmp_eq_u64_e32 vcc_lo, 0, v[8:9]
	s_or_b32 s6, vcc_lo, s6
	s_wait_loadcnt 0x1
	v_subrev_nc_u32_e32 v1, s12, v1
	s_wait_loadcnt 0x0
	v_dual_lshrrev_b32 v14, 16, v10 :: v_dual_ashrrev_i32 v16, 24, v10
	v_ashrrev_i16 v15, 8, v10
	v_bfe_i32 v10, v10, 0, 8
	s_wait_kmcnt 0x0
	global_load_b32 v1, v1, s[4:5] scale_offset
	v_perm_b32 v17, v13, v12, 0xc04000c
	v_perm_b32 v19, v13, v12, 0xc05010c
	;; [unrolled: 1-line block ×4, first 2 shown]
	v_bfe_i32 v13, v14, 0, 8
	v_perm_b32 v10, v15, v10, 0x5040100
	v_perm_b32 v18, v11, v11, 0xc0c0c00
	;; [unrolled: 1-line block ×6, first 2 shown]
	s_delay_alu instid0(VALU_DEP_1) | instskip(SKIP_3) | instid1(VALU_DEP_2)
	v_or_b32_e32 v11, v12, v11
	s_wait_loadcnt 0x0
	v_bfe_i32 v16, v1, 0, 8
	v_perm_b32 v1, v1, v1, 0xc030201
	v_pk_mul_lo_u16 v10, v16, v10 op_sel_hi:[0,1]
	v_pk_mul_lo_u16 v13, v16, v13 op_sel_hi:[0,1]
	v_or_b32_e32 v14, v17, v18
	v_or_b32_e32 v15, v19, v20
	s_delay_alu instid0(VALU_DEP_4) | instskip(SKIP_3) | instid1(VALU_DEP_4)
	v_bfe_i32 v12, v10, 0, 16
	v_ashrrev_i32_e32 v10, 16, v10
	v_bfe_i32 v16, v13, 0, 16
	v_ashrrev_i32_e32 v13, 16, v13
	v_dual_add_nc_u32 v12, v24, v12 :: v_dual_bitop2_b32 v17, v21, v25 bitop3:0x54
	s_delay_alu instid0(VALU_DEP_3) | instskip(NEXT) | instid1(VALU_DEP_3)
	v_dual_add_nc_u32 v10, v23, v10 :: v_dual_add_nc_u32 v16, v22, v16
	v_add_nc_u32_e32 v5, v5, v13
	s_delay_alu instid0(VALU_DEP_3) | instskip(NEXT) | instid1(VALU_DEP_3)
	v_dot4_i32_iu8 v24, v1, v14, v12 neg_lo:[1,1,0]
	v_dot4_i32_iu8 v23, v1, v15, v10 neg_lo:[1,1,0]
	s_delay_alu instid0(VALU_DEP_4) | instskip(NEXT) | instid1(VALU_DEP_4)
	v_dot4_i32_iu8 v22, v1, v17, v16 neg_lo:[1,1,0]
	v_dot4_i32_iu8 v5, v1, v11, v5 neg_lo:[1,1,0]
	s_and_not1_b32 exec_lo, exec_lo, s6
	s_cbranch_execnz .LBB68_37
; %bb.38:
	s_or_b32 exec_lo, exec_lo, s6
.LBB68_39:
	s_delay_alu instid0(SALU_CYCLE_1)
	s_or_b32 exec_lo, exec_lo, s2
.LBB68_40:
	s_delay_alu instid0(SALU_CYCLE_1)
	s_or_b32 exec_lo, exec_lo, s3
.LBB68_41:
	v_mbcnt_lo_u32_b32 v1, -1, 0
	s_mov_b32 s2, -1
	s_delay_alu instid0(VALU_DEP_1) | instskip(SKIP_1) | instid1(VALU_DEP_1)
	v_xor_b32_e32 v8, 8, v1
	v_xor_b32_e32 v2, 16, v1
	v_cmp_gt_i32_e32 vcc_lo, 32, v2
	v_cndmask_b32_e32 v2, v1, v2, vcc_lo
	s_delay_alu instid0(VALU_DEP_4) | instskip(SKIP_1) | instid1(VALU_DEP_1)
	v_cmp_gt_i32_e32 vcc_lo, 32, v8
	v_cndmask_b32_e32 v8, v1, v8, vcc_lo
	v_dual_lshlrev_b32 v8, 2, v8 :: v_dual_lshlrev_b32 v2, 2, v2
	ds_bpermute_b32 v3, v2, v24
	s_wait_dscnt 0x0
	v_add_nc_u32_e32 v3, v3, v24
	ds_bpermute_b32 v6, v2, v23
	ds_bpermute_b32 v7, v2, v22
	;; [unrolled: 1-line block ×3, first 2 shown]
	s_wait_dscnt 0x1
	v_dual_add_nc_u32 v6, v6, v23 :: v_dual_add_nc_u32 v7, v7, v22
	s_wait_dscnt 0x0
	v_add_nc_u32_e32 v2, v2, v5
	ds_bpermute_b32 v5, v8, v3
	v_xor_b32_e32 v11, 4, v1
	ds_bpermute_b32 v9, v8, v6
	ds_bpermute_b32 v10, v8, v7
	;; [unrolled: 1-line block ×3, first 2 shown]
	s_wait_dscnt 0x3
	v_add_nc_u32_e32 v3, v5, v3
	v_cmp_gt_i32_e32 vcc_lo, 32, v11
	s_wait_dscnt 0x1
	v_dual_add_nc_u32 v5, v9, v6 :: v_dual_add_nc_u32 v6, v10, v7
	s_wait_dscnt 0x0
	v_dual_cndmask_b32 v11, v1, v11 :: v_dual_add_nc_u32 v2, v8, v2
	s_delay_alu instid0(VALU_DEP_1)
	v_lshlrev_b32_e32 v11, 2, v11
	ds_bpermute_b32 v7, v11, v3
	ds_bpermute_b32 v8, v11, v5
	;; [unrolled: 1-line block ×4, first 2 shown]
	v_xor_b32_e32 v11, 2, v1
	s_delay_alu instid0(VALU_DEP_1) | instskip(SKIP_4) | instid1(VALU_DEP_2)
	v_cmp_gt_i32_e32 vcc_lo, 32, v11
	v_cndmask_b32_e32 v11, v1, v11, vcc_lo
	s_wait_dscnt 0x2
	v_dual_add_nc_u32 v3, v7, v3 :: v_dual_add_nc_u32 v7, v8, v5
	s_wait_dscnt 0x1
	v_dual_lshlrev_b32 v11, 2, v11 :: v_dual_add_nc_u32 v6, v9, v6
	s_wait_dscnt 0x0
	v_dual_add_nc_u32 v8, v10, v2 :: v_dual_bitop2_b32 v5, 1, v1 bitop3:0x14
	ds_bpermute_b32 v2, v11, v3
	ds_bpermute_b32 v9, v11, v7
	;; [unrolled: 1-line block ×4, first 2 shown]
	v_cmp_gt_i32_e32 vcc_lo, 32, v5
	v_cndmask_b32_e32 v1, v1, v5, vcc_lo
	v_cmp_eq_u32_e32 vcc_lo, 31, v0
	s_wait_dscnt 0x3
	s_delay_alu instid0(VALU_DEP_2)
	v_dual_add_nc_u32 v5, v2, v3 :: v_dual_lshlrev_b32 v12, 2, v1
	s_wait_dscnt 0x1
	v_dual_add_nc_u32 v3, v9, v7 :: v_dual_add_nc_u32 v2, v10, v6
	s_wait_dscnt 0x0
	v_add_nc_u32_e32 v1, v11, v8
	ds_bpermute_b32 v6, v12, v5
	ds_bpermute_b32 v7, v12, v3
	;; [unrolled: 1-line block ×4, first 2 shown]
	s_and_b32 exec_lo, exec_lo, vcc_lo
	s_cbranch_execz .LBB68_14
; %bb.42:
	s_load_b64 s[0:1], s[0:1], 0x50
	s_wait_dscnt 0x2
	v_dual_add_nc_u32 v0, v6, v5 :: v_dual_add_nc_u32 v3, v7, v3
	s_wait_dscnt 0x0
	v_dual_add_nc_u32 v2, v8, v2 :: v_dual_add_nc_u32 v5, v9, v1
	v_lshlrev_b32_e32 v4, 2, v4
	s_delay_alu instid0(VALU_DEP_3) | instskip(SKIP_1) | instid1(VALU_DEP_4)
	v_mul_lo_u32 v0, v0, s14
	v_mul_lo_u32 v1, v3, s14
	;; [unrolled: 1-line block ×4, first 2 shown]
	s_cmp_eq_u32 s15, 0
	s_cbranch_scc1 .LBB68_44
; %bb.43:
	v_ashrrev_i32_e32 v5, 31, v4
	s_mov_b32 s2, 0
	s_wait_kmcnt 0x0
	s_delay_alu instid0(VALU_DEP_1)
	v_lshl_add_u64 v[10:11], v[4:5], 2, s[0:1]
	global_load_b128 v[6:9], v[10:11], off
	s_wait_loadcnt 0x0
	v_mad_u32 v7, v7, s15, v1
	v_mad_u32 v6, v6, s15, v0
	;; [unrolled: 1-line block ×4, first 2 shown]
	global_store_b128 v[10:11], v[6:9], off
.LBB68_44:
	s_and_not1_b32 vcc_lo, exec_lo, s2
	s_cbranch_vccnz .LBB68_14
; %bb.45:
	v_ashrrev_i32_e32 v5, 31, v4
	s_wait_kmcnt 0x0
	s_delay_alu instid0(VALU_DEP_1)
	v_lshl_add_u64 v[4:5], v[4:5], 2, s[0:1]
	global_store_b128 v[4:5], v[0:3], off
	s_sendmsg sendmsg(MSG_DEALLOC_VGPRS)
	s_endpgm
	.section	.rodata,"a",@progbits
	.p2align	6, 0x0
	.amdhsa_kernel _ZN9rocsparseL18bsrxmvn_4x4_kernelILj128ELj32EiliaaiEEvT3_20rocsparse_direction_NS_24const_host_device_scalarIT1_EES1_PKS1_PKT2_SA_S7_PKT4_PKT5_S5_PT6_21rocsparse_index_base_b
		.amdhsa_group_segment_fixed_size 0
		.amdhsa_private_segment_fixed_size 0
		.amdhsa_kernarg_size 96
		.amdhsa_user_sgpr_count 2
		.amdhsa_user_sgpr_dispatch_ptr 0
		.amdhsa_user_sgpr_queue_ptr 0
		.amdhsa_user_sgpr_kernarg_segment_ptr 1
		.amdhsa_user_sgpr_dispatch_id 0
		.amdhsa_user_sgpr_kernarg_preload_length 0
		.amdhsa_user_sgpr_kernarg_preload_offset 0
		.amdhsa_user_sgpr_private_segment_size 0
		.amdhsa_wavefront_size32 1
		.amdhsa_uses_dynamic_stack 0
		.amdhsa_enable_private_segment 0
		.amdhsa_system_sgpr_workgroup_id_x 1
		.amdhsa_system_sgpr_workgroup_id_y 0
		.amdhsa_system_sgpr_workgroup_id_z 0
		.amdhsa_system_sgpr_workgroup_info 0
		.amdhsa_system_vgpr_workitem_id 0
		.amdhsa_next_free_vgpr 71
		.amdhsa_next_free_sgpr 16
		.amdhsa_named_barrier_count 0
		.amdhsa_reserve_vcc 1
		.amdhsa_float_round_mode_32 0
		.amdhsa_float_round_mode_16_64 0
		.amdhsa_float_denorm_mode_32 3
		.amdhsa_float_denorm_mode_16_64 3
		.amdhsa_fp16_overflow 0
		.amdhsa_memory_ordered 1
		.amdhsa_forward_progress 1
		.amdhsa_inst_pref_size 37
		.amdhsa_round_robin_scheduling 0
		.amdhsa_exception_fp_ieee_invalid_op 0
		.amdhsa_exception_fp_denorm_src 0
		.amdhsa_exception_fp_ieee_div_zero 0
		.amdhsa_exception_fp_ieee_overflow 0
		.amdhsa_exception_fp_ieee_underflow 0
		.amdhsa_exception_fp_ieee_inexact 0
		.amdhsa_exception_int_div_zero 0
	.end_amdhsa_kernel
	.section	.text._ZN9rocsparseL18bsrxmvn_4x4_kernelILj128ELj32EiliaaiEEvT3_20rocsparse_direction_NS_24const_host_device_scalarIT1_EES1_PKS1_PKT2_SA_S7_PKT4_PKT5_S5_PT6_21rocsparse_index_base_b,"axG",@progbits,_ZN9rocsparseL18bsrxmvn_4x4_kernelILj128ELj32EiliaaiEEvT3_20rocsparse_direction_NS_24const_host_device_scalarIT1_EES1_PKS1_PKT2_SA_S7_PKT4_PKT5_S5_PT6_21rocsparse_index_base_b,comdat
.Lfunc_end68:
	.size	_ZN9rocsparseL18bsrxmvn_4x4_kernelILj128ELj32EiliaaiEEvT3_20rocsparse_direction_NS_24const_host_device_scalarIT1_EES1_PKS1_PKT2_SA_S7_PKT4_PKT5_S5_PT6_21rocsparse_index_base_b, .Lfunc_end68-_ZN9rocsparseL18bsrxmvn_4x4_kernelILj128ELj32EiliaaiEEvT3_20rocsparse_direction_NS_24const_host_device_scalarIT1_EES1_PKS1_PKT2_SA_S7_PKT4_PKT5_S5_PT6_21rocsparse_index_base_b
                                        ; -- End function
	.set _ZN9rocsparseL18bsrxmvn_4x4_kernelILj128ELj32EiliaaiEEvT3_20rocsparse_direction_NS_24const_host_device_scalarIT1_EES1_PKS1_PKT2_SA_S7_PKT4_PKT5_S5_PT6_21rocsparse_index_base_b.num_vgpr, 71
	.set _ZN9rocsparseL18bsrxmvn_4x4_kernelILj128ELj32EiliaaiEEvT3_20rocsparse_direction_NS_24const_host_device_scalarIT1_EES1_PKS1_PKT2_SA_S7_PKT4_PKT5_S5_PT6_21rocsparse_index_base_b.num_agpr, 0
	.set _ZN9rocsparseL18bsrxmvn_4x4_kernelILj128ELj32EiliaaiEEvT3_20rocsparse_direction_NS_24const_host_device_scalarIT1_EES1_PKS1_PKT2_SA_S7_PKT4_PKT5_S5_PT6_21rocsparse_index_base_b.numbered_sgpr, 16
	.set _ZN9rocsparseL18bsrxmvn_4x4_kernelILj128ELj32EiliaaiEEvT3_20rocsparse_direction_NS_24const_host_device_scalarIT1_EES1_PKS1_PKT2_SA_S7_PKT4_PKT5_S5_PT6_21rocsparse_index_base_b.num_named_barrier, 0
	.set _ZN9rocsparseL18bsrxmvn_4x4_kernelILj128ELj32EiliaaiEEvT3_20rocsparse_direction_NS_24const_host_device_scalarIT1_EES1_PKS1_PKT2_SA_S7_PKT4_PKT5_S5_PT6_21rocsparse_index_base_b.private_seg_size, 0
	.set _ZN9rocsparseL18bsrxmvn_4x4_kernelILj128ELj32EiliaaiEEvT3_20rocsparse_direction_NS_24const_host_device_scalarIT1_EES1_PKS1_PKT2_SA_S7_PKT4_PKT5_S5_PT6_21rocsparse_index_base_b.uses_vcc, 1
	.set _ZN9rocsparseL18bsrxmvn_4x4_kernelILj128ELj32EiliaaiEEvT3_20rocsparse_direction_NS_24const_host_device_scalarIT1_EES1_PKS1_PKT2_SA_S7_PKT4_PKT5_S5_PT6_21rocsparse_index_base_b.uses_flat_scratch, 0
	.set _ZN9rocsparseL18bsrxmvn_4x4_kernelILj128ELj32EiliaaiEEvT3_20rocsparse_direction_NS_24const_host_device_scalarIT1_EES1_PKS1_PKT2_SA_S7_PKT4_PKT5_S5_PT6_21rocsparse_index_base_b.has_dyn_sized_stack, 0
	.set _ZN9rocsparseL18bsrxmvn_4x4_kernelILj128ELj32EiliaaiEEvT3_20rocsparse_direction_NS_24const_host_device_scalarIT1_EES1_PKS1_PKT2_SA_S7_PKT4_PKT5_S5_PT6_21rocsparse_index_base_b.has_recursion, 0
	.set _ZN9rocsparseL18bsrxmvn_4x4_kernelILj128ELj32EiliaaiEEvT3_20rocsparse_direction_NS_24const_host_device_scalarIT1_EES1_PKS1_PKT2_SA_S7_PKT4_PKT5_S5_PT6_21rocsparse_index_base_b.has_indirect_call, 0
	.section	.AMDGPU.csdata,"",@progbits
; Kernel info:
; codeLenInByte = 4696
; TotalNumSgprs: 18
; NumVgprs: 71
; ScratchSize: 0
; MemoryBound: 0
; FloatMode: 240
; IeeeMode: 1
; LDSByteSize: 0 bytes/workgroup (compile time only)
; SGPRBlocks: 0
; VGPRBlocks: 4
; NumSGPRsForWavesPerEU: 18
; NumVGPRsForWavesPerEU: 71
; NamedBarCnt: 0
; Occupancy: 12
; WaveLimiterHint : 1
; COMPUTE_PGM_RSRC2:SCRATCH_EN: 0
; COMPUTE_PGM_RSRC2:USER_SGPR: 2
; COMPUTE_PGM_RSRC2:TRAP_HANDLER: 0
; COMPUTE_PGM_RSRC2:TGID_X_EN: 1
; COMPUTE_PGM_RSRC2:TGID_Y_EN: 0
; COMPUTE_PGM_RSRC2:TGID_Z_EN: 0
; COMPUTE_PGM_RSRC2:TIDIG_COMP_CNT: 0
	.section	.text._ZN9rocsparseL18bsrxmvn_4x4_kernelILj128ELj64EiliaaiEEvT3_20rocsparse_direction_NS_24const_host_device_scalarIT1_EES1_PKS1_PKT2_SA_S7_PKT4_PKT5_S5_PT6_21rocsparse_index_base_b,"axG",@progbits,_ZN9rocsparseL18bsrxmvn_4x4_kernelILj128ELj64EiliaaiEEvT3_20rocsparse_direction_NS_24const_host_device_scalarIT1_EES1_PKS1_PKT2_SA_S7_PKT4_PKT5_S5_PT6_21rocsparse_index_base_b,comdat
	.globl	_ZN9rocsparseL18bsrxmvn_4x4_kernelILj128ELj64EiliaaiEEvT3_20rocsparse_direction_NS_24const_host_device_scalarIT1_EES1_PKS1_PKT2_SA_S7_PKT4_PKT5_S5_PT6_21rocsparse_index_base_b ; -- Begin function _ZN9rocsparseL18bsrxmvn_4x4_kernelILj128ELj64EiliaaiEEvT3_20rocsparse_direction_NS_24const_host_device_scalarIT1_EES1_PKS1_PKT2_SA_S7_PKT4_PKT5_S5_PT6_21rocsparse_index_base_b
	.p2align	8
	.type	_ZN9rocsparseL18bsrxmvn_4x4_kernelILj128ELj64EiliaaiEEvT3_20rocsparse_direction_NS_24const_host_device_scalarIT1_EES1_PKS1_PKT2_SA_S7_PKT4_PKT5_S5_PT6_21rocsparse_index_base_b,@function
_ZN9rocsparseL18bsrxmvn_4x4_kernelILj128ELj64EiliaaiEEvT3_20rocsparse_direction_NS_24const_host_device_scalarIT1_EES1_PKS1_PKT2_SA_S7_PKT4_PKT5_S5_PT6_21rocsparse_index_base_b: ; @_ZN9rocsparseL18bsrxmvn_4x4_kernelILj128ELj64EiliaaiEEvT3_20rocsparse_direction_NS_24const_host_device_scalarIT1_EES1_PKS1_PKT2_SA_S7_PKT4_PKT5_S5_PT6_21rocsparse_index_base_b
; %bb.0:
	s_clause 0x1
	s_load_b64 s[12:13], s[0:1], 0x58
	s_load_b64 s[4:5], s[0:1], 0x8
	s_mov_b32 s7, -1
                                        ; implicit-def: $sgpr14
	s_wait_kmcnt 0x0
	s_bitcmp1_b32 s13, 0
	s_cselect_b32 s2, -1, 0
	s_delay_alu instid0(SALU_CYCLE_1) | instskip(NEXT) | instid1(SALU_CYCLE_1)
	s_xor_b32 s6, s2, -1
	s_and_b32 vcc_lo, exec_lo, s6
	s_cbranch_vccnz .LBB69_4
; %bb.1:
	s_load_b64 s[2:3], s[0:1], 0x48
	s_and_not1_b32 vcc_lo, exec_lo, s7
	s_cbranch_vccz .LBB69_5
.LBB69_2:
	s_and_b32 vcc_lo, exec_lo, s6
	s_cbranch_vccz .LBB69_6
.LBB69_3:
	s_wait_kmcnt 0x0
	s_load_b32 s15, s[2:3], 0x0
	s_wait_xcnt 0x0
	s_cbranch_execz .LBB69_7
	s_branch .LBB69_8
.LBB69_4:
	s_load_b32 s14, s[4:5], 0x0
	s_load_b64 s[2:3], s[0:1], 0x48
	s_cbranch_execnz .LBB69_2
.LBB69_5:
	s_wait_kmcnt 0x0
	s_mov_b32 s14, s4
	s_and_b32 vcc_lo, exec_lo, s6
	s_cbranch_vccnz .LBB69_3
.LBB69_6:
	s_wait_kmcnt 0x0
                                        ; implicit-def: $sgpr15
.LBB69_7:
	s_wait_kmcnt 0x0
	s_mov_b32 s15, s2
.LBB69_8:
	s_cmp_lg_u32 s14, 0
	s_mov_b32 s6, 0
	s_cselect_b32 s2, -1, 0
	s_wait_kmcnt 0x0
	s_cmp_lg_u32 s15, 1
	s_cselect_b32 s3, -1, 0
	s_delay_alu instid0(SALU_CYCLE_1) | instskip(NEXT) | instid1(SALU_CYCLE_1)
	s_or_b32 s2, s2, s3
	s_and_not1_b32 vcc_lo, exec_lo, s2
	s_cbranch_vccnz .LBB69_14
; %bb.9:
	s_clause 0x1
	s_load_b64 s[4:5], s[0:1], 0x18
	s_load_b64 s[2:3], s[0:1], 0x0
	s_bfe_u32 s7, ttmp6, 0x4000c
	s_and_b32 s8, ttmp6, 15
	s_add_co_i32 s7, s7, 1
	s_getreg_b32 s9, hwreg(HW_REG_IB_STS2, 6, 4)
	s_mul_i32 s7, ttmp9, s7
	v_lshrrev_b32_e32 v1, 6, v0
	s_add_co_i32 s8, s8, s7
	s_cmp_eq_u32 s9, 0
	s_cselect_b32 s7, ttmp9, s8
	s_delay_alu instid0(VALU_DEP_1) | instid1(SALU_CYCLE_1)
	v_lshl_or_b32 v4, s7, 1, v1
	s_wait_kmcnt 0x0
	s_cmp_lg_u64 s[4:5], 0
	s_cbranch_scc0 .LBB69_15
; %bb.10:
	s_load_b32 s6, s[0:1], 0x10
	s_mov_b32 s7, 0
                                        ; implicit-def: $vgpr1
	s_wait_kmcnt 0x0
	v_cmp_gt_i32_e32 vcc_lo, s6, v4
	s_mov_b32 s6, 0
	s_and_saveexec_b32 s8, vcc_lo
	s_delay_alu instid0(SALU_CYCLE_1)
	s_xor_b32 s8, exec_lo, s8
	s_cbranch_execz .LBB69_12
; %bb.11:
	global_load_b32 v1, v4, s[4:5] scale_offset
	s_mov_b32 s6, exec_lo
	s_wait_loadcnt 0x0
	v_subrev_nc_u32_e32 v1, s12, v1
.LBB69_12:
	s_or_b32 exec_lo, exec_lo, s8
	s_delay_alu instid0(SALU_CYCLE_1)
	s_and_b32 vcc_lo, exec_lo, s7
	s_cbranch_vccz .LBB69_16
.LBB69_13:
	v_cmp_gt_i32_e32 vcc_lo, s2, v4
	s_and_not1_b32 s2, s6, exec_lo
	s_and_b32 s4, vcc_lo, exec_lo
	s_delay_alu instid0(SALU_CYCLE_1) | instskip(NEXT) | instid1(SALU_CYCLE_1)
	s_or_b32 s6, s2, s4
	s_and_saveexec_b32 s2, s6
	s_cbranch_execnz .LBB69_17
.LBB69_14:
	s_endpgm
.LBB69_15:
                                        ; implicit-def: $vgpr1
	s_cbranch_execnz .LBB69_13
.LBB69_16:
	s_delay_alu instid0(VALU_DEP_1)
	v_mov_b32_e32 v4, v1
	s_and_saveexec_b32 s2, s6
	s_cbranch_execz .LBB69_14
.LBB69_17:
	s_load_b256 s[4:11], s[0:1], 0x20
	s_mov_b32 s13, 0
	v_dual_mov_b32 v1, 0 :: v_dual_bitop2_b32 v0, 63, v0 bitop3:0x40
	s_wait_kmcnt 0x0
	s_cmp_eq_u64 s[6:7], 0
	global_load_b64 v[12:13], v4, s[4:5] scale_offset
	s_cselect_b32 vcc_lo, -1, 0
	v_ashrrev_i32_e32 v5, 31, v4
	s_cmp_eq_u32 s3, 1
	s_delay_alu instid0(VALU_DEP_1) | instskip(NEXT) | instid1(VALU_DEP_1)
	v_lshlrev_b64_e32 v[2:3], 3, v[4:5]
	v_add_nc_u64_e32 v[6:7], s[4:5], v[2:3]
	v_add_nc_u64_e32 v[2:3], s[6:7], v[2:3]
	s_wait_xcnt 0x0
	s_load_b64 s[4:5], s[0:1], 0x40
	s_delay_alu instid0(VALU_DEP_2) | instskip(NEXT) | instid1(VALU_DEP_1)
	v_add_nc_u64_e32 v[6:7], 8, v[6:7]
	v_dual_cndmask_b32 v3, v3, v7 :: v_dual_cndmask_b32 v2, v2, v6
	global_load_b64 v[2:3], v[2:3], off
	s_wait_loadcnt 0x1
	v_sub_nc_u64_e64 v[6:7], v[12:13], s[12:13]
	s_delay_alu instid0(VALU_DEP_1) | instskip(SKIP_2) | instid1(VALU_DEP_2)
	v_add_nc_u64_e32 v[10:11], v[6:7], v[0:1]
	s_wait_loadcnt 0x0
	v_sub_nc_u64_e64 v[14:15], v[2:3], s[12:13]
	v_lshl_add_u64 v[2:3], v[10:11], 4, s[10:11]
	s_delay_alu instid0(VALU_DEP_2)
	v_cmp_lt_i64_e64 s2, v[10:11], v[14:15]
	s_cbranch_scc1 .LBB69_29
; %bb.18:
	v_dual_mov_b32 v7, v1 :: v_dual_mov_b32 v6, v1
	v_dual_mov_b32 v9, v1 :: v_dual_mov_b32 v8, v1
	s_and_saveexec_b32 s3, s2
	s_cbranch_execz .LBB69_28
; %bb.19:
	v_dual_mov_b32 v7, v1 :: v_dual_bitop2_b32 v6, 64, v0 bitop3:0x54
	v_sub_nc_u64_e32 v[8:9], s[12:13], v[0:1]
	v_not_b32_e32 v17, v13
	v_not_b32_e32 v16, v12
	v_mov_b64_e32 v[20:21], v[10:11]
	v_sub_nc_u64_e64 v[6:7], v[6:7], s[12:13]
	s_delay_alu instid0(VALU_DEP_3) | instskip(NEXT) | instid1(VALU_DEP_2)
	v_add_nc_u64_e32 v[8:9], v[8:9], v[16:17]
	v_add_nc_u64_e32 v[6:7], v[6:7], v[12:13]
	s_delay_alu instid0(VALU_DEP_1) | instskip(NEXT) | instid1(VALU_DEP_1)
	v_max_i64 v[6:7], v[6:7], v[14:15]
	v_add_nc_u64_e32 v[16:17], v[8:9], v[6:7]
	v_dual_mov_b32 v8, 0 :: v_dual_mov_b32 v9, 0
	v_dual_mov_b32 v6, 0 :: v_dual_mov_b32 v7, 0
	s_delay_alu instid0(VALU_DEP_3) | instskip(SKIP_2) | instid1(VALU_DEP_3)
	v_lshrrev_b64 v[18:19], 6, v[16:17]
	v_cmp_lt_u64_e32 vcc_lo, 0xbf, v[16:17]
	v_mov_b64_e32 v[16:17], v[2:3]
	v_add_nc_u64_e32 v[18:19], 1, v[18:19]
	s_and_saveexec_b32 s6, vcc_lo
	s_cbranch_execz .LBB69_23
; %bb.20:
	v_lshl_add_u64 v[8:9], v[10:11], 2, s[8:9]
	v_mov_b64_e32 v[16:17], v[2:3]
	v_mov_b64_e32 v[20:21], v[10:11]
	s_delay_alu instid0(VALU_DEP_4) | instskip(NEXT) | instid1(VALU_DEP_4)
	v_dual_mov_b32 v23, v19 :: v_dual_bitop2_b32 v22, -4, v18 bitop3:0x40
	v_add_nc_u64_e32 v[24:25], 0x200, v[8:9]
	v_dual_mov_b32 v7, 0 :: v_dual_mov_b32 v6, 0
	v_dual_mov_b32 v9, 0 :: v_dual_mov_b32 v8, 0
	s_mov_b32 s7, 0
.LBB69_21:                              ; =>This Inner Loop Header: Depth=1
	s_clause 0x3
	global_load_b32 v5, v[24:25], off offset:-512
	global_load_b32 v19, v[24:25], off offset:-256
	global_load_b32 v42, v[24:25], off
	global_load_b32 v43, v[24:25], off offset:256
	s_clause 0x3
	global_load_b128 v[26:29], v[16:17], off offset:1024
	global_load_b128 v[30:33], v[16:17], off offset:2048
	;; [unrolled: 1-line block ×3, first 2 shown]
	global_load_b128 v[38:41], v[16:17], off
	v_add_nc_u64_e32 v[22:23], -4, v[22:23]
	s_wait_xcnt 0x0
	v_add_nc_u64_e32 v[16:17], 0x1000, v[16:17]
	v_add_nc_u64_e32 v[20:21], 0x100, v[20:21]
	;; [unrolled: 1-line block ×3, first 2 shown]
	s_delay_alu instid0(VALU_DEP_4)
	v_cmp_eq_u64_e32 vcc_lo, 0, v[22:23]
	s_or_b32 s7, vcc_lo, s7
	s_wait_loadcnt 0x7
	v_subrev_nc_u32_e32 v5, s12, v5
	s_wait_loadcnt 0x6
	v_subrev_nc_u32_e32 v19, s12, v19
	;; [unrolled: 2-line block ×4, first 2 shown]
	s_wait_kmcnt 0x0
	s_clause 0x3
	global_load_b32 v44, v5, s[4:5] scale_offset
	global_load_b32 v45, v19, s[4:5] scale_offset
	;; [unrolled: 1-line block ×4, first 2 shown]
	s_wait_loadcnt 0x7
	s_wait_xcnt 0x3
	v_lshrrev_b16 v5, 8, v29
	s_wait_loadcnt 0x4
	v_perm_b32 v54, v33, v41, 0xc0c0501
	s_wait_xcnt 0x2
	v_bfe_i32 v19, v26, 0, 8
	s_wait_xcnt 0x1
	v_dual_ashrrev_i32 v42, 24, v29 :: v_dual_ashrrev_i32 v49, 24, v34
	v_bfe_i32 v5, v5, 0, 8
	v_perm_b32 v26, v26, v26, 0xc030201
	s_wait_xcnt 0x0
	v_bfe_i32 v43, v29, 16, 8
	v_bfe_i32 v29, v29, 0, 8
	v_perm_b32 v53, v33, v41, 0xc0c0703
	v_perm_b32 v55, v33, v41, 0xc0c0602
	;; [unrolled: 1-line block ×3, first 2 shown]
	v_bfe_i32 v48, v30, 0, 8
	v_bfe_i32 v52, v37, 16, 8
	v_perm_b32 v30, v34, v30, 0x4030201
	v_bfe_i32 v50, v37, 0, 8
	v_bfe_i32 v51, v37, 8, 8
	v_perm_b32 v34, v34, v34, 0xc0c0201
	v_ashrrev_i32_e32 v37, 24, v37
	v_perm_b32 v35, v35, v35, 0x7060100
	s_wait_loadcnt 0x3
	v_dot4_i32_iu8 v9, v44, v39, v9 neg_lo:[1,1,0]
	s_wait_loadcnt 0x2
	v_lshrrev_b16 v39, 8, v45
	s_wait_loadcnt 0x1
	v_perm_b32 v62, v46, v44, 0xc0c0501
	v_dot4_i32_iu8 v8, v44, v38, v8 neg_lo:[1,1,0]
	v_dot4_i32_iu8 v6, v44, v40, v6 neg_lo:[1,1,0]
	v_bfe_i32 v38, v45, 0, 8
	v_bfe_i32 v39, v39, 0, 8
	v_bfe_i32 v41, v45, 16, 8
	v_perm_b32 v56, v45, v45, 0xc030201
	v_perm_b32 v59, v46, v44, 0xc0c0703
	v_mad_i32_i24 v8, v38, v19, v8
	v_mul_i32_i24_e32 v5, v5, v39
	v_bfe_i32 v57, v46, 0, 8
	s_wait_loadcnt 0x0
	v_bfe_i32 v58, v47, 16, 8
	v_mul_i32_i24_e32 v41, v43, v41
	v_perm_b32 v43, v46, v44, 0xc0c0602
	v_dot4_i32_iu8 v5, v54, v62, v5 neg_lo:[1,1,0]
	v_ashrrev_i32_e32 v40, 24, v45
	v_perm_b32 v44, v46, v44, 0xc0c0400
	v_mul_i32_i24_e32 v29, v29, v38
	v_dot4_i32_iu8 v8, v56, v26, v8 neg_lo:[1,1,0]
	v_bfe_i32 v61, v47, 8, 8
	v_mul_i32_i24_e32 v40, v42, v40
	v_bfe_i32 v63, v47, 0, 8
	v_perm_b32 v19, v47, v46, 0x4030201
	v_dot4_i32_iu8 v9, v45, v27, v9 neg_lo:[1,1,0]
	v_mul_i32_i24_e32 v27, v52, v58
	v_dot4_i32_iu8 v26, v53, v59, v40 neg_lo:[1,1,0]
	v_dot4_i32_iu8 v38, v55, v43, v41 neg_lo:[1,1,0]
	;; [unrolled: 1-line block ×3, first 2 shown]
	v_mad_i32_i24 v8, v57, v48, v8
	s_delay_alu instid0(VALU_DEP_4)
	v_dual_ashrrev_i32 v60, 24, v47 :: v_dual_add_nc_u32 v5, v5, v26
	v_perm_b32 v42, v47, v47, 0xc0c0201
	v_dot4_i32_iu8 v6, v45, v28, v6 neg_lo:[1,1,0]
	v_mul_i32_i24_e32 v26, v63, v50
	v_mad_i32_i24 v27, v61, v51, v27
	v_dot4_i32_iu8 v8, v19, v30, v8 neg_lo:[1,1,0]
	v_add3_u32 v5, v29, v38, v5
	v_mul_i32_i24_e32 v19, v37, v60
	v_dot4_i32_iu8 v9, v46, v31, v9 neg_lo:[1,1,0]
	v_dot4_i32_iu8 v6, v46, v32, v6 neg_lo:[1,1,0]
	;; [unrolled: 1-line block ×3, first 2 shown]
	v_add3_u32 v5, v5, v26, v27
	s_delay_alu instid0(VALU_DEP_4) | instskip(NEXT) | instid1(VALU_DEP_4)
	v_dot4_i32_iu8 v9, v35, v47, v9 neg_lo:[1,1,0]
	v_dot4_i32_iu8 v6, v36, v47, v6 neg_lo:[1,1,0]
	s_delay_alu instid0(VALU_DEP_4) | instskip(NEXT) | instid1(VALU_DEP_4)
	v_mad_i32_i24 v8, v60, v49, v8
	v_add3_u32 v7, v5, v7, v19
	s_and_not1_b32 exec_lo, exec_lo, s7
	s_cbranch_execnz .LBB69_21
; %bb.22:
	s_or_b32 exec_lo, exec_lo, s7
.LBB69_23:
	s_delay_alu instid0(SALU_CYCLE_1) | instskip(NEXT) | instid1(VALU_DEP_1)
	s_or_b32 exec_lo, exec_lo, s6
	v_dual_mov_b32 v19, 0 :: v_dual_bitop2_b32 v18, 3, v18 bitop3:0x40
	s_mov_b32 s6, exec_lo
	s_delay_alu instid0(VALU_DEP_1)
	v_cmpx_ne_u64_e32 0, v[18:19]
	s_cbranch_execz .LBB69_27
; %bb.24:
	v_lshl_add_u64 v[20:21], v[20:21], 2, s[8:9]
	v_lshlrev_b32_e32 v18, 2, v18
	s_mov_b32 s7, 0
.LBB69_25:                              ; =>This Inner Loop Header: Depth=1
	global_load_b32 v5, v[20:21], off
	v_add_nc_u64_e32 v[18:19], -4, v[18:19]
	s_wait_xcnt 0x0
	v_add_nc_u64_e32 v[20:21], 0x100, v[20:21]
	s_delay_alu instid0(VALU_DEP_2)
	v_cmp_eq_u64_e32 vcc_lo, 0, v[18:19]
	s_or_b32 s7, vcc_lo, s7
	s_wait_loadcnt 0x0
	v_subrev_nc_u32_e32 v5, s12, v5
	global_load_b128 v[22:25], v[16:17], off
	s_wait_kmcnt 0x0
	global_load_b32 v26, v5, s[4:5] scale_offset
	s_wait_xcnt 0x1
	v_add_nc_u64_e32 v[16:17], 0x400, v[16:17]
	s_wait_loadcnt 0x0
	v_dot4_i32_iu8 v8, v22, v26, v8 neg_lo:[1,1,0]
	v_dot4_i32_iu8 v9, v23, v26, v9 neg_lo:[1,1,0]
	;; [unrolled: 1-line block ×4, first 2 shown]
	s_and_not1_b32 exec_lo, exec_lo, s7
	s_cbranch_execnz .LBB69_25
; %bb.26:
	s_or_b32 exec_lo, exec_lo, s7
.LBB69_27:
	s_delay_alu instid0(SALU_CYCLE_1)
	s_or_b32 exec_lo, exec_lo, s6
.LBB69_28:
	s_delay_alu instid0(SALU_CYCLE_1)
	s_or_b32 exec_lo, exec_lo, s3
	s_cbranch_execz .LBB69_30
	s_branch .LBB69_41
.LBB69_29:
                                        ; implicit-def: $vgpr7
                                        ; implicit-def: $vgpr9
.LBB69_30:
	v_dual_mov_b32 v7, 0 :: v_dual_mov_b32 v6, 0
	v_dual_mov_b32 v9, 0 :: v_dual_mov_b32 v8, 0
	s_and_saveexec_b32 s3, s2
	s_cbranch_execz .LBB69_40
; %bb.31:
	v_dual_mov_b32 v7, v1 :: v_dual_bitop2_b32 v6, 64, v0 bitop3:0x54
	v_sub_nc_u64_e32 v[8:9], s[12:13], v[0:1]
	s_delay_alu instid0(VALU_DEP_2) | instskip(NEXT) | instid1(VALU_DEP_1)
	v_sub_nc_u64_e64 v[6:7], v[6:7], s[12:13]
	v_add_nc_u64_e32 v[6:7], v[6:7], v[12:13]
	v_not_b32_e32 v13, v13
	v_not_b32_e32 v12, v12
	s_delay_alu instid0(VALU_DEP_1) | instskip(NEXT) | instid1(VALU_DEP_4)
	v_add_nc_u64_e32 v[8:9], v[8:9], v[12:13]
	v_max_i64 v[6:7], v[6:7], v[14:15]
	s_delay_alu instid0(VALU_DEP_1) | instskip(SKIP_1) | instid1(VALU_DEP_2)
	v_add_nc_u64_e32 v[6:7], v[8:9], v[6:7]
	v_mov_b64_e32 v[8:9], 0
	v_lshrrev_b64 v[12:13], 6, v[6:7]
	v_cmp_lt_u64_e32 vcc_lo, 0xbf, v[6:7]
	v_mov_b64_e32 v[6:7], 0
	s_delay_alu instid0(VALU_DEP_3)
	v_add_nc_u64_e32 v[12:13], 1, v[12:13]
	s_and_saveexec_b32 s2, vcc_lo
	s_cbranch_execz .LBB69_35
; %bb.32:
	v_lshl_add_u64 v[8:9], v[10:11], 2, s[8:9]
	s_delay_alu instid0(VALU_DEP_2) | instskip(SKIP_1) | instid1(VALU_DEP_3)
	v_dual_mov_b32 v15, v13 :: v_dual_bitop2_b32 v14, -4, v12 bitop3:0x40
	v_dual_mov_b32 v6, 0 :: v_dual_mov_b32 v7, 0
	v_add_nc_u64_e32 v[16:17], 0x200, v[8:9]
	v_dual_mov_b32 v8, 0 :: v_dual_mov_b32 v9, 0
	s_mov_b32 s6, 0
.LBB69_33:                              ; =>This Inner Loop Header: Depth=1
	s_clause 0x3
	global_load_b32 v1, v[16:17], off offset:-512
	global_load_b32 v5, v[16:17], off offset:256
	global_load_b32 v13, v[16:17], off offset:-256
	global_load_b32 v34, v[16:17], off
	s_clause 0x3
	global_load_b128 v[18:21], v[2:3], off
	global_load_b128 v[22:25], v[2:3], off offset:1024
	global_load_b128 v[26:29], v[2:3], off offset:2048
	;; [unrolled: 1-line block ×3, first 2 shown]
	v_add_nc_u64_e32 v[14:15], -4, v[14:15]
	s_wait_xcnt 0x0
	v_add_nc_u64_e32 v[2:3], 0x1000, v[2:3]
	v_add_nc_u64_e32 v[10:11], 0x100, v[10:11]
	;; [unrolled: 1-line block ×3, first 2 shown]
	s_delay_alu instid0(VALU_DEP_4)
	v_cmp_eq_u64_e32 vcc_lo, 0, v[14:15]
	s_or_b32 s6, vcc_lo, s6
	s_wait_loadcnt 0x7
	v_subrev_nc_u32_e32 v1, s12, v1
	s_wait_loadcnt 0x6
	v_subrev_nc_u32_e32 v5, s12, v5
	s_wait_loadcnt 0x5
	v_subrev_nc_u32_e32 v13, s12, v13
	s_wait_loadcnt 0x4
	v_subrev_nc_u32_e32 v34, s12, v34
	s_wait_loadcnt 0x3
	v_perm_b32 v39, v20, v19, 0xc07030c
	s_wait_kmcnt 0x0
	s_clause 0x3
	global_load_b32 v35, v1, s[4:5] scale_offset
	global_load_b32 v36, v5, s[4:5] scale_offset
	;; [unrolled: 1-line block ×4, first 2 shown]
	s_wait_xcnt 0x3
	v_perm_b32 v1, v20, v19, 0xc05010c
	s_wait_xcnt 0x2
	v_perm_b32 v5, v18, v18, 0xc0c0c01
	;; [unrolled: 2-line block ×4, first 2 shown]
	v_perm_b32 v19, v20, v19, 0xc06020c
	s_wait_loadcnt 0x6
	v_perm_b32 v20, v22, v21, 0xc0c0400
	v_perm_b32 v41, v24, v23, 0x4000c0c
	;; [unrolled: 1-line block ×4, first 2 shown]
	s_wait_loadcnt 0x5
	v_perm_b32 v44, v26, v25, 0xc0c0501
	v_perm_b32 v45, v28, v27, 0x5010c0c
	;; [unrolled: 1-line block ×4, first 2 shown]
	s_wait_loadcnt 0x4
	v_dual_lshrrev_b32 v48, 8, v33 :: v_dual_lshrrev_b32 v49, 24, v33
	v_perm_b32 v51, v30, v29, 0xc0c0400
	v_perm_b32 v53, v30, v29, 0xc0c0501
	;; [unrolled: 1-line block ×14, first 2 shown]
	v_lshrrev_b32_e32 v50, 16, v33
	v_perm_b32 v52, v32, v31, 0x4000c0c
	v_perm_b32 v54, v32, v31, 0x5010c0c
	v_bfe_i32 v31, v33, 0, 8
	v_or_b32_e32 v1, v1, v5
	v_or_b32_e32 v5, v13, v34
	;; [unrolled: 1-line block ×4, first 2 shown]
	v_bfe_i32 v23, v48, 0, 8
	v_or_b32_e32 v25, v26, v25
	v_or_b32_e32 v26, v28, v27
	;; [unrolled: 1-line block ×3, first 2 shown]
	v_perm_b32 v40, v18, v18, 0xc0c0c03
	v_perm_b32 v18, v18, v18, 0xc0c0c02
	;; [unrolled: 1-line block ×3, first 2 shown]
	v_bfe_i32 v24, v50, 0, 8
	v_or_b32_e32 v34, v52, v51
	s_delay_alu instid0(VALU_DEP_4) | instskip(SKIP_2) | instid1(VALU_DEP_1)
	v_or_b32_e32 v18, v19, v18
	v_or_b32_e32 v19, v41, v20
	v_bfe_i32 v41, v49, 0, 8
	v_perm_b32 v24, v41, v24, 0x5040100
	s_wait_loadcnt 0x3
	v_perm_b32 v28, v35, v35, 0xc020100
	s_wait_loadcnt 0x2
	v_lshrrev_b32_e32 v29, 24, v36
	s_wait_loadcnt 0x1
	v_perm_b32 v30, v37, v35, 0x6050403
	s_wait_loadcnt 0x0
	v_perm_b32 v31, v38, v37, 0x6050403
	v_perm_b32 v35, v36, v38, 0x6050403
	v_dot4_i32_iu8 v5, v28, v5, v8 neg_lo:[1,1,0]
	v_bfe_i32 v8, v29, 0, 8
	v_dot4_i32_iu8 v1, v28, v1, v9 neg_lo:[1,1,0]
	s_delay_alu instid0(VALU_DEP_3) | instskip(NEXT) | instid1(VALU_DEP_3)
	v_dot4_i32_iu8 v5, v30, v19, v5 neg_lo:[1,1,0]
	v_pk_mul_lo_u16 v9, v8, v23 op_sel_hi:[0,1]
	v_or_b32_e32 v13, v39, v40
	v_pk_mul_lo_u16 v8, v8, v24 op_sel_hi:[0,1]
	v_or_b32_e32 v40, v56, v55
	v_or_b32_e32 v39, v54, v53
	s_delay_alu instid0(VALU_DEP_4) | instskip(SKIP_3) | instid1(VALU_DEP_4)
	v_dot4_i32_iu8 v7, v28, v13, v7 neg_lo:[1,1,0]
	v_bfe_i32 v13, v9, 0, 16
	v_dual_ashrrev_i32 v9, 16, v9 :: v_dual_bitop2_b32 v20, v43, v42 bitop3:0x54
	v_ashrrev_i32_e32 v19, 16, v8
	v_dot4_i32_iu8 v7, v30, v21, v7 neg_lo:[1,1,0]
	v_dot4_i32_iu8 v6, v28, v18, v6 neg_lo:[1,1,0]
	v_or_b32_e32 v33, v47, v46
	v_dot4_i32_iu8 v1, v30, v20, v1 neg_lo:[1,1,0]
	v_bfe_i32 v18, v8, 0, 16
	v_dot4_i32_iu8 v7, v31, v22, v7 neg_lo:[1,1,0]
	v_dot4_i32_iu8 v6, v30, v40, v6 neg_lo:[1,1,0]
	;; [unrolled: 1-line block ×3, first 2 shown]
	s_delay_alu instid0(VALU_DEP_3) | instskip(SKIP_1) | instid1(VALU_DEP_4)
	v_dot4_i32_iu8 v7, v35, v27, v7 neg_lo:[1,1,0]
	v_or_b32_e32 v32, v45, v44
	v_dot4_i32_iu8 v6, v31, v25, v6 neg_lo:[1,1,0]
	s_delay_alu instid0(VALU_DEP_4) | instskip(NEXT) | instid1(VALU_DEP_4)
	v_dot4_i32_iu8 v5, v35, v34, v5 neg_lo:[1,1,0]
	v_add_nc_u32_e32 v7, v7, v19
	s_delay_alu instid0(VALU_DEP_4) | instskip(NEXT) | instid1(VALU_DEP_4)
	v_dot4_i32_iu8 v1, v31, v32, v1 neg_lo:[1,1,0]
	v_dot4_i32_iu8 v6, v35, v26, v6 neg_lo:[1,1,0]
	s_delay_alu instid0(VALU_DEP_4) | instskip(NEXT) | instid1(VALU_DEP_3)
	v_add_nc_u32_e32 v8, v5, v13
	v_dot4_i32_iu8 v1, v35, v39, v1 neg_lo:[1,1,0]
	s_delay_alu instid0(VALU_DEP_1)
	v_dual_add_nc_u32 v6, v6, v18 :: v_dual_add_nc_u32 v9, v1, v9
	s_and_not1_b32 exec_lo, exec_lo, s6
	s_cbranch_execnz .LBB69_33
; %bb.34:
	s_or_b32 exec_lo, exec_lo, s6
.LBB69_35:
	s_delay_alu instid0(SALU_CYCLE_1) | instskip(NEXT) | instid1(VALU_DEP_1)
	s_or_b32 exec_lo, exec_lo, s2
	v_dual_mov_b32 v13, 0 :: v_dual_bitop2_b32 v12, 3, v12 bitop3:0x40
	s_mov_b32 s2, exec_lo
	s_delay_alu instid0(VALU_DEP_1)
	v_cmpx_ne_u64_e32 0, v[12:13]
	s_cbranch_execz .LBB69_39
; %bb.36:
	v_lshl_add_u64 v[10:11], v[10:11], 2, s[8:9]
	v_lshlrev_b32_e32 v12, 2, v12
	s_mov_b32 s6, 0
.LBB69_37:                              ; =>This Inner Loop Header: Depth=1
	global_load_b32 v1, v[10:11], off
	global_load_b128 v[14:17], v[2:3], off
	v_add_nc_u64_e32 v[12:13], -4, v[12:13]
	s_wait_xcnt 0x0
	v_add_nc_u64_e32 v[2:3], 0x400, v[2:3]
	v_add_nc_u64_e32 v[10:11], 0x100, v[10:11]
	s_delay_alu instid0(VALU_DEP_3)
	v_cmp_eq_u64_e32 vcc_lo, 0, v[12:13]
	s_or_b32 s6, vcc_lo, s6
	s_wait_loadcnt 0x1
	v_subrev_nc_u32_e32 v1, s12, v1
	s_wait_loadcnt 0x0
	v_dual_lshrrev_b32 v5, 8, v16 :: v_dual_lshrrev_b32 v18, 24, v16
	v_dual_lshrrev_b32 v19, 16, v16 :: v_dual_ashrrev_i32 v24, 24, v17
	s_wait_kmcnt 0x0
	global_load_b32 v1, v1, s[4:5] scale_offset
	v_perm_b32 v20, v15, v14, 0xc0c0400
	v_perm_b32 v21, v15, v14, 0xc0c0501
	;; [unrolled: 1-line block ×4, first 2 shown]
	v_bfe_i32 v15, v16, 0, 8
	v_bfe_i32 v5, v5, 0, 8
	;; [unrolled: 1-line block ×6, first 2 shown]
	v_perm_b32 v5, v5, v15, 0x5040100
	v_bfe_i32 v17, v17, 16, 8
	v_perm_b32 v15, v18, v19, 0x5040100
	s_wait_loadcnt 0x0
	v_lshrrev_b32_e32 v19, 16, v1
	v_perm_b32 v18, v1, v1, 0xc0c0100
	v_ashrrev_i32_e32 v1, 24, v1
	s_delay_alu instid0(VALU_DEP_3) | instskip(NEXT) | instid1(VALU_DEP_3)
	v_bfe_i32 v19, v19, 0, 8
	v_dot4_i32_iu8 v8, v18, v20, v8 neg_lo:[1,1,0]
	v_dot4_i32_iu8 v9, v18, v21, v9 neg_lo:[1,1,0]
	;; [unrolled: 1-line block ×4, first 2 shown]
	v_pk_mul_lo_u16 v5, v19, v5 op_sel_hi:[0,1]
	v_pk_mul_lo_u16 v15, v19, v15 op_sel_hi:[0,1]
	v_mul_i32_i24_e32 v14, v1, v23
	v_mul_i32_i24_e32 v16, v1, v16
	v_mul_i32_i24_e32 v18, v1, v24
	v_mul_i32_i24_e32 v1, v1, v17
	v_dual_ashrrev_i32 v17, 16, v5 :: v_dual_ashrrev_i32 v19, 16, v15
	v_bfe_i32 v5, v5, 0, 16
	v_bfe_i32 v15, v15, 0, 16
	s_delay_alu instid0(VALU_DEP_3) | instskip(NEXT) | instid1(VALU_DEP_4)
	v_add3_u32 v9, v9, v17, v16
	v_add3_u32 v7, v7, v19, v18
	s_delay_alu instid0(VALU_DEP_4) | instskip(NEXT) | instid1(VALU_DEP_4)
	v_add3_u32 v8, v8, v5, v14
	v_add3_u32 v6, v6, v15, v1
	s_and_not1_b32 exec_lo, exec_lo, s6
	s_cbranch_execnz .LBB69_37
; %bb.38:
	s_or_b32 exec_lo, exec_lo, s6
.LBB69_39:
	s_delay_alu instid0(SALU_CYCLE_1)
	s_or_b32 exec_lo, exec_lo, s2
.LBB69_40:
	s_delay_alu instid0(SALU_CYCLE_1)
	s_or_b32 exec_lo, exec_lo, s3
.LBB69_41:
	v_mbcnt_lo_u32_b32 v1, -1, 0
	s_mov_b32 s2, -1
	s_delay_alu instid0(VALU_DEP_1) | instskip(SKIP_1) | instid1(VALU_DEP_1)
	v_xor_b32_e32 v11, 16, v1
	v_or_b32_e32 v2, 32, v1
	v_cmp_gt_i32_e32 vcc_lo, 32, v2
	v_cndmask_b32_e32 v2, v1, v2, vcc_lo
	s_delay_alu instid0(VALU_DEP_4) | instskip(SKIP_1) | instid1(VALU_DEP_1)
	v_cmp_gt_i32_e32 vcc_lo, 32, v11
	v_cndmask_b32_e32 v11, v1, v11, vcc_lo
	v_dual_lshlrev_b32 v11, 2, v11 :: v_dual_lshlrev_b32 v2, 2, v2
	ds_bpermute_b32 v3, v2, v8
	s_wait_dscnt 0x0
	v_add_nc_u32_e32 v3, v3, v8
	ds_bpermute_b32 v5, v2, v9
	ds_bpermute_b32 v10, v2, v6
	ds_bpermute_b32 v2, v2, v7
	s_wait_dscnt 0x1
	v_dual_add_nc_u32 v5, v5, v9 :: v_dual_add_nc_u32 v6, v10, v6
	s_wait_dscnt 0x0
	v_add_nc_u32_e32 v2, v2, v7
	ds_bpermute_b32 v7, v11, v3
	ds_bpermute_b32 v8, v11, v5
	;; [unrolled: 1-line block ×4, first 2 shown]
	s_wait_dscnt 0x3
	v_dual_add_nc_u32 v3, v7, v3 :: v_dual_bitop2_b32 v11, 8, v1 bitop3:0x14
	s_delay_alu instid0(VALU_DEP_1) | instskip(SKIP_4) | instid1(VALU_DEP_1)
	v_cmp_gt_i32_e32 vcc_lo, 32, v11
	s_wait_dscnt 0x1
	v_dual_add_nc_u32 v5, v8, v5 :: v_dual_add_nc_u32 v6, v9, v6
	s_wait_dscnt 0x0
	v_dual_cndmask_b32 v11, v1, v11 :: v_dual_add_nc_u32 v2, v10, v2
	v_lshlrev_b32_e32 v11, 2, v11
	ds_bpermute_b32 v7, v11, v3
	ds_bpermute_b32 v8, v11, v5
	;; [unrolled: 1-line block ×4, first 2 shown]
	v_xor_b32_e32 v11, 4, v1
	s_delay_alu instid0(VALU_DEP_1) | instskip(SKIP_4) | instid1(VALU_DEP_2)
	v_cmp_gt_i32_e32 vcc_lo, 32, v11
	v_cndmask_b32_e32 v11, v1, v11, vcc_lo
	s_wait_dscnt 0x2
	v_dual_add_nc_u32 v3, v7, v3 :: v_dual_add_nc_u32 v5, v8, v5
	s_wait_dscnt 0x1
	v_dual_lshlrev_b32 v11, 2, v11 :: v_dual_add_nc_u32 v6, v9, v6
	s_wait_dscnt 0x0
	v_add_nc_u32_e32 v2, v10, v2
	ds_bpermute_b32 v7, v11, v3
	ds_bpermute_b32 v8, v11, v5
	;; [unrolled: 1-line block ×4, first 2 shown]
	s_wait_dscnt 0x3
	v_dual_add_nc_u32 v3, v7, v3 :: v_dual_bitop2_b32 v11, 2, v1 bitop3:0x14
	s_delay_alu instid0(VALU_DEP_1) | instskip(SKIP_4) | instid1(VALU_DEP_1)
	v_cmp_gt_i32_e32 vcc_lo, 32, v11
	s_wait_dscnt 0x1
	v_dual_add_nc_u32 v5, v8, v5 :: v_dual_add_nc_u32 v6, v9, v6
	s_wait_dscnt 0x0
	v_dual_add_nc_u32 v7, v10, v2 :: v_dual_cndmask_b32 v11, v1, v11, vcc_lo
	v_lshlrev_b32_e32 v11, 2, v11
	ds_bpermute_b32 v2, v11, v3
	ds_bpermute_b32 v8, v11, v5
	;; [unrolled: 1-line block ×4, first 2 shown]
	v_xor_b32_e32 v11, 1, v1
	s_delay_alu instid0(VALU_DEP_1) | instskip(SKIP_3) | instid1(VALU_DEP_2)
	v_cmp_gt_i32_e32 vcc_lo, 32, v11
	v_cndmask_b32_e32 v1, v1, v11, vcc_lo
	v_cmp_eq_u32_e32 vcc_lo, 63, v0
	s_wait_dscnt 0x3
	v_dual_lshlrev_b32 v11, 2, v1 :: v_dual_add_nc_u32 v2, v2, v3
	s_wait_dscnt 0x1
	v_dual_add_nc_u32 v1, v8, v5 :: v_dual_add_nc_u32 v5, v9, v6
	s_wait_dscnt 0x0
	v_add_nc_u32_e32 v3, v10, v7
	ds_bpermute_b32 v8, v11, v2
	ds_bpermute_b32 v9, v11, v1
	;; [unrolled: 1-line block ×4, first 2 shown]
	s_and_b32 exec_lo, exec_lo, vcc_lo
	s_cbranch_execz .LBB69_14
; %bb.42:
	s_load_b64 s[0:1], s[0:1], 0x50
	s_wait_dscnt 0x2
	v_dual_add_nc_u32 v0, v8, v2 :: v_dual_add_nc_u32 v1, v9, v1
	s_wait_dscnt 0x0
	v_dual_add_nc_u32 v2, v6, v5 :: v_dual_add_nc_u32 v3, v7, v3
	v_lshlrev_b32_e32 v4, 2, v4
	s_delay_alu instid0(VALU_DEP_3) | instskip(SKIP_1) | instid1(VALU_DEP_4)
	v_mul_lo_u32 v0, v0, s14
	v_mul_lo_u32 v1, v1, s14
	;; [unrolled: 1-line block ×4, first 2 shown]
	s_cmp_eq_u32 s15, 0
	s_cbranch_scc1 .LBB69_44
; %bb.43:
	v_ashrrev_i32_e32 v5, 31, v4
	s_mov_b32 s2, 0
	s_wait_kmcnt 0x0
	s_delay_alu instid0(VALU_DEP_1)
	v_lshl_add_u64 v[10:11], v[4:5], 2, s[0:1]
	global_load_b128 v[6:9], v[10:11], off
	s_wait_loadcnt 0x0
	v_mad_u32 v7, v7, s15, v1
	v_mad_u32 v6, v6, s15, v0
	;; [unrolled: 1-line block ×4, first 2 shown]
	global_store_b128 v[10:11], v[6:9], off
.LBB69_44:
	s_and_not1_b32 vcc_lo, exec_lo, s2
	s_cbranch_vccnz .LBB69_14
; %bb.45:
	v_ashrrev_i32_e32 v5, 31, v4
	s_wait_kmcnt 0x0
	s_delay_alu instid0(VALU_DEP_1)
	v_lshl_add_u64 v[4:5], v[4:5], 2, s[0:1]
	global_store_b128 v[4:5], v[0:3], off
	s_endpgm
	.section	.rodata,"a",@progbits
	.p2align	6, 0x0
	.amdhsa_kernel _ZN9rocsparseL18bsrxmvn_4x4_kernelILj128ELj64EiliaaiEEvT3_20rocsparse_direction_NS_24const_host_device_scalarIT1_EES1_PKS1_PKT2_SA_S7_PKT4_PKT5_S5_PT6_21rocsparse_index_base_b
		.amdhsa_group_segment_fixed_size 0
		.amdhsa_private_segment_fixed_size 0
		.amdhsa_kernarg_size 96
		.amdhsa_user_sgpr_count 2
		.amdhsa_user_sgpr_dispatch_ptr 0
		.amdhsa_user_sgpr_queue_ptr 0
		.amdhsa_user_sgpr_kernarg_segment_ptr 1
		.amdhsa_user_sgpr_dispatch_id 0
		.amdhsa_user_sgpr_kernarg_preload_length 0
		.amdhsa_user_sgpr_kernarg_preload_offset 0
		.amdhsa_user_sgpr_private_segment_size 0
		.amdhsa_wavefront_size32 1
		.amdhsa_uses_dynamic_stack 0
		.amdhsa_enable_private_segment 0
		.amdhsa_system_sgpr_workgroup_id_x 1
		.amdhsa_system_sgpr_workgroup_id_y 0
		.amdhsa_system_sgpr_workgroup_id_z 0
		.amdhsa_system_sgpr_workgroup_info 0
		.amdhsa_system_vgpr_workitem_id 0
		.amdhsa_next_free_vgpr 64
		.amdhsa_next_free_sgpr 16
		.amdhsa_named_barrier_count 0
		.amdhsa_reserve_vcc 1
		.amdhsa_float_round_mode_32 0
		.amdhsa_float_round_mode_16_64 0
		.amdhsa_float_denorm_mode_32 3
		.amdhsa_float_denorm_mode_16_64 3
		.amdhsa_fp16_overflow 0
		.amdhsa_memory_ordered 1
		.amdhsa_forward_progress 1
		.amdhsa_inst_pref_size 34
		.amdhsa_round_robin_scheduling 0
		.amdhsa_exception_fp_ieee_invalid_op 0
		.amdhsa_exception_fp_denorm_src 0
		.amdhsa_exception_fp_ieee_div_zero 0
		.amdhsa_exception_fp_ieee_overflow 0
		.amdhsa_exception_fp_ieee_underflow 0
		.amdhsa_exception_fp_ieee_inexact 0
		.amdhsa_exception_int_div_zero 0
	.end_amdhsa_kernel
	.section	.text._ZN9rocsparseL18bsrxmvn_4x4_kernelILj128ELj64EiliaaiEEvT3_20rocsparse_direction_NS_24const_host_device_scalarIT1_EES1_PKS1_PKT2_SA_S7_PKT4_PKT5_S5_PT6_21rocsparse_index_base_b,"axG",@progbits,_ZN9rocsparseL18bsrxmvn_4x4_kernelILj128ELj64EiliaaiEEvT3_20rocsparse_direction_NS_24const_host_device_scalarIT1_EES1_PKS1_PKT2_SA_S7_PKT4_PKT5_S5_PT6_21rocsparse_index_base_b,comdat
.Lfunc_end69:
	.size	_ZN9rocsparseL18bsrxmvn_4x4_kernelILj128ELj64EiliaaiEEvT3_20rocsparse_direction_NS_24const_host_device_scalarIT1_EES1_PKS1_PKT2_SA_S7_PKT4_PKT5_S5_PT6_21rocsparse_index_base_b, .Lfunc_end69-_ZN9rocsparseL18bsrxmvn_4x4_kernelILj128ELj64EiliaaiEEvT3_20rocsparse_direction_NS_24const_host_device_scalarIT1_EES1_PKS1_PKT2_SA_S7_PKT4_PKT5_S5_PT6_21rocsparse_index_base_b
                                        ; -- End function
	.set _ZN9rocsparseL18bsrxmvn_4x4_kernelILj128ELj64EiliaaiEEvT3_20rocsparse_direction_NS_24const_host_device_scalarIT1_EES1_PKS1_PKT2_SA_S7_PKT4_PKT5_S5_PT6_21rocsparse_index_base_b.num_vgpr, 64
	.set _ZN9rocsparseL18bsrxmvn_4x4_kernelILj128ELj64EiliaaiEEvT3_20rocsparse_direction_NS_24const_host_device_scalarIT1_EES1_PKS1_PKT2_SA_S7_PKT4_PKT5_S5_PT6_21rocsparse_index_base_b.num_agpr, 0
	.set _ZN9rocsparseL18bsrxmvn_4x4_kernelILj128ELj64EiliaaiEEvT3_20rocsparse_direction_NS_24const_host_device_scalarIT1_EES1_PKS1_PKT2_SA_S7_PKT4_PKT5_S5_PT6_21rocsparse_index_base_b.numbered_sgpr, 16
	.set _ZN9rocsparseL18bsrxmvn_4x4_kernelILj128ELj64EiliaaiEEvT3_20rocsparse_direction_NS_24const_host_device_scalarIT1_EES1_PKS1_PKT2_SA_S7_PKT4_PKT5_S5_PT6_21rocsparse_index_base_b.num_named_barrier, 0
	.set _ZN9rocsparseL18bsrxmvn_4x4_kernelILj128ELj64EiliaaiEEvT3_20rocsparse_direction_NS_24const_host_device_scalarIT1_EES1_PKS1_PKT2_SA_S7_PKT4_PKT5_S5_PT6_21rocsparse_index_base_b.private_seg_size, 0
	.set _ZN9rocsparseL18bsrxmvn_4x4_kernelILj128ELj64EiliaaiEEvT3_20rocsparse_direction_NS_24const_host_device_scalarIT1_EES1_PKS1_PKT2_SA_S7_PKT4_PKT5_S5_PT6_21rocsparse_index_base_b.uses_vcc, 1
	.set _ZN9rocsparseL18bsrxmvn_4x4_kernelILj128ELj64EiliaaiEEvT3_20rocsparse_direction_NS_24const_host_device_scalarIT1_EES1_PKS1_PKT2_SA_S7_PKT4_PKT5_S5_PT6_21rocsparse_index_base_b.uses_flat_scratch, 0
	.set _ZN9rocsparseL18bsrxmvn_4x4_kernelILj128ELj64EiliaaiEEvT3_20rocsparse_direction_NS_24const_host_device_scalarIT1_EES1_PKS1_PKT2_SA_S7_PKT4_PKT5_S5_PT6_21rocsparse_index_base_b.has_dyn_sized_stack, 0
	.set _ZN9rocsparseL18bsrxmvn_4x4_kernelILj128ELj64EiliaaiEEvT3_20rocsparse_direction_NS_24const_host_device_scalarIT1_EES1_PKS1_PKT2_SA_S7_PKT4_PKT5_S5_PT6_21rocsparse_index_base_b.has_recursion, 0
	.set _ZN9rocsparseL18bsrxmvn_4x4_kernelILj128ELj64EiliaaiEEvT3_20rocsparse_direction_NS_24const_host_device_scalarIT1_EES1_PKS1_PKT2_SA_S7_PKT4_PKT5_S5_PT6_21rocsparse_index_base_b.has_indirect_call, 0
	.section	.AMDGPU.csdata,"",@progbits
; Kernel info:
; codeLenInByte = 4348
; TotalNumSgprs: 18
; NumVgprs: 64
; ScratchSize: 0
; MemoryBound: 0
; FloatMode: 240
; IeeeMode: 1
; LDSByteSize: 0 bytes/workgroup (compile time only)
; SGPRBlocks: 0
; VGPRBlocks: 3
; NumSGPRsForWavesPerEU: 18
; NumVGPRsForWavesPerEU: 64
; NamedBarCnt: 0
; Occupancy: 16
; WaveLimiterHint : 1
; COMPUTE_PGM_RSRC2:SCRATCH_EN: 0
; COMPUTE_PGM_RSRC2:USER_SGPR: 2
; COMPUTE_PGM_RSRC2:TRAP_HANDLER: 0
; COMPUTE_PGM_RSRC2:TGID_X_EN: 1
; COMPUTE_PGM_RSRC2:TGID_Y_EN: 0
; COMPUTE_PGM_RSRC2:TGID_Z_EN: 0
; COMPUTE_PGM_RSRC2:TIDIG_COMP_CNT: 0
	.section	.text._ZN9rocsparseL18bsrxmvn_4x4_kernelILj128ELj4EillaaiEEvT3_20rocsparse_direction_NS_24const_host_device_scalarIT1_EES1_PKS1_PKT2_SA_S7_PKT4_PKT5_S5_PT6_21rocsparse_index_base_b,"axG",@progbits,_ZN9rocsparseL18bsrxmvn_4x4_kernelILj128ELj4EillaaiEEvT3_20rocsparse_direction_NS_24const_host_device_scalarIT1_EES1_PKS1_PKT2_SA_S7_PKT4_PKT5_S5_PT6_21rocsparse_index_base_b,comdat
	.globl	_ZN9rocsparseL18bsrxmvn_4x4_kernelILj128ELj4EillaaiEEvT3_20rocsparse_direction_NS_24const_host_device_scalarIT1_EES1_PKS1_PKT2_SA_S7_PKT4_PKT5_S5_PT6_21rocsparse_index_base_b ; -- Begin function _ZN9rocsparseL18bsrxmvn_4x4_kernelILj128ELj4EillaaiEEvT3_20rocsparse_direction_NS_24const_host_device_scalarIT1_EES1_PKS1_PKT2_SA_S7_PKT4_PKT5_S5_PT6_21rocsparse_index_base_b
	.p2align	8
	.type	_ZN9rocsparseL18bsrxmvn_4x4_kernelILj128ELj4EillaaiEEvT3_20rocsparse_direction_NS_24const_host_device_scalarIT1_EES1_PKS1_PKT2_SA_S7_PKT4_PKT5_S5_PT6_21rocsparse_index_base_b,@function
_ZN9rocsparseL18bsrxmvn_4x4_kernelILj128ELj4EillaaiEEvT3_20rocsparse_direction_NS_24const_host_device_scalarIT1_EES1_PKS1_PKT2_SA_S7_PKT4_PKT5_S5_PT6_21rocsparse_index_base_b: ; @_ZN9rocsparseL18bsrxmvn_4x4_kernelILj128ELj4EillaaiEEvT3_20rocsparse_direction_NS_24const_host_device_scalarIT1_EES1_PKS1_PKT2_SA_S7_PKT4_PKT5_S5_PT6_21rocsparse_index_base_b
; %bb.0:
	s_clause 0x1
	s_load_b64 s[2:3], s[0:1], 0x60
	s_load_b128 s[4:7], s[0:1], 0x10
	s_mov_b32 s10, -1
                                        ; implicit-def: $sgpr12
	s_wait_kmcnt 0x0
	s_bitcmp1_b32 s3, 0
	s_cselect_b32 s3, -1, 0
	s_delay_alu instid0(SALU_CYCLE_1) | instskip(NEXT) | instid1(SALU_CYCLE_1)
	s_xor_b32 s3, s3, -1
	s_and_b32 vcc_lo, exec_lo, s3
	s_cbranch_vccnz .LBB70_4
; %bb.1:
	s_load_b64 s[8:9], s[0:1], 0x50
	s_and_not1_b32 vcc_lo, exec_lo, s10
	s_cbranch_vccz .LBB70_5
.LBB70_2:
	s_and_b32 vcc_lo, exec_lo, s3
	s_cbranch_vccz .LBB70_6
.LBB70_3:
	s_wait_kmcnt 0x0
	s_load_b32 s13, s[8:9], 0x0
	s_cbranch_execz .LBB70_7
	s_branch .LBB70_8
.LBB70_4:
	s_load_b32 s12, s[4:5], 0x0
	s_load_b64 s[8:9], s[0:1], 0x50
	s_cbranch_execnz .LBB70_2
.LBB70_5:
	s_wait_kmcnt 0x0
	s_mov_b32 s12, s4
	s_and_b32 vcc_lo, exec_lo, s3
	s_cbranch_vccnz .LBB70_3
.LBB70_6:
                                        ; implicit-def: $sgpr13
.LBB70_7:
	s_wait_kmcnt 0x0
	s_mov_b32 s13, s8
.LBB70_8:
	s_wait_kmcnt 0x0
	s_cmp_lg_u32 s12, 0
	s_mov_b32 s8, 0
	s_cselect_b32 s3, -1, 0
	s_cmp_lg_u32 s13, 1
	s_cselect_b32 s4, -1, 0
	s_delay_alu instid0(SALU_CYCLE_1) | instskip(NEXT) | instid1(SALU_CYCLE_1)
	s_or_b32 s3, s3, s4
	s_and_not1_b32 vcc_lo, exec_lo, s3
	s_cbranch_vccnz .LBB70_14
; %bb.9:
	s_load_b64 s[4:5], s[0:1], 0x20
	s_bfe_u32 s3, ttmp6, 0x4000c
	s_and_b32 s9, ttmp6, 15
	s_add_co_i32 s3, s3, 1
	s_getreg_b32 s10, hwreg(HW_REG_IB_STS2, 6, 4)
	s_mul_i32 s3, ttmp9, s3
	v_dual_lshrrev_b32 v1, 2, v0 :: v_dual_mov_b32 v7, 0
	s_add_co_i32 s9, s9, s3
	s_cmp_eq_u32 s10, 0
	s_cselect_b32 s3, ttmp9, s9
	s_delay_alu instid0(VALU_DEP_1) | instid1(SALU_CYCLE_1)
	v_lshl_or_b32 v6, s3, 5, v1
	s_wait_kmcnt 0x0
	s_cmp_lg_u64 s[4:5], 0
	s_cbranch_scc0 .LBB70_15
; %bb.10:
	s_delay_alu instid0(VALU_DEP_1) | instskip(SKIP_2) | instid1(SALU_CYCLE_1)
	v_cmp_gt_i64_e32 vcc_lo, s[6:7], v[6:7]
	s_mov_b32 s6, 0
                                        ; implicit-def: $vgpr4_vgpr5
                                        ; implicit-def: $vgpr2_vgpr3
	s_and_saveexec_b32 s3, vcc_lo
	s_xor_b32 s7, exec_lo, s3
	s_cbranch_execz .LBB70_12
; %bb.11:
	v_lshl_add_u64 v[2:3], v[6:7], 3, s[4:5]
	s_mov_b32 s3, 0
	s_mov_b32 s8, exec_lo
	global_load_b64 v[2:3], v[2:3], off
	s_wait_loadcnt 0x0
	v_sub_nc_u64_e64 v[4:5], v[2:3], s[2:3]
	v_mov_b64_e32 v[2:3], s[2:3]
.LBB70_12:
	s_or_b32 exec_lo, exec_lo, s7
	s_delay_alu instid0(SALU_CYCLE_1)
	s_and_b32 vcc_lo, exec_lo, s6
	s_cbranch_vccnz .LBB70_16
.LBB70_13:
	s_and_saveexec_b32 s2, s8
	s_cbranch_execnz .LBB70_19
.LBB70_14:
	s_sendmsg sendmsg(MSG_DEALLOC_VGPRS)
	s_endpgm
.LBB70_15:
                                        ; implicit-def: $vgpr4_vgpr5
                                        ; implicit-def: $vgpr2_vgpr3
	s_cbranch_execz .LBB70_13
.LBB70_16:
	s_load_b64 s[4:5], s[0:1], 0x0
	s_wait_kmcnt 0x0
	v_cmp_gt_i64_e32 vcc_lo, s[4:5], v[6:7]
	s_and_saveexec_b32 s4, vcc_lo
; %bb.17:
	s_mov_b32 s3, 0
	s_or_b32 s8, s8, exec_lo
; %bb.18:
	s_or_b32 exec_lo, exec_lo, s4
	v_mov_b64_e32 v[2:3], s[2:3]
	v_mov_b64_e32 v[4:5], v[6:7]
	s_and_saveexec_b32 s2, s8
	s_cbranch_execz .LBB70_14
.LBB70_19:
	s_load_b256 s[4:11], s[0:1], 0x28
	s_delay_alu instid0(VALU_DEP_1) | instskip(SKIP_2) | instid1(VALU_DEP_2)
	v_lshlrev_b64_e32 v[6:7], 3, v[4:5]
	v_dual_mov_b32 v1, 0 :: v_dual_bitop2_b32 v0, 3, v0 bitop3:0x40
	s_wait_kmcnt 0x0
	v_add_nc_u64_e32 v[8:9], s[4:5], v[6:7]
	v_add_nc_u64_e32 v[6:7], s[6:7], v[6:7]
	s_cmp_eq_u64 s[6:7], 0
	s_cselect_b32 vcc_lo, -1, 0
	s_delay_alu instid0(VALU_DEP_2)
	v_add_nc_u64_e32 v[10:11], 8, v[8:9]
	global_load_b64 v[14:15], v[8:9], off
	v_dual_cndmask_b32 v7, v7, v11 :: v_dual_cndmask_b32 v6, v6, v10
	global_load_b64 v[6:7], v[6:7], off
	s_clause 0x1
	s_load_b32 s3, s[0:1], 0x8
	s_load_b64 s[4:5], s[0:1], 0x48
	s_wait_kmcnt 0x0
	s_cmp_eq_u32 s3, 1
	s_wait_loadcnt 0x1
	v_sub_nc_u64_e32 v[8:9], v[14:15], v[2:3]
	s_delay_alu instid0(VALU_DEP_1) | instskip(SKIP_2) | instid1(VALU_DEP_2)
	v_add_nc_u64_e32 v[10:11], v[8:9], v[0:1]
	s_wait_loadcnt 0x0
	v_sub_nc_u64_e32 v[16:17], v[6:7], v[2:3]
	v_lshl_add_u64 v[6:7], v[10:11], 4, s[10:11]
	s_delay_alu instid0(VALU_DEP_2)
	v_cmp_lt_i64_e64 s2, v[10:11], v[16:17]
	s_cbranch_scc1 .LBB70_31
; %bb.20:
	v_dual_mov_b32 v9, v1 :: v_dual_mov_b32 v8, v1
	v_dual_mov_b32 v13, v1 :: v_dual_mov_b32 v12, v1
	s_and_saveexec_b32 s3, s2
	s_cbranch_execz .LBB70_30
; %bb.21:
	v_dual_mov_b32 v9, v1 :: v_dual_bitop2_b32 v8, 4, v0 bitop3:0x54
	v_sub_nc_u64_e32 v[12:13], v[2:3], v[0:1]
	v_not_b32_e32 v19, v15
	v_not_b32_e32 v18, v14
	v_mov_b64_e32 v[22:23], v[10:11]
	v_sub_nc_u64_e32 v[8:9], v[8:9], v[2:3]
	s_delay_alu instid0(VALU_DEP_3) | instskip(NEXT) | instid1(VALU_DEP_2)
	v_add_nc_u64_e32 v[12:13], v[12:13], v[18:19]
	v_add_nc_u64_e32 v[8:9], v[8:9], v[14:15]
	s_delay_alu instid0(VALU_DEP_1) | instskip(NEXT) | instid1(VALU_DEP_1)
	v_max_i64 v[8:9], v[8:9], v[16:17]
	v_add_nc_u64_e32 v[12:13], v[12:13], v[8:9]
	v_mov_b64_e32 v[8:9], 0
	s_delay_alu instid0(VALU_DEP_2) | instskip(SKIP_2) | instid1(VALU_DEP_3)
	v_lshrrev_b64 v[18:19], 2, v[12:13]
	v_cmp_lt_u64_e32 vcc_lo, 11, v[12:13]
	v_mov_b64_e32 v[12:13], 0
	v_add_nc_u64_e32 v[20:21], 1, v[18:19]
	v_mov_b64_e32 v[18:19], v[6:7]
	s_and_saveexec_b32 s6, vcc_lo
	s_cbranch_execz .LBB70_25
; %bb.22:
	v_lshl_add_u64 v[12:13], v[10:11], 3, s[8:9]
	v_mov_b64_e32 v[18:19], v[6:7]
	v_mov_b64_e32 v[22:23], v[10:11]
	v_dual_mov_b32 v25, v21 :: v_dual_bitop2_b32 v24, -4, v20 bitop3:0x40
	s_delay_alu instid0(VALU_DEP_4)
	v_add_nc_u64_e32 v[26:27], 64, v[12:13]
	v_dual_mov_b32 v9, 0 :: v_dual_mov_b32 v8, 0
	v_dual_mov_b32 v13, 0 :: v_dual_mov_b32 v12, 0
	s_mov_b32 s7, 0
.LBB70_23:                              ; =>This Inner Loop Header: Depth=1
	s_clause 0x3
	global_load_b64 v[44:45], v[26:27], off offset:-64
	global_load_b64 v[46:47], v[26:27], off offset:-32
	global_load_b64 v[48:49], v[26:27], off
	global_load_b64 v[50:51], v[26:27], off offset:32
	s_clause 0x3
	global_load_b128 v[28:31], v[18:19], off offset:64
	global_load_b128 v[32:35], v[18:19], off
	global_load_b128 v[36:39], v[18:19], off offset:128
	global_load_b128 v[40:43], v[18:19], off offset:192
	v_add_nc_u64_e32 v[24:25], -4, v[24:25]
	s_wait_xcnt 0x0
	v_add_nc_u64_e32 v[18:19], 0x100, v[18:19]
	v_add_nc_u64_e32 v[22:23], 16, v[22:23]
	;; [unrolled: 1-line block ×3, first 2 shown]
	s_delay_alu instid0(VALU_DEP_4)
	v_cmp_eq_u64_e32 vcc_lo, 0, v[24:25]
	s_or_b32 s7, vcc_lo, s7
	s_wait_loadcnt 0x7
	v_sub_nc_u64_e32 v[44:45], v[44:45], v[2:3]
	s_wait_loadcnt 0x6
	v_sub_nc_u64_e32 v[46:47], v[46:47], v[2:3]
	;; [unrolled: 2-line block ×4, first 2 shown]
	s_wait_loadcnt 0x1
	v_perm_b32 v56, v39, v35, 0xc0c0703
	v_lshl_add_u64 v[44:45], v[44:45], 2, s[4:5]
	v_lshl_add_u64 v[46:47], v[46:47], 2, s[4:5]
	v_lshl_add_u64 v[48:49], v[48:49], 2, s[4:5]
	v_lshl_add_u64 v[50:51], v[50:51], 2, s[4:5]
	s_wait_loadcnt 0x0
	v_bfe_i32 v55, v43, 16, 8
	s_clause 0x3
	global_load_b32 v21, v[44:45], off
	global_load_b32 v52, v[46:47], off
	;; [unrolled: 1-line block ×4, first 2 shown]
	s_wait_xcnt 0x3
	v_lshrrev_b16 v44, 8, v31
	s_wait_xcnt 0x0
	v_bfe_i32 v50, v43, 0, 8
	v_bfe_i32 v51, v43, 8, 8
	v_perm_b32 v57, v39, v35, 0xc0c0501
	v_perm_b32 v58, v39, v35, 0xc0c0602
	;; [unrolled: 1-line block ×3, first 2 shown]
	v_ashrrev_i32_e32 v39, 24, v43
	v_bfe_i32 v43, v44, 0, 8
	v_bfe_i32 v45, v28, 0, 8
	v_dual_ashrrev_i32 v46, 24, v31 :: v_dual_ashrrev_i32 v49, 24, v40
	v_perm_b32 v28, v28, v28, 0xc030201
	v_bfe_i32 v47, v31, 16, 8
	v_bfe_i32 v31, v31, 0, 8
	;; [unrolled: 1-line block ×3, first 2 shown]
	v_perm_b32 v36, v40, v36, 0x4030201
	v_perm_b32 v40, v40, v40, 0xc0c0201
	v_perm_b32 v41, v41, v41, 0x7060100
	s_wait_loadcnt 0x3
	v_dot4_i32_iu8 v12, v21, v32, v12 neg_lo:[1,1,0]
	s_wait_loadcnt 0x2
	v_lshrrev_b16 v44, 8, v52
	v_dot4_i32_iu8 v13, v21, v33, v13 neg_lo:[1,1,0]
	v_bfe_i32 v32, v52, 0, 8
	v_ashrrev_i32_e32 v33, 24, v52
	v_dot4_i32_iu8 v8, v21, v34, v8 neg_lo:[1,1,0]
	v_bfe_i32 v44, v44, 0, 8
	v_perm_b32 v34, v52, v52, 0xc030201
	v_bfe_i32 v59, v52, 16, 8
	s_wait_loadcnt 0x1
	v_perm_b32 v60, v53, v21, 0xc0c0703
	v_perm_b32 v63, v53, v21, 0xc0c0501
	v_mad_i32_i24 v12, v32, v45, v12
	v_mul_i32_i24_e32 v33, v46, v33
	v_mul_i32_i24_e32 v43, v43, v44
	v_bfe_i32 v61, v53, 0, 8
	s_wait_loadcnt 0x0
	v_bfe_i32 v62, v54, 16, 8
	v_mul_i32_i24_e32 v31, v31, v32
	v_mul_i32_i24_e32 v47, v47, v59
	v_perm_b32 v59, v53, v21, 0xc0c0602
	v_perm_b32 v21, v53, v21, 0xc0c0400
	v_dot4_i32_iu8 v12, v34, v28, v12 neg_lo:[1,1,0]
	v_dot4_i32_iu8 v28, v56, v60, v33 neg_lo:[1,1,0]
	;; [unrolled: 1-line block ×3, first 2 shown]
	v_ashrrev_i32_e32 v64, 24, v54
	v_bfe_i32 v45, v54, 8, 8
	v_bfe_i32 v46, v54, 0, 8
	v_perm_b32 v32, v54, v53, 0x4030201
	v_mul_i32_i24_e32 v55, v55, v62
	v_dot4_i32_iu8 v13, v52, v29, v13 neg_lo:[1,1,0]
	v_dot4_i32_iu8 v29, v58, v59, v47 neg_lo:[1,1,0]
	;; [unrolled: 1-line block ×3, first 2 shown]
	v_mad_i32_i24 v12, v61, v48, v12
	v_add_nc_u32_e32 v28, v33, v28
	v_perm_b32 v44, v54, v54, 0xc0c0201
	v_dot4_i32_iu8 v8, v52, v30, v8 neg_lo:[1,1,0]
	v_mul_i32_i24_e32 v30, v46, v50
	v_mad_i32_i24 v31, v45, v51, v55
	v_dot4_i32_iu8 v12, v32, v36, v12 neg_lo:[1,1,0]
	v_add3_u32 v21, v21, v29, v28
	v_mul_i32_i24_e32 v28, v39, v64
	v_dot4_i32_iu8 v13, v53, v37, v13 neg_lo:[1,1,0]
	v_dot4_i32_iu8 v8, v53, v38, v8 neg_lo:[1,1,0]
	;; [unrolled: 1-line block ×3, first 2 shown]
	v_add3_u32 v21, v21, v30, v31
	s_delay_alu instid0(VALU_DEP_4) | instskip(NEXT) | instid1(VALU_DEP_4)
	v_dot4_i32_iu8 v13, v41, v54, v13 neg_lo:[1,1,0]
	v_dot4_i32_iu8 v8, v42, v54, v8 neg_lo:[1,1,0]
	s_delay_alu instid0(VALU_DEP_4) | instskip(NEXT) | instid1(VALU_DEP_4)
	v_mad_i32_i24 v12, v64, v49, v12
	v_add3_u32 v9, v21, v9, v28
	s_and_not1_b32 exec_lo, exec_lo, s7
	s_cbranch_execnz .LBB70_23
; %bb.24:
	s_or_b32 exec_lo, exec_lo, s7
.LBB70_25:
	s_delay_alu instid0(SALU_CYCLE_1) | instskip(NEXT) | instid1(VALU_DEP_2)
	s_or_b32 exec_lo, exec_lo, s6
	v_dual_mov_b32 v21, 0 :: v_dual_bitop2_b32 v20, 3, v20 bitop3:0x40
	s_mov_b32 s6, exec_lo
	s_delay_alu instid0(VALU_DEP_1)
	v_cmpx_ne_u64_e32 0, v[20:21]
	s_cbranch_execz .LBB70_29
; %bb.26:
	v_lshl_add_u64 v[22:23], v[22:23], 3, s[8:9]
	v_lshlrev_b32_e32 v20, 1, v20
	s_mov_b32 s7, 0
.LBB70_27:                              ; =>This Inner Loop Header: Depth=1
	global_load_b64 v[24:25], v[22:23], off
	v_add_nc_u64_e32 v[20:21], -2, v[20:21]
	s_wait_xcnt 0x0
	v_add_nc_u64_e32 v[22:23], 32, v[22:23]
	s_delay_alu instid0(VALU_DEP_2) | instskip(SKIP_3) | instid1(VALU_DEP_1)
	v_cmp_eq_u64_e32 vcc_lo, 0, v[20:21]
	s_or_b32 s7, vcc_lo, s7
	s_wait_loadcnt 0x0
	v_sub_nc_u64_e32 v[24:25], v[24:25], v[2:3]
	v_lshl_add_u64 v[28:29], v[24:25], 2, s[4:5]
	global_load_b128 v[24:27], v[18:19], off
	global_load_b32 v30, v[28:29], off
	s_wait_xcnt 0x1
	v_add_nc_u64_e32 v[18:19], 64, v[18:19]
	s_wait_loadcnt 0x0
	v_dot4_i32_iu8 v13, v30, v25, v13 neg_lo:[1,1,0]
	v_dot4_i32_iu8 v12, v30, v24, v12 neg_lo:[1,1,0]
	;; [unrolled: 1-line block ×4, first 2 shown]
	s_and_not1_b32 exec_lo, exec_lo, s7
	s_cbranch_execnz .LBB70_27
; %bb.28:
	s_or_b32 exec_lo, exec_lo, s7
.LBB70_29:
	s_delay_alu instid0(SALU_CYCLE_1)
	s_or_b32 exec_lo, exec_lo, s6
.LBB70_30:
	s_delay_alu instid0(SALU_CYCLE_1)
	s_or_b32 exec_lo, exec_lo, s3
	s_cbranch_execz .LBB70_32
	s_branch .LBB70_43
.LBB70_31:
                                        ; implicit-def: $vgpr9
                                        ; implicit-def: $vgpr13
.LBB70_32:
	v_dual_mov_b32 v9, 0 :: v_dual_mov_b32 v8, 0
	v_dual_mov_b32 v13, 0 :: v_dual_mov_b32 v12, 0
	s_and_saveexec_b32 s3, s2
	s_cbranch_execz .LBB70_42
; %bb.33:
	v_dual_mov_b32 v9, v1 :: v_dual_bitop2_b32 v8, 4, v0 bitop3:0x54
	v_sub_nc_u64_e32 v[12:13], v[2:3], v[0:1]
	s_delay_alu instid0(VALU_DEP_2) | instskip(NEXT) | instid1(VALU_DEP_1)
	v_sub_nc_u64_e32 v[8:9], v[8:9], v[2:3]
	v_add_nc_u64_e32 v[8:9], v[8:9], v[14:15]
	v_not_b32_e32 v15, v15
	v_not_b32_e32 v14, v14
	s_delay_alu instid0(VALU_DEP_1) | instskip(NEXT) | instid1(VALU_DEP_4)
	v_add_nc_u64_e32 v[12:13], v[12:13], v[14:15]
	v_max_i64 v[8:9], v[8:9], v[16:17]
	s_delay_alu instid0(VALU_DEP_1) | instskip(SKIP_1) | instid1(VALU_DEP_2)
	v_add_nc_u64_e32 v[12:13], v[12:13], v[8:9]
	v_mov_b64_e32 v[8:9], 0
	v_lshrrev_b64 v[14:15], 2, v[12:13]
	v_cmp_lt_u64_e32 vcc_lo, 11, v[12:13]
	v_mov_b64_e32 v[12:13], 0
	s_delay_alu instid0(VALU_DEP_3)
	v_add_nc_u64_e32 v[14:15], 1, v[14:15]
	s_and_saveexec_b32 s2, vcc_lo
	s_cbranch_execz .LBB70_37
; %bb.34:
	v_lshl_add_u64 v[12:13], v[10:11], 3, s[8:9]
	s_delay_alu instid0(VALU_DEP_2) | instskip(SKIP_1) | instid1(VALU_DEP_3)
	v_dual_mov_b32 v17, v15 :: v_dual_bitop2_b32 v16, -4, v14 bitop3:0x40
	v_dual_mov_b32 v8, 0 :: v_dual_mov_b32 v9, 0
	v_add_nc_u64_e32 v[18:19], 64, v[12:13]
	v_dual_mov_b32 v12, 0 :: v_dual_mov_b32 v13, 0
	s_mov_b32 s6, 0
.LBB70_35:                              ; =>This Inner Loop Header: Depth=1
	s_clause 0x3
	global_load_b64 v[36:37], v[18:19], off offset:-64
	global_load_b64 v[38:39], v[18:19], off offset:32
	global_load_b64 v[40:41], v[18:19], off offset:-32
	global_load_b64 v[42:43], v[18:19], off
	s_clause 0x3
	global_load_b128 v[20:23], v[6:7], off
	global_load_b128 v[24:27], v[6:7], off offset:64
	global_load_b128 v[28:31], v[6:7], off offset:128
	;; [unrolled: 1-line block ×3, first 2 shown]
	v_add_nc_u64_e32 v[16:17], -4, v[16:17]
	s_wait_xcnt 0x0
	v_add_nc_u64_e32 v[6:7], 0x100, v[6:7]
	v_add_nc_u64_e32 v[10:11], 16, v[10:11]
	;; [unrolled: 1-line block ×3, first 2 shown]
	s_delay_alu instid0(VALU_DEP_4)
	v_cmp_eq_u64_e32 vcc_lo, 0, v[16:17]
	s_or_b32 s6, vcc_lo, s6
	s_wait_loadcnt 0x7
	v_sub_nc_u64_e32 v[36:37], v[36:37], v[2:3]
	s_wait_loadcnt 0x6
	v_sub_nc_u64_e32 v[38:39], v[38:39], v[2:3]
	;; [unrolled: 2-line block ×4, first 2 shown]
	s_wait_loadcnt 0x2
	v_perm_b32 v46, v26, v25, 0x5010c0c
	s_wait_loadcnt 0x1
	v_perm_b32 v47, v28, v27, 0xc0c0501
	v_lshl_add_u64 v[36:37], v[36:37], 2, s[4:5]
	v_lshl_add_u64 v[38:39], v[38:39], 2, s[4:5]
	;; [unrolled: 1-line block ×4, first 2 shown]
	v_perm_b32 v48, v30, v29, 0x5010c0c
	s_clause 0x3
	global_load_b32 v1, v[36:37], off
	global_load_b32 v15, v[38:39], off
	;; [unrolled: 1-line block ×4, first 2 shown]
	s_wait_xcnt 0x3
	v_perm_b32 v36, v22, v21, 0xc05010c
	v_perm_b32 v37, v20, v20, 0xc0c0c01
	s_wait_xcnt 0x2
	v_perm_b32 v38, v22, v21, 0xc04000c
	v_perm_b32 v39, v20, v20, 0xc0c0c00
	;; [unrolled: 3-line block ×3, first 2 shown]
	v_perm_b32 v21, v22, v21, 0xc06020c
	v_perm_b32 v20, v20, v20, 0xc0c0c02
	;; [unrolled: 1-line block ×3, first 2 shown]
	s_wait_xcnt 0x0
	v_perm_b32 v42, v26, v25, 0x4000c0c
	v_perm_b32 v43, v24, v23, 0xc0c0501
	;; [unrolled: 1-line block ×12, first 2 shown]
	s_wait_loadcnt 0x4
	v_perm_b32 v29, v32, v31, 0xc0c0602
	v_perm_b32 v30, v34, v33, 0x6020c0c
	v_dual_lshrrev_b32 v51, 8, v35 :: v_dual_lshrrev_b32 v52, 24, v35
	v_lshrrev_b32_e32 v53, 16, v35
	v_perm_b32 v54, v32, v31, 0xc0c0400
	v_perm_b32 v55, v34, v33, 0x4000c0c
	v_perm_b32 v56, v32, v31, 0xc0c0501
	v_perm_b32 v57, v34, v33, 0x5010c0c
	v_perm_b32 v31, v32, v31, 0xc0c0703
	v_perm_b32 v32, v34, v33, 0x7030c0c
	v_bfe_i32 v33, v35, 0, 8
	v_or_b32_e32 v34, v36, v37
	v_or_b32_e32 v35, v38, v39
	;; [unrolled: 1-line block ×11, first 2 shown]
	v_bfe_i32 v25, v51, 0, 8
	v_bfe_i32 v26, v53, 0, 8
	v_bfe_i32 v42, v52, 0, 8
	v_or_b32_e32 v29, v32, v31
	v_or_b32_e32 v39, v55, v54
	v_perm_b32 v25, v25, v33, 0x5040100
	v_or_b32_e32 v40, v57, v56
	v_perm_b32 v26, v42, v26, 0x5040100
	s_wait_loadcnt 0x3
	v_perm_b32 v30, v1, v1, 0xc020100
	s_wait_loadcnt 0x2
	v_lshrrev_b32_e32 v31, 24, v15
	s_wait_loadcnt 0x1
	v_perm_b32 v1, v44, v1, 0x6050403
	s_wait_loadcnt 0x0
	v_perm_b32 v32, v45, v44, 0x6050403
	v_perm_b32 v15, v15, v45, 0x6050403
	v_dot4_i32_iu8 v12, v30, v35, v12 neg_lo:[1,1,0]
	v_dot4_i32_iu8 v13, v30, v34, v13 neg_lo:[1,1,0]
	;; [unrolled: 1-line block ×4, first 2 shown]
	v_bfe_i32 v20, v31, 0, 8
	v_dot4_i32_iu8 v12, v1, v21, v12 neg_lo:[1,1,0]
	v_dot4_i32_iu8 v13, v1, v22, v13 neg_lo:[1,1,0]
	v_dot4_i32_iu8 v8, v1, v41, v8 neg_lo:[1,1,0]
	v_dot4_i32_iu8 v1, v1, v23, v9 neg_lo:[1,1,0]
	v_pk_mul_lo_u16 v9, v20, v25 op_sel_hi:[0,1]
	v_pk_mul_lo_u16 v20, v20, v26 op_sel_hi:[0,1]
	s_delay_alu instid0(VALU_DEP_4) | instskip(NEXT) | instid1(VALU_DEP_4)
	v_dot4_i32_iu8 v8, v32, v27, v8 neg_lo:[1,1,0]
	v_dot4_i32_iu8 v1, v32, v24, v1 neg_lo:[1,1,0]
	s_delay_alu instid0(VALU_DEP_4) | instskip(NEXT) | instid1(VALU_DEP_4)
	v_bfe_i32 v21, v9, 0, 16
	v_bfe_i32 v22, v20, 0, 16
	v_ashrrev_i32_e32 v20, 16, v20
	v_dot4_i32_iu8 v8, v15, v28, v8 neg_lo:[1,1,0]
	v_or_b32_e32 v38, v50, v49
	v_dot4_i32_iu8 v1, v15, v29, v1 neg_lo:[1,1,0]
	v_dual_ashrrev_i32 v9, 16, v9 :: v_dual_bitop2_b32 v37, v48, v47 bitop3:0x54
	s_delay_alu instid0(VALU_DEP_4) | instskip(NEXT) | instid1(VALU_DEP_4)
	v_add_nc_u32_e32 v8, v8, v22
	v_dot4_i32_iu8 v12, v32, v38, v12 neg_lo:[1,1,0]
	s_delay_alu instid0(VALU_DEP_3) | instskip(NEXT) | instid1(VALU_DEP_2)
	v_dot4_i32_iu8 v13, v32, v37, v13 neg_lo:[1,1,0]
	v_dot4_i32_iu8 v12, v15, v39, v12 neg_lo:[1,1,0]
	s_delay_alu instid0(VALU_DEP_2) | instskip(NEXT) | instid1(VALU_DEP_2)
	v_dot4_i32_iu8 v13, v15, v40, v13 neg_lo:[1,1,0]
	v_add_nc_u32_e32 v12, v12, v21
	s_delay_alu instid0(VALU_DEP_2)
	v_add_nc_u32_e32 v13, v13, v9
	v_add_nc_u32_e32 v9, v1, v20
	s_and_not1_b32 exec_lo, exec_lo, s6
	s_cbranch_execnz .LBB70_35
; %bb.36:
	s_or_b32 exec_lo, exec_lo, s6
.LBB70_37:
	s_delay_alu instid0(SALU_CYCLE_1) | instskip(NEXT) | instid1(VALU_DEP_1)
	s_or_b32 exec_lo, exec_lo, s2
	v_dual_mov_b32 v15, 0 :: v_dual_bitop2_b32 v14, 3, v14 bitop3:0x40
	s_mov_b32 s2, exec_lo
	s_delay_alu instid0(VALU_DEP_1)
	v_cmpx_ne_u64_e32 0, v[14:15]
	s_cbranch_execz .LBB70_41
; %bb.38:
	v_lshl_add_u64 v[10:11], v[10:11], 3, s[8:9]
	v_lshlrev_b32_e32 v14, 1, v14
	s_mov_b32 s6, 0
.LBB70_39:                              ; =>This Inner Loop Header: Depth=1
	global_load_b64 v[16:17], v[10:11], off
	v_add_nc_u64_e32 v[14:15], -2, v[14:15]
	s_wait_xcnt 0x0
	v_add_nc_u64_e32 v[10:11], 32, v[10:11]
	s_delay_alu instid0(VALU_DEP_2)
	v_cmp_eq_u64_e32 vcc_lo, 0, v[14:15]
	s_or_b32 s6, vcc_lo, s6
	s_wait_loadcnt 0x0
	v_sub_nc_u64_e32 v[20:21], v[16:17], v[2:3]
	global_load_b128 v[16:19], v[6:7], off
	s_wait_xcnt 0x0
	v_add_nc_u64_e32 v[6:7], 64, v[6:7]
	v_lshl_add_u64 v[20:21], v[20:21], 2, s[4:5]
	global_load_b32 v1, v[20:21], off
	s_wait_loadcnt 0x1
	s_wait_xcnt 0x0
	v_perm_b32 v20, v17, v16, 0xc0c0501
	v_perm_b32 v21, v19, v18, 0x5010c0c
	;; [unrolled: 1-line block ×8, first 2 shown]
	v_or_b32_e32 v18, v21, v20
	v_or_b32_e32 v19, v23, v22
	;; [unrolled: 1-line block ×3, first 2 shown]
	s_delay_alu instid0(VALU_DEP_4)
	v_or_b32_e32 v16, v17, v16
	s_wait_loadcnt 0x0
	v_dot4_i32_iu8 v13, v1, v18, v13 neg_lo:[1,1,0]
	v_dot4_i32_iu8 v12, v1, v19, v12 neg_lo:[1,1,0]
	;; [unrolled: 1-line block ×4, first 2 shown]
	s_and_not1_b32 exec_lo, exec_lo, s6
	s_cbranch_execnz .LBB70_39
; %bb.40:
	s_or_b32 exec_lo, exec_lo, s6
.LBB70_41:
	s_delay_alu instid0(SALU_CYCLE_1)
	s_or_b32 exec_lo, exec_lo, s2
.LBB70_42:
	s_delay_alu instid0(SALU_CYCLE_1)
	s_or_b32 exec_lo, exec_lo, s3
.LBB70_43:
	v_mbcnt_lo_u32_b32 v1, -1, 0
	s_mov_b32 s2, -1
	s_delay_alu instid0(VALU_DEP_1) | instskip(NEXT) | instid1(VALU_DEP_1)
	v_xor_b32_e32 v2, 2, v1
	v_cmp_gt_i32_e32 vcc_lo, 32, v2
	v_cndmask_b32_e32 v2, v1, v2, vcc_lo
	s_delay_alu instid0(VALU_DEP_1)
	v_lshlrev_b32_e32 v2, 2, v2
	ds_bpermute_b32 v3, v2, v12
	ds_bpermute_b32 v6, v2, v13
	ds_bpermute_b32 v7, v2, v8
	ds_bpermute_b32 v10, v2, v9
	v_xor_b32_e32 v2, 1, v1
	s_delay_alu instid0(VALU_DEP_1) | instskip(SKIP_3) | instid1(VALU_DEP_2)
	v_cmp_gt_i32_e32 vcc_lo, 32, v2
	v_cndmask_b32_e32 v1, v1, v2, vcc_lo
	v_cmp_eq_u32_e32 vcc_lo, 3, v0
	s_wait_dscnt 0x3
	v_dual_add_nc_u32 v2, v3, v12 :: v_dual_lshlrev_b32 v11, 2, v1
	s_wait_dscnt 0x1
	v_dual_add_nc_u32 v1, v6, v13 :: v_dual_add_nc_u32 v6, v7, v8
	s_wait_dscnt 0x0
	v_add_nc_u32_e32 v3, v10, v9
	ds_bpermute_b32 v9, v11, v2
	ds_bpermute_b32 v10, v11, v1
	;; [unrolled: 1-line block ×4, first 2 shown]
	s_and_b32 exec_lo, exec_lo, vcc_lo
	s_cbranch_execz .LBB70_14
; %bb.44:
	s_load_b64 s[0:1], s[0:1], 0x58
	s_wait_dscnt 0x2
	v_dual_add_nc_u32 v0, v9, v2 :: v_dual_add_nc_u32 v1, v10, v1
	s_wait_dscnt 0x0
	v_dual_add_nc_u32 v2, v7, v6 :: v_dual_add_nc_u32 v3, v8, v3
	s_cmp_eq_u32 s13, 0
	s_delay_alu instid0(VALU_DEP_2) | instskip(SKIP_1) | instid1(VALU_DEP_3)
	v_mul_lo_u32 v0, v0, s12
	v_mul_lo_u32 v1, v1, s12
	;; [unrolled: 1-line block ×4, first 2 shown]
	s_wait_kmcnt 0x0
	v_lshl_add_u64 v[4:5], v[4:5], 4, s[0:1]
	s_cbranch_scc1 .LBB70_46
; %bb.45:
	global_load_b128 v[6:9], v[4:5], off
	s_mov_b32 s2, 0
	s_wait_loadcnt 0x0
	v_mad_u32 v7, v7, s13, v1
	v_mad_u32 v6, v6, s13, v0
	;; [unrolled: 1-line block ×4, first 2 shown]
	global_store_b128 v[4:5], v[6:9], off
.LBB70_46:
	s_and_not1_b32 vcc_lo, exec_lo, s2
	s_cbranch_vccnz .LBB70_14
; %bb.47:
	global_store_b128 v[4:5], v[0:3], off
	s_sendmsg sendmsg(MSG_DEALLOC_VGPRS)
	s_endpgm
	.section	.rodata,"a",@progbits
	.p2align	6, 0x0
	.amdhsa_kernel _ZN9rocsparseL18bsrxmvn_4x4_kernelILj128ELj4EillaaiEEvT3_20rocsparse_direction_NS_24const_host_device_scalarIT1_EES1_PKS1_PKT2_SA_S7_PKT4_PKT5_S5_PT6_21rocsparse_index_base_b
		.amdhsa_group_segment_fixed_size 0
		.amdhsa_private_segment_fixed_size 0
		.amdhsa_kernarg_size 104
		.amdhsa_user_sgpr_count 2
		.amdhsa_user_sgpr_dispatch_ptr 0
		.amdhsa_user_sgpr_queue_ptr 0
		.amdhsa_user_sgpr_kernarg_segment_ptr 1
		.amdhsa_user_sgpr_dispatch_id 0
		.amdhsa_user_sgpr_kernarg_preload_length 0
		.amdhsa_user_sgpr_kernarg_preload_offset 0
		.amdhsa_user_sgpr_private_segment_size 0
		.amdhsa_wavefront_size32 1
		.amdhsa_uses_dynamic_stack 0
		.amdhsa_enable_private_segment 0
		.amdhsa_system_sgpr_workgroup_id_x 1
		.amdhsa_system_sgpr_workgroup_id_y 0
		.amdhsa_system_sgpr_workgroup_id_z 0
		.amdhsa_system_sgpr_workgroup_info 0
		.amdhsa_system_vgpr_workitem_id 0
		.amdhsa_next_free_vgpr 65
		.amdhsa_next_free_sgpr 14
		.amdhsa_named_barrier_count 0
		.amdhsa_reserve_vcc 1
		.amdhsa_float_round_mode_32 0
		.amdhsa_float_round_mode_16_64 0
		.amdhsa_float_denorm_mode_32 3
		.amdhsa_float_denorm_mode_16_64 3
		.amdhsa_fp16_overflow 0
		.amdhsa_memory_ordered 1
		.amdhsa_forward_progress 1
		.amdhsa_inst_pref_size 30
		.amdhsa_round_robin_scheduling 0
		.amdhsa_exception_fp_ieee_invalid_op 0
		.amdhsa_exception_fp_denorm_src 0
		.amdhsa_exception_fp_ieee_div_zero 0
		.amdhsa_exception_fp_ieee_overflow 0
		.amdhsa_exception_fp_ieee_underflow 0
		.amdhsa_exception_fp_ieee_inexact 0
		.amdhsa_exception_int_div_zero 0
	.end_amdhsa_kernel
	.section	.text._ZN9rocsparseL18bsrxmvn_4x4_kernelILj128ELj4EillaaiEEvT3_20rocsparse_direction_NS_24const_host_device_scalarIT1_EES1_PKS1_PKT2_SA_S7_PKT4_PKT5_S5_PT6_21rocsparse_index_base_b,"axG",@progbits,_ZN9rocsparseL18bsrxmvn_4x4_kernelILj128ELj4EillaaiEEvT3_20rocsparse_direction_NS_24const_host_device_scalarIT1_EES1_PKS1_PKT2_SA_S7_PKT4_PKT5_S5_PT6_21rocsparse_index_base_b,comdat
.Lfunc_end70:
	.size	_ZN9rocsparseL18bsrxmvn_4x4_kernelILj128ELj4EillaaiEEvT3_20rocsparse_direction_NS_24const_host_device_scalarIT1_EES1_PKS1_PKT2_SA_S7_PKT4_PKT5_S5_PT6_21rocsparse_index_base_b, .Lfunc_end70-_ZN9rocsparseL18bsrxmvn_4x4_kernelILj128ELj4EillaaiEEvT3_20rocsparse_direction_NS_24const_host_device_scalarIT1_EES1_PKS1_PKT2_SA_S7_PKT4_PKT5_S5_PT6_21rocsparse_index_base_b
                                        ; -- End function
	.set _ZN9rocsparseL18bsrxmvn_4x4_kernelILj128ELj4EillaaiEEvT3_20rocsparse_direction_NS_24const_host_device_scalarIT1_EES1_PKS1_PKT2_SA_S7_PKT4_PKT5_S5_PT6_21rocsparse_index_base_b.num_vgpr, 65
	.set _ZN9rocsparseL18bsrxmvn_4x4_kernelILj128ELj4EillaaiEEvT3_20rocsparse_direction_NS_24const_host_device_scalarIT1_EES1_PKS1_PKT2_SA_S7_PKT4_PKT5_S5_PT6_21rocsparse_index_base_b.num_agpr, 0
	.set _ZN9rocsparseL18bsrxmvn_4x4_kernelILj128ELj4EillaaiEEvT3_20rocsparse_direction_NS_24const_host_device_scalarIT1_EES1_PKS1_PKT2_SA_S7_PKT4_PKT5_S5_PT6_21rocsparse_index_base_b.numbered_sgpr, 14
	.set _ZN9rocsparseL18bsrxmvn_4x4_kernelILj128ELj4EillaaiEEvT3_20rocsparse_direction_NS_24const_host_device_scalarIT1_EES1_PKS1_PKT2_SA_S7_PKT4_PKT5_S5_PT6_21rocsparse_index_base_b.num_named_barrier, 0
	.set _ZN9rocsparseL18bsrxmvn_4x4_kernelILj128ELj4EillaaiEEvT3_20rocsparse_direction_NS_24const_host_device_scalarIT1_EES1_PKS1_PKT2_SA_S7_PKT4_PKT5_S5_PT6_21rocsparse_index_base_b.private_seg_size, 0
	.set _ZN9rocsparseL18bsrxmvn_4x4_kernelILj128ELj4EillaaiEEvT3_20rocsparse_direction_NS_24const_host_device_scalarIT1_EES1_PKS1_PKT2_SA_S7_PKT4_PKT5_S5_PT6_21rocsparse_index_base_b.uses_vcc, 1
	.set _ZN9rocsparseL18bsrxmvn_4x4_kernelILj128ELj4EillaaiEEvT3_20rocsparse_direction_NS_24const_host_device_scalarIT1_EES1_PKS1_PKT2_SA_S7_PKT4_PKT5_S5_PT6_21rocsparse_index_base_b.uses_flat_scratch, 0
	.set _ZN9rocsparseL18bsrxmvn_4x4_kernelILj128ELj4EillaaiEEvT3_20rocsparse_direction_NS_24const_host_device_scalarIT1_EES1_PKS1_PKT2_SA_S7_PKT4_PKT5_S5_PT6_21rocsparse_index_base_b.has_dyn_sized_stack, 0
	.set _ZN9rocsparseL18bsrxmvn_4x4_kernelILj128ELj4EillaaiEEvT3_20rocsparse_direction_NS_24const_host_device_scalarIT1_EES1_PKS1_PKT2_SA_S7_PKT4_PKT5_S5_PT6_21rocsparse_index_base_b.has_recursion, 0
	.set _ZN9rocsparseL18bsrxmvn_4x4_kernelILj128ELj4EillaaiEEvT3_20rocsparse_direction_NS_24const_host_device_scalarIT1_EES1_PKS1_PKT2_SA_S7_PKT4_PKT5_S5_PT6_21rocsparse_index_base_b.has_indirect_call, 0
	.section	.AMDGPU.csdata,"",@progbits
; Kernel info:
; codeLenInByte = 3788
; TotalNumSgprs: 16
; NumVgprs: 65
; ScratchSize: 0
; MemoryBound: 0
; FloatMode: 240
; IeeeMode: 1
; LDSByteSize: 0 bytes/workgroup (compile time only)
; SGPRBlocks: 0
; VGPRBlocks: 4
; NumSGPRsForWavesPerEU: 16
; NumVGPRsForWavesPerEU: 65
; NamedBarCnt: 0
; Occupancy: 12
; WaveLimiterHint : 1
; COMPUTE_PGM_RSRC2:SCRATCH_EN: 0
; COMPUTE_PGM_RSRC2:USER_SGPR: 2
; COMPUTE_PGM_RSRC2:TRAP_HANDLER: 0
; COMPUTE_PGM_RSRC2:TGID_X_EN: 1
; COMPUTE_PGM_RSRC2:TGID_Y_EN: 0
; COMPUTE_PGM_RSRC2:TGID_Z_EN: 0
; COMPUTE_PGM_RSRC2:TIDIG_COMP_CNT: 0
	.section	.text._ZN9rocsparseL18bsrxmvn_4x4_kernelILj128ELj8EillaaiEEvT3_20rocsparse_direction_NS_24const_host_device_scalarIT1_EES1_PKS1_PKT2_SA_S7_PKT4_PKT5_S5_PT6_21rocsparse_index_base_b,"axG",@progbits,_ZN9rocsparseL18bsrxmvn_4x4_kernelILj128ELj8EillaaiEEvT3_20rocsparse_direction_NS_24const_host_device_scalarIT1_EES1_PKS1_PKT2_SA_S7_PKT4_PKT5_S5_PT6_21rocsparse_index_base_b,comdat
	.globl	_ZN9rocsparseL18bsrxmvn_4x4_kernelILj128ELj8EillaaiEEvT3_20rocsparse_direction_NS_24const_host_device_scalarIT1_EES1_PKS1_PKT2_SA_S7_PKT4_PKT5_S5_PT6_21rocsparse_index_base_b ; -- Begin function _ZN9rocsparseL18bsrxmvn_4x4_kernelILj128ELj8EillaaiEEvT3_20rocsparse_direction_NS_24const_host_device_scalarIT1_EES1_PKS1_PKT2_SA_S7_PKT4_PKT5_S5_PT6_21rocsparse_index_base_b
	.p2align	8
	.type	_ZN9rocsparseL18bsrxmvn_4x4_kernelILj128ELj8EillaaiEEvT3_20rocsparse_direction_NS_24const_host_device_scalarIT1_EES1_PKS1_PKT2_SA_S7_PKT4_PKT5_S5_PT6_21rocsparse_index_base_b,@function
_ZN9rocsparseL18bsrxmvn_4x4_kernelILj128ELj8EillaaiEEvT3_20rocsparse_direction_NS_24const_host_device_scalarIT1_EES1_PKS1_PKT2_SA_S7_PKT4_PKT5_S5_PT6_21rocsparse_index_base_b: ; @_ZN9rocsparseL18bsrxmvn_4x4_kernelILj128ELj8EillaaiEEvT3_20rocsparse_direction_NS_24const_host_device_scalarIT1_EES1_PKS1_PKT2_SA_S7_PKT4_PKT5_S5_PT6_21rocsparse_index_base_b
; %bb.0:
	s_clause 0x1
	s_load_b64 s[2:3], s[0:1], 0x60
	s_load_b128 s[4:7], s[0:1], 0x10
	s_mov_b32 s10, -1
                                        ; implicit-def: $sgpr12
	s_wait_kmcnt 0x0
	s_bitcmp1_b32 s3, 0
	s_cselect_b32 s3, -1, 0
	s_delay_alu instid0(SALU_CYCLE_1) | instskip(NEXT) | instid1(SALU_CYCLE_1)
	s_xor_b32 s3, s3, -1
	s_and_b32 vcc_lo, exec_lo, s3
	s_cbranch_vccnz .LBB71_4
; %bb.1:
	s_load_b64 s[8:9], s[0:1], 0x50
	s_and_not1_b32 vcc_lo, exec_lo, s10
	s_cbranch_vccz .LBB71_5
.LBB71_2:
	s_and_b32 vcc_lo, exec_lo, s3
	s_cbranch_vccz .LBB71_6
.LBB71_3:
	s_wait_kmcnt 0x0
	s_load_b32 s13, s[8:9], 0x0
	s_cbranch_execz .LBB71_7
	s_branch .LBB71_8
.LBB71_4:
	s_load_b32 s12, s[4:5], 0x0
	s_load_b64 s[8:9], s[0:1], 0x50
	s_cbranch_execnz .LBB71_2
.LBB71_5:
	s_wait_kmcnt 0x0
	s_mov_b32 s12, s4
	s_and_b32 vcc_lo, exec_lo, s3
	s_cbranch_vccnz .LBB71_3
.LBB71_6:
                                        ; implicit-def: $sgpr13
.LBB71_7:
	s_wait_kmcnt 0x0
	s_mov_b32 s13, s8
.LBB71_8:
	s_wait_kmcnt 0x0
	s_cmp_lg_u32 s12, 0
	s_mov_b32 s8, 0
	s_cselect_b32 s3, -1, 0
	s_cmp_lg_u32 s13, 1
	s_cselect_b32 s4, -1, 0
	s_delay_alu instid0(SALU_CYCLE_1) | instskip(NEXT) | instid1(SALU_CYCLE_1)
	s_or_b32 s3, s3, s4
	s_and_not1_b32 vcc_lo, exec_lo, s3
	s_cbranch_vccnz .LBB71_14
; %bb.9:
	s_load_b64 s[4:5], s[0:1], 0x20
	s_bfe_u32 s3, ttmp6, 0x4000c
	s_and_b32 s9, ttmp6, 15
	s_add_co_i32 s3, s3, 1
	s_getreg_b32 s10, hwreg(HW_REG_IB_STS2, 6, 4)
	s_mul_i32 s3, ttmp9, s3
	v_dual_lshrrev_b32 v1, 3, v0 :: v_dual_mov_b32 v7, 0
	s_add_co_i32 s9, s9, s3
	s_cmp_eq_u32 s10, 0
	s_cselect_b32 s3, ttmp9, s9
	s_delay_alu instid0(VALU_DEP_1) | instid1(SALU_CYCLE_1)
	v_lshl_or_b32 v6, s3, 4, v1
	s_wait_kmcnt 0x0
	s_cmp_lg_u64 s[4:5], 0
	s_cbranch_scc0 .LBB71_15
; %bb.10:
	s_delay_alu instid0(VALU_DEP_1) | instskip(SKIP_2) | instid1(SALU_CYCLE_1)
	v_cmp_gt_i64_e32 vcc_lo, s[6:7], v[6:7]
	s_mov_b32 s6, 0
                                        ; implicit-def: $vgpr4_vgpr5
                                        ; implicit-def: $vgpr2_vgpr3
	s_and_saveexec_b32 s3, vcc_lo
	s_xor_b32 s7, exec_lo, s3
	s_cbranch_execz .LBB71_12
; %bb.11:
	v_lshl_add_u64 v[2:3], v[6:7], 3, s[4:5]
	s_mov_b32 s3, 0
	s_mov_b32 s8, exec_lo
	global_load_b64 v[2:3], v[2:3], off
	s_wait_loadcnt 0x0
	v_sub_nc_u64_e64 v[4:5], v[2:3], s[2:3]
	v_mov_b64_e32 v[2:3], s[2:3]
.LBB71_12:
	s_or_b32 exec_lo, exec_lo, s7
	s_delay_alu instid0(SALU_CYCLE_1)
	s_and_b32 vcc_lo, exec_lo, s6
	s_cbranch_vccnz .LBB71_16
.LBB71_13:
	s_and_saveexec_b32 s2, s8
	s_cbranch_execnz .LBB71_19
.LBB71_14:
	s_sendmsg sendmsg(MSG_DEALLOC_VGPRS)
	s_endpgm
.LBB71_15:
                                        ; implicit-def: $vgpr4_vgpr5
                                        ; implicit-def: $vgpr2_vgpr3
	s_cbranch_execz .LBB71_13
.LBB71_16:
	s_load_b64 s[4:5], s[0:1], 0x0
	s_wait_kmcnt 0x0
	v_cmp_gt_i64_e32 vcc_lo, s[4:5], v[6:7]
	s_and_saveexec_b32 s4, vcc_lo
; %bb.17:
	s_mov_b32 s3, 0
	s_or_b32 s8, s8, exec_lo
; %bb.18:
	s_or_b32 exec_lo, exec_lo, s4
	v_mov_b64_e32 v[2:3], s[2:3]
	v_mov_b64_e32 v[4:5], v[6:7]
	s_and_saveexec_b32 s2, s8
	s_cbranch_execz .LBB71_14
.LBB71_19:
	s_load_b256 s[4:11], s[0:1], 0x28
	s_delay_alu instid0(VALU_DEP_1) | instskip(SKIP_2) | instid1(VALU_DEP_2)
	v_lshlrev_b64_e32 v[6:7], 3, v[4:5]
	v_dual_mov_b32 v1, 0 :: v_dual_bitop2_b32 v0, 7, v0 bitop3:0x40
	s_wait_kmcnt 0x0
	v_add_nc_u64_e32 v[8:9], s[4:5], v[6:7]
	v_add_nc_u64_e32 v[6:7], s[6:7], v[6:7]
	s_cmp_eq_u64 s[6:7], 0
	s_cselect_b32 vcc_lo, -1, 0
	s_delay_alu instid0(VALU_DEP_2)
	v_add_nc_u64_e32 v[10:11], 8, v[8:9]
	global_load_b64 v[14:15], v[8:9], off
	v_dual_cndmask_b32 v7, v7, v11 :: v_dual_cndmask_b32 v6, v6, v10
	global_load_b64 v[6:7], v[6:7], off
	s_clause 0x1
	s_load_b32 s3, s[0:1], 0x8
	s_load_b64 s[4:5], s[0:1], 0x48
	s_wait_kmcnt 0x0
	s_cmp_eq_u32 s3, 1
	s_wait_loadcnt 0x1
	v_sub_nc_u64_e32 v[8:9], v[14:15], v[2:3]
	s_delay_alu instid0(VALU_DEP_1) | instskip(SKIP_2) | instid1(VALU_DEP_2)
	v_add_nc_u64_e32 v[10:11], v[8:9], v[0:1]
	s_wait_loadcnt 0x0
	v_sub_nc_u64_e32 v[16:17], v[6:7], v[2:3]
	v_lshl_add_u64 v[6:7], v[10:11], 4, s[10:11]
	s_delay_alu instid0(VALU_DEP_2)
	v_cmp_lt_i64_e64 s2, v[10:11], v[16:17]
	s_cbranch_scc1 .LBB71_31
; %bb.20:
	v_dual_mov_b32 v9, v1 :: v_dual_mov_b32 v8, v1
	v_dual_mov_b32 v13, v1 :: v_dual_mov_b32 v12, v1
	s_and_saveexec_b32 s3, s2
	s_cbranch_execz .LBB71_30
; %bb.21:
	v_dual_mov_b32 v9, v1 :: v_dual_bitop2_b32 v8, 8, v0 bitop3:0x54
	v_sub_nc_u64_e32 v[12:13], v[2:3], v[0:1]
	v_not_b32_e32 v19, v15
	v_not_b32_e32 v18, v14
	v_mov_b64_e32 v[22:23], v[10:11]
	v_sub_nc_u64_e32 v[8:9], v[8:9], v[2:3]
	s_delay_alu instid0(VALU_DEP_3) | instskip(NEXT) | instid1(VALU_DEP_2)
	v_add_nc_u64_e32 v[12:13], v[12:13], v[18:19]
	v_add_nc_u64_e32 v[8:9], v[8:9], v[14:15]
	s_delay_alu instid0(VALU_DEP_1) | instskip(NEXT) | instid1(VALU_DEP_1)
	v_max_i64 v[8:9], v[8:9], v[16:17]
	v_add_nc_u64_e32 v[12:13], v[12:13], v[8:9]
	v_mov_b64_e32 v[8:9], 0
	s_delay_alu instid0(VALU_DEP_2) | instskip(SKIP_2) | instid1(VALU_DEP_3)
	v_lshrrev_b64 v[18:19], 3, v[12:13]
	v_cmp_lt_u64_e32 vcc_lo, 23, v[12:13]
	v_mov_b64_e32 v[12:13], 0
	v_add_nc_u64_e32 v[20:21], 1, v[18:19]
	v_mov_b64_e32 v[18:19], v[6:7]
	s_and_saveexec_b32 s6, vcc_lo
	s_cbranch_execz .LBB71_25
; %bb.22:
	v_lshl_add_u64 v[12:13], v[10:11], 3, s[8:9]
	v_mov_b64_e32 v[18:19], v[6:7]
	v_mov_b64_e32 v[22:23], v[10:11]
	v_dual_mov_b32 v25, v21 :: v_dual_bitop2_b32 v24, -4, v20 bitop3:0x40
	s_delay_alu instid0(VALU_DEP_4)
	v_add_nc_u64_e32 v[26:27], 0x80, v[12:13]
	v_dual_mov_b32 v9, 0 :: v_dual_mov_b32 v8, 0
	v_dual_mov_b32 v13, 0 :: v_dual_mov_b32 v12, 0
	s_mov_b32 s7, 0
.LBB71_23:                              ; =>This Inner Loop Header: Depth=1
	s_clause 0x3
	global_load_b64 v[40:41], v[26:27], off offset:-128
	global_load_b64 v[42:43], v[26:27], off offset:-64
	global_load_b64 v[44:45], v[26:27], off
	global_load_b64 v[46:47], v[26:27], off offset:64
	s_clause 0x2
	global_load_b128 v[28:31], v[18:19], off
	global_load_b128 v[32:35], v[18:19], off offset:128
	global_load_b128 v[36:39], v[18:19], off offset:256
	v_add_nc_u64_e32 v[24:25], -4, v[24:25]
	v_add_nc_u64_e32 v[22:23], 32, v[22:23]
	s_wait_xcnt 0x3
	v_add_nc_u64_e32 v[26:27], 0x100, v[26:27]
	s_delay_alu instid0(VALU_DEP_3)
	v_cmp_eq_u64_e32 vcc_lo, 0, v[24:25]
	s_or_b32 s7, vcc_lo, s7
	s_wait_loadcnt 0x6
	v_sub_nc_u64_e32 v[40:41], v[40:41], v[2:3]
	s_wait_loadcnt 0x5
	v_sub_nc_u64_e32 v[42:43], v[42:43], v[2:3]
	;; [unrolled: 2-line block ×3, first 2 shown]
	s_wait_loadcnt 0x2
	v_bfe_i32 v50, v31, 0, 8
	s_wait_loadcnt 0x1
	v_lshrrev_b16 v51, 8, v35
	v_bfe_i32 v54, v35, 16, 8
	v_lshl_add_u64 v[40:41], v[40:41], 2, s[4:5]
	v_lshl_add_u64 v[42:43], v[42:43], 2, s[4:5]
	v_lshl_add_u64 v[44:45], v[44:45], 2, s[4:5]
	s_wait_loadcnt 0x0
	v_bfe_i32 v56, v39, 0, 8
	v_bfe_i32 v57, v39, 8, 8
	s_clause 0x2
	global_load_b32 v21, v[40:41], off
	global_load_b32 v48, v[42:43], off
	;; [unrolled: 1-line block ×3, first 2 shown]
	s_wait_xcnt 0x2
	v_sub_nc_u64_e32 v[40:41], v[46:47], v[2:3]
	v_ashrrev_i32_e32 v53, 24, v35
	v_dual_ashrrev_i32 v47, 24, v31 :: v_dual_ashrrev_i32 v55, 24, v36
	v_bfe_i32 v35, v35, 0, 8
	v_bfe_i32 v58, v39, 16, 8
	v_ashrrev_i32_e32 v39, 24, v39
	s_wait_xcnt 0x0
	v_lshl_add_u64 v[44:45], v[40:41], 2, s[4:5]
	v_bfe_i32 v51, v51, 0, 8
	v_bfe_i32 v52, v32, 0, 8
	global_load_b128 v[40:43], v[18:19], off offset:384
	global_load_b32 v46, v[44:45], off
	s_wait_xcnt 0x0
	v_lshrrev_b16 v44, 8, v31
	v_bfe_i32 v45, v28, 0, 8
	v_perm_b32 v28, v28, v28, 0xc030201
	v_bfe_i32 v31, v31, 16, 8
	v_perm_b32 v32, v36, v32, 0x4030201
	;; [unrolled: 2-line block ×3, first 2 shown]
	v_perm_b32 v37, v37, v37, 0x7060100
	v_add_nc_u64_e32 v[18:19], 0x200, v[18:19]
	s_wait_loadcnt 0x4
	v_dot4_i32_iu8 v13, v21, v29, v13 neg_lo:[1,1,0]
	v_bfe_i32 v29, v21, 0, 8
	v_lshrrev_b16 v59, 8, v21
	s_wait_loadcnt 0x3
	v_ashrrev_i32_e32 v60, 24, v48
	v_lshrrev_b16 v64, 8, v48
	v_dot4_i32_iu8 v8, v21, v30, v8 neg_lo:[1,1,0]
	v_perm_b32 v30, v21, v21, 0xc030201
	v_ashrrev_i32_e32 v61, 24, v21
	v_bfe_i32 v62, v48, 16, 8
	v_bfe_i32 v65, v48, 0, 8
	v_mad_i32_i24 v12, v29, v45, v12
	v_mul_i32_i24_e32 v53, v53, v60
	v_bfe_i32 v59, v59, 0, 8
	v_bfe_i32 v64, v64, 0, 8
	;; [unrolled: 1-line block ×3, first 2 shown]
	s_wait_loadcnt 0x2
	v_bfe_i32 v63, v49, 16, 8
	v_mul_i32_i24_e32 v54, v54, v62
	v_mul_i32_i24_e32 v35, v35, v65
	v_dot4_i32_iu8 v12, v30, v28, v12 neg_lo:[1,1,0]
	v_mad_i32_i24 v28, v47, v61, v53
	v_mul_i32_i24_e32 v30, v44, v59
	v_mul_i32_i24_e32 v44, v51, v64
	v_bfe_i32 v66, v49, 8, 8
	v_bfe_i32 v60, v49, 0, 8
	v_perm_b32 v62, v49, v48, 0x4030201
	v_mul_i32_i24_e32 v47, v58, v63
	v_mad_i32_i24 v21, v31, v21, v54
	v_mad_i32_i24 v29, v50, v29, v35
	;; [unrolled: 1-line block ×3, first 2 shown]
	v_add3_u32 v28, v30, v44, v28
	v_ashrrev_i32_e32 v45, 24, v49
	v_perm_b32 v30, v49, v49, 0xc0c0201
	v_mul_i32_i24_e32 v31, v60, v56
	v_mad_i32_i24 v35, v66, v57, v47
	v_dot4_i32_iu8 v12, v62, v32, v12 neg_lo:[1,1,0]
	v_add3_u32 v21, v29, v21, v28
	v_dot4_i32_iu8 v13, v48, v33, v13 neg_lo:[1,1,0]
	v_dot4_i32_iu8 v8, v48, v34, v8 neg_lo:[1,1,0]
	v_mul_i32_i24_e32 v28, v39, v45
	v_dot4_i32_iu8 v12, v30, v36, v12 neg_lo:[1,1,0]
	v_add3_u32 v21, v21, v31, v35
	v_dot4_i32_iu8 v13, v37, v49, v13 neg_lo:[1,1,0]
	v_dot4_i32_iu8 v8, v38, v49, v8 neg_lo:[1,1,0]
	s_delay_alu instid0(VALU_DEP_4) | instskip(NEXT) | instid1(VALU_DEP_4)
	v_mad_i32_i24 v12, v45, v55, v12
	v_add3_u32 v9, v21, v9, v28
	s_wait_loadcnt 0x0
	v_dot4_i32_iu8 v13, v46, v41, v13 neg_lo:[1,1,0]
	v_dot4_i32_iu8 v8, v46, v42, v8 neg_lo:[1,1,0]
	;; [unrolled: 1-line block ×4, first 2 shown]
	s_and_not1_b32 exec_lo, exec_lo, s7
	s_cbranch_execnz .LBB71_23
; %bb.24:
	s_or_b32 exec_lo, exec_lo, s7
.LBB71_25:
	s_delay_alu instid0(SALU_CYCLE_1) | instskip(NEXT) | instid1(VALU_DEP_2)
	s_or_b32 exec_lo, exec_lo, s6
	v_dual_mov_b32 v21, 0 :: v_dual_bitop2_b32 v20, 3, v20 bitop3:0x40
	s_mov_b32 s6, exec_lo
	s_delay_alu instid0(VALU_DEP_1)
	v_cmpx_ne_u64_e32 0, v[20:21]
	s_cbranch_execz .LBB71_29
; %bb.26:
	v_lshl_add_u64 v[22:23], v[22:23], 3, s[8:9]
	v_lshlrev_b32_e32 v20, 1, v20
	s_mov_b32 s7, 0
.LBB71_27:                              ; =>This Inner Loop Header: Depth=1
	global_load_b64 v[24:25], v[22:23], off
	v_add_nc_u64_e32 v[20:21], -2, v[20:21]
	s_wait_xcnt 0x0
	v_add_nc_u64_e32 v[22:23], 64, v[22:23]
	s_delay_alu instid0(VALU_DEP_2) | instskip(SKIP_3) | instid1(VALU_DEP_1)
	v_cmp_eq_u64_e32 vcc_lo, 0, v[20:21]
	s_or_b32 s7, vcc_lo, s7
	s_wait_loadcnt 0x0
	v_sub_nc_u64_e32 v[24:25], v[24:25], v[2:3]
	v_lshl_add_u64 v[28:29], v[24:25], 2, s[4:5]
	global_load_b128 v[24:27], v[18:19], off
	global_load_b32 v30, v[28:29], off
	s_wait_xcnt 0x1
	v_add_nc_u64_e32 v[18:19], 0x80, v[18:19]
	s_wait_loadcnt 0x0
	v_dot4_i32_iu8 v13, v30, v25, v13 neg_lo:[1,1,0]
	v_dot4_i32_iu8 v12, v30, v24, v12 neg_lo:[1,1,0]
	;; [unrolled: 1-line block ×4, first 2 shown]
	s_and_not1_b32 exec_lo, exec_lo, s7
	s_cbranch_execnz .LBB71_27
; %bb.28:
	s_or_b32 exec_lo, exec_lo, s7
.LBB71_29:
	s_delay_alu instid0(SALU_CYCLE_1)
	s_or_b32 exec_lo, exec_lo, s6
.LBB71_30:
	s_delay_alu instid0(SALU_CYCLE_1)
	s_or_b32 exec_lo, exec_lo, s3
	s_cbranch_execz .LBB71_32
	s_branch .LBB71_43
.LBB71_31:
                                        ; implicit-def: $vgpr9
                                        ; implicit-def: $vgpr13
.LBB71_32:
	v_dual_mov_b32 v9, 0 :: v_dual_mov_b32 v8, 0
	v_dual_mov_b32 v13, 0 :: v_dual_mov_b32 v12, 0
	s_and_saveexec_b32 s3, s2
	s_cbranch_execz .LBB71_42
; %bb.33:
	v_dual_mov_b32 v9, v1 :: v_dual_bitop2_b32 v8, 8, v0 bitop3:0x54
	v_sub_nc_u64_e32 v[12:13], v[2:3], v[0:1]
	s_delay_alu instid0(VALU_DEP_2) | instskip(NEXT) | instid1(VALU_DEP_1)
	v_sub_nc_u64_e32 v[8:9], v[8:9], v[2:3]
	v_add_nc_u64_e32 v[8:9], v[8:9], v[14:15]
	v_not_b32_e32 v15, v15
	v_not_b32_e32 v14, v14
	s_delay_alu instid0(VALU_DEP_1) | instskip(NEXT) | instid1(VALU_DEP_4)
	v_add_nc_u64_e32 v[12:13], v[12:13], v[14:15]
	v_max_i64 v[8:9], v[8:9], v[16:17]
	s_delay_alu instid0(VALU_DEP_1) | instskip(SKIP_1) | instid1(VALU_DEP_2)
	v_add_nc_u64_e32 v[12:13], v[12:13], v[8:9]
	v_mov_b64_e32 v[8:9], 0
	v_lshrrev_b64 v[14:15], 3, v[12:13]
	v_cmp_lt_u64_e32 vcc_lo, 23, v[12:13]
	v_mov_b64_e32 v[12:13], 0
	s_delay_alu instid0(VALU_DEP_3)
	v_add_nc_u64_e32 v[14:15], 1, v[14:15]
	s_and_saveexec_b32 s2, vcc_lo
	s_cbranch_execz .LBB71_37
; %bb.34:
	v_lshl_add_u64 v[12:13], v[10:11], 3, s[8:9]
	s_delay_alu instid0(VALU_DEP_2) | instskip(SKIP_1) | instid1(VALU_DEP_3)
	v_dual_mov_b32 v17, v15 :: v_dual_bitop2_b32 v16, -4, v14 bitop3:0x40
	v_dual_mov_b32 v9, 0 :: v_dual_mov_b32 v8, 0
	v_add_nc_u64_e32 v[18:19], 0x80, v[12:13]
	v_dual_mov_b32 v13, 0 :: v_dual_mov_b32 v12, 0
	s_mov_b32 s6, 0
.LBB71_35:                              ; =>This Inner Loop Header: Depth=1
	s_clause 0x3
	global_load_b64 v[32:33], v[18:19], off offset:-128
	global_load_b64 v[34:35], v[18:19], off offset:-64
	global_load_b64 v[36:37], v[18:19], off
	global_load_b64 v[38:39], v[18:19], off offset:64
	s_clause 0x2
	global_load_b128 v[20:23], v[6:7], off
	global_load_b128 v[24:27], v[6:7], off offset:128
	global_load_b128 v[28:31], v[6:7], off offset:256
	v_add_nc_u64_e32 v[16:17], -4, v[16:17]
	v_add_nc_u64_e32 v[10:11], 32, v[10:11]
	s_wait_xcnt 0x3
	v_add_nc_u64_e32 v[18:19], 0x100, v[18:19]
	s_delay_alu instid0(VALU_DEP_3)
	v_cmp_eq_u64_e32 vcc_lo, 0, v[16:17]
	s_or_b32 s6, vcc_lo, s6
	s_wait_loadcnt 0x6
	v_sub_nc_u64_e32 v[32:33], v[32:33], v[2:3]
	s_wait_loadcnt 0x5
	v_sub_nc_u64_e32 v[34:35], v[34:35], v[2:3]
	;; [unrolled: 2-line block ×4, first 2 shown]
	s_wait_loadcnt 0x2
	v_perm_b32 v53, v22, v21, 0xc07030c
	s_wait_loadcnt 0x1
	v_perm_b32 v45, v26, v25, 0x5010c0c
	s_wait_loadcnt 0x0
	v_dual_lshrrev_b32 v46, 8, v31 :: v_dual_lshrrev_b32 v47, 24, v31
	v_lshl_add_u64 v[40:41], v[32:33], 2, s[4:5]
	v_lshl_add_u64 v[42:43], v[34:35], 2, s[4:5]
	;; [unrolled: 1-line block ×3, first 2 shown]
	v_perm_b32 v49, v28, v27, 0xc0c0501
	s_clause 0x2
	global_load_b32 v1, v[40:41], off
	global_load_b32 v15, v[42:43], off
	;; [unrolled: 1-line block ×3, first 2 shown]
	global_load_b128 v[32:35], v[6:7], off offset:384
	s_wait_xcnt 0x1
	v_lshl_add_u64 v[36:37], v[38:39], 2, s[4:5]
	v_perm_b32 v38, v20, v20, 0xc0c0c01
	v_perm_b32 v39, v22, v21, 0xc04000c
	;; [unrolled: 1-line block ×4, first 2 shown]
	global_load_b32 v36, v[36:37], off
	s_wait_xcnt 0x0
	v_perm_b32 v37, v22, v21, 0xc05010c
	v_perm_b32 v42, v26, v25, 0x4000c0c
	v_perm_b32 v43, v24, v23, 0xc0c0501
	v_lshrrev_b32_e32 v48, 16, v31
	v_perm_b32 v51, v28, v27, 0xc0c0400
	v_perm_b32 v54, v20, v20, 0xc0c0c03
	v_perm_b32 v21, v22, v21, 0xc06020c
	v_perm_b32 v20, v20, v20, 0xc0c0c02
	v_perm_b32 v22, v24, v23, 0xc0c0602
	v_perm_b32 v55, v26, v25, 0x6020c0c
	v_perm_b32 v23, v24, v23, 0xc0c0703
	v_perm_b32 v24, v26, v25, 0x7030c0c
	v_perm_b32 v25, v28, v27, 0xc0c0703
	v_perm_b32 v26, v30, v29, 0x7030c0c
	v_perm_b32 v27, v28, v27, 0xc0c0602
	v_perm_b32 v28, v30, v29, 0x6020c0c
	v_perm_b32 v50, v30, v29, 0x5010c0c
	v_perm_b32 v52, v30, v29, 0x4000c0c
	v_bfe_i32 v29, v31, 0, 8
	v_or_b32_e32 v20, v21, v20
	v_or_b32_e32 v21, v55, v22
	;; [unrolled: 1-line block ×5, first 2 shown]
	v_bfe_i32 v25, v46, 0, 8
	v_bfe_i32 v27, v47, 0, 8
	v_add_nc_u64_e32 v[6:7], 0x200, v[6:7]
	s_delay_alu instid0(VALU_DEP_3)
	v_perm_b32 v25, v25, v29, 0x5040100
	s_wait_loadcnt 0x2
	v_lshrrev_b32_e32 v29, 24, v44
	s_wait_loadcnt 0x1
	v_perm_b32 v30, v33, v32, 0xc0c0501
	v_perm_b32 v31, v35, v34, 0x5010c0c
	;; [unrolled: 1-line block ×8, first 2 shown]
	v_or_b32_e32 v34, v37, v38
	v_bfe_i32 v26, v48, 0, 8
	v_or_b32_e32 v35, v39, v40
	v_or_b32_e32 v37, v42, v41
	;; [unrolled: 1-line block ×4, first 2 shown]
	v_perm_b32 v26, v27, v26, 0x5040100
	v_perm_b32 v27, v1, v1, 0xc020100
	;; [unrolled: 1-line block ×4, first 2 shown]
	v_or_b32_e32 v39, v50, v49
	v_or_b32_e32 v28, v31, v30
	v_dot4_i32_iu8 v12, v27, v35, v12 neg_lo:[1,1,0]
	v_dot4_i32_iu8 v13, v27, v34, v13 neg_lo:[1,1,0]
	;; [unrolled: 1-line block ×4, first 2 shown]
	v_bfe_i32 v20, v29, 0, 8
	v_dot4_i32_iu8 v12, v1, v37, v12 neg_lo:[1,1,0]
	v_dot4_i32_iu8 v13, v1, v38, v13 neg_lo:[1,1,0]
	;; [unrolled: 1-line block ×4, first 2 shown]
	v_pk_mul_lo_u16 v9, v20, v25 op_sel_hi:[0,1]
	v_pk_mul_lo_u16 v20, v20, v26 op_sel_hi:[0,1]
	v_dot4_i32_iu8 v13, v15, v39, v13 neg_lo:[1,1,0]
	v_dot4_i32_iu8 v8, v15, v24, v8 neg_lo:[1,1,0]
	;; [unrolled: 1-line block ×3, first 2 shown]
	v_or_b32_e32 v30, v57, v56
	v_dual_ashrrev_i32 v21, 16, v20 :: v_dual_bitop2_b32 v40, v52, v51 bitop3:0x54
	v_bfe_i32 v20, v20, 0, 16
	v_or_b32_e32 v31, v59, v58
	v_or_b32_e32 v22, v33, v32
	s_delay_alu instid0(VALU_DEP_4) | instskip(SKIP_3) | instid1(VALU_DEP_2)
	v_add_nc_u32_e32 v1, v1, v21
	v_dot4_i32_iu8 v12, v15, v40, v12 neg_lo:[1,1,0]
	v_ashrrev_i32_e32 v15, 16, v9
	v_bfe_i32 v9, v9, 0, 16
	v_dual_add_nc_u32 v8, v8, v20 :: v_dual_add_nc_u32 v13, v13, v15
	s_delay_alu instid0(VALU_DEP_2) | instskip(SKIP_1) | instid1(VALU_DEP_2)
	v_add_nc_u32_e32 v9, v12, v9
	s_wait_loadcnt 0x0
	v_dot4_i32_iu8 v8, v36, v22, v8 neg_lo:[1,1,0]
	s_delay_alu instid0(VALU_DEP_3) | instskip(NEXT) | instid1(VALU_DEP_3)
	v_dot4_i32_iu8 v13, v36, v28, v13 neg_lo:[1,1,0]
	v_dot4_i32_iu8 v12, v36, v30, v9 neg_lo:[1,1,0]
	;; [unrolled: 1-line block ×3, first 2 shown]
	s_and_not1_b32 exec_lo, exec_lo, s6
	s_cbranch_execnz .LBB71_35
; %bb.36:
	s_or_b32 exec_lo, exec_lo, s6
.LBB71_37:
	s_delay_alu instid0(SALU_CYCLE_1) | instskip(NEXT) | instid1(VALU_DEP_1)
	s_or_b32 exec_lo, exec_lo, s2
	v_dual_mov_b32 v15, 0 :: v_dual_bitop2_b32 v14, 3, v14 bitop3:0x40
	s_mov_b32 s2, exec_lo
	s_delay_alu instid0(VALU_DEP_1)
	v_cmpx_ne_u64_e32 0, v[14:15]
	s_cbranch_execz .LBB71_41
; %bb.38:
	v_lshl_add_u64 v[10:11], v[10:11], 3, s[8:9]
	v_lshlrev_b32_e32 v14, 1, v14
	s_mov_b32 s6, 0
.LBB71_39:                              ; =>This Inner Loop Header: Depth=1
	global_load_b64 v[16:17], v[10:11], off
	v_add_nc_u64_e32 v[14:15], -2, v[14:15]
	s_wait_xcnt 0x0
	v_add_nc_u64_e32 v[10:11], 64, v[10:11]
	s_delay_alu instid0(VALU_DEP_2)
	v_cmp_eq_u64_e32 vcc_lo, 0, v[14:15]
	s_or_b32 s6, vcc_lo, s6
	s_wait_loadcnt 0x0
	v_sub_nc_u64_e32 v[20:21], v[16:17], v[2:3]
	global_load_b128 v[16:19], v[6:7], off
	s_wait_xcnt 0x0
	v_add_nc_u64_e32 v[6:7], 0x80, v[6:7]
	v_lshl_add_u64 v[20:21], v[20:21], 2, s[4:5]
	global_load_b32 v1, v[20:21], off
	s_wait_loadcnt 0x1
	s_wait_xcnt 0x0
	v_perm_b32 v20, v17, v16, 0xc0c0501
	v_perm_b32 v21, v19, v18, 0x5010c0c
	v_perm_b32 v22, v17, v16, 0xc0c0400
	v_perm_b32 v23, v19, v18, 0x4000c0c
	v_perm_b32 v24, v17, v16, 0xc0c0703
	v_perm_b32 v25, v19, v18, 0x7030c0c
	v_perm_b32 v16, v17, v16, 0xc0c0602
	v_perm_b32 v17, v19, v18, 0x6020c0c
	v_or_b32_e32 v18, v21, v20
	v_or_b32_e32 v19, v23, v22
	;; [unrolled: 1-line block ×3, first 2 shown]
	s_delay_alu instid0(VALU_DEP_4)
	v_or_b32_e32 v16, v17, v16
	s_wait_loadcnt 0x0
	v_dot4_i32_iu8 v13, v1, v18, v13 neg_lo:[1,1,0]
	v_dot4_i32_iu8 v12, v1, v19, v12 neg_lo:[1,1,0]
	v_dot4_i32_iu8 v9, v1, v20, v9 neg_lo:[1,1,0]
	v_dot4_i32_iu8 v8, v1, v16, v8 neg_lo:[1,1,0]
	s_and_not1_b32 exec_lo, exec_lo, s6
	s_cbranch_execnz .LBB71_39
; %bb.40:
	s_or_b32 exec_lo, exec_lo, s6
.LBB71_41:
	s_delay_alu instid0(SALU_CYCLE_1)
	s_or_b32 exec_lo, exec_lo, s2
.LBB71_42:
	s_delay_alu instid0(SALU_CYCLE_1)
	s_or_b32 exec_lo, exec_lo, s3
.LBB71_43:
	v_mbcnt_lo_u32_b32 v1, -1, 0
	s_mov_b32 s2, -1
	s_delay_alu instid0(VALU_DEP_1) | instskip(SKIP_1) | instid1(VALU_DEP_1)
	v_xor_b32_e32 v10, 2, v1
	v_xor_b32_e32 v2, 4, v1
	v_cmp_gt_i32_e32 vcc_lo, 32, v2
	v_cndmask_b32_e32 v2, v1, v2, vcc_lo
	s_delay_alu instid0(VALU_DEP_1)
	v_lshlrev_b32_e32 v2, 2, v2
	ds_bpermute_b32 v6, v2, v13
	s_wait_dscnt 0x0
	v_add_nc_u32_e32 v6, v6, v13
	ds_bpermute_b32 v7, v2, v8
	ds_bpermute_b32 v3, v2, v12
	;; [unrolled: 1-line block ×3, first 2 shown]
	s_wait_dscnt 0x2
	v_add_nc_u32_e32 v7, v7, v8
	v_cmp_gt_i32_e32 vcc_lo, 32, v10
	s_wait_dscnt 0x0
	v_dual_add_nc_u32 v3, v3, v12 :: v_dual_add_nc_u32 v8, v2, v9
	v_cndmask_b32_e32 v10, v1, v10, vcc_lo
	s_delay_alu instid0(VALU_DEP_1)
	v_lshlrev_b32_e32 v10, 2, v10
	ds_bpermute_b32 v2, v10, v3
	ds_bpermute_b32 v9, v10, v6
	;; [unrolled: 1-line block ×4, first 2 shown]
	s_wait_dscnt 0x3
	v_dual_add_nc_u32 v2, v2, v3 :: v_dual_bitop2_b32 v12, 1, v1 bitop3:0x14
	s_delay_alu instid0(VALU_DEP_1) | instskip(SKIP_4) | instid1(VALU_DEP_2)
	v_cmp_gt_i32_e32 vcc_lo, 32, v12
	s_wait_dscnt 0x0
	v_add_nc_u32_e32 v3, v10, v8
	v_cndmask_b32_e32 v1, v1, v12, vcc_lo
	v_cmp_eq_u32_e32 vcc_lo, 7, v0
	v_dual_lshlrev_b32 v12, 2, v1 :: v_dual_add_nc_u32 v1, v9, v6
	v_add_nc_u32_e32 v6, v11, v7
	ds_bpermute_b32 v9, v12, v2
	ds_bpermute_b32 v10, v12, v1
	;; [unrolled: 1-line block ×4, first 2 shown]
	s_and_b32 exec_lo, exec_lo, vcc_lo
	s_cbranch_execz .LBB71_14
; %bb.44:
	s_load_b64 s[0:1], s[0:1], 0x58
	s_wait_dscnt 0x2
	v_dual_add_nc_u32 v0, v9, v2 :: v_dual_add_nc_u32 v1, v10, v1
	s_wait_dscnt 0x0
	v_dual_add_nc_u32 v2, v7, v6 :: v_dual_add_nc_u32 v3, v8, v3
	s_cmp_eq_u32 s13, 0
	s_delay_alu instid0(VALU_DEP_2) | instskip(SKIP_1) | instid1(VALU_DEP_3)
	v_mul_lo_u32 v0, v0, s12
	v_mul_lo_u32 v1, v1, s12
	v_mul_lo_u32 v2, v2, s12
	v_mul_lo_u32 v3, v3, s12
	s_wait_kmcnt 0x0
	v_lshl_add_u64 v[4:5], v[4:5], 4, s[0:1]
	s_cbranch_scc1 .LBB71_46
; %bb.45:
	global_load_b128 v[6:9], v[4:5], off
	s_mov_b32 s2, 0
	s_wait_loadcnt 0x0
	v_mad_u32 v7, v7, s13, v1
	v_mad_u32 v6, v6, s13, v0
	;; [unrolled: 1-line block ×4, first 2 shown]
	global_store_b128 v[4:5], v[6:9], off
.LBB71_46:
	s_and_not1_b32 vcc_lo, exec_lo, s2
	s_cbranch_vccnz .LBB71_14
; %bb.47:
	global_store_b128 v[4:5], v[0:3], off
	s_sendmsg sendmsg(MSG_DEALLOC_VGPRS)
	s_endpgm
	.section	.rodata,"a",@progbits
	.p2align	6, 0x0
	.amdhsa_kernel _ZN9rocsparseL18bsrxmvn_4x4_kernelILj128ELj8EillaaiEEvT3_20rocsparse_direction_NS_24const_host_device_scalarIT1_EES1_PKS1_PKT2_SA_S7_PKT4_PKT5_S5_PT6_21rocsparse_index_base_b
		.amdhsa_group_segment_fixed_size 0
		.amdhsa_private_segment_fixed_size 0
		.amdhsa_kernarg_size 104
		.amdhsa_user_sgpr_count 2
		.amdhsa_user_sgpr_dispatch_ptr 0
		.amdhsa_user_sgpr_queue_ptr 0
		.amdhsa_user_sgpr_kernarg_segment_ptr 1
		.amdhsa_user_sgpr_dispatch_id 0
		.amdhsa_user_sgpr_kernarg_preload_length 0
		.amdhsa_user_sgpr_kernarg_preload_offset 0
		.amdhsa_user_sgpr_private_segment_size 0
		.amdhsa_wavefront_size32 1
		.amdhsa_uses_dynamic_stack 0
		.amdhsa_enable_private_segment 0
		.amdhsa_system_sgpr_workgroup_id_x 1
		.amdhsa_system_sgpr_workgroup_id_y 0
		.amdhsa_system_sgpr_workgroup_id_z 0
		.amdhsa_system_sgpr_workgroup_info 0
		.amdhsa_system_vgpr_workitem_id 0
		.amdhsa_next_free_vgpr 67
		.amdhsa_next_free_sgpr 14
		.amdhsa_named_barrier_count 0
		.amdhsa_reserve_vcc 1
		.amdhsa_float_round_mode_32 0
		.amdhsa_float_round_mode_16_64 0
		.amdhsa_float_denorm_mode_32 3
		.amdhsa_float_denorm_mode_16_64 3
		.amdhsa_fp16_overflow 0
		.amdhsa_memory_ordered 1
		.amdhsa_forward_progress 1
		.amdhsa_inst_pref_size 30
		.amdhsa_round_robin_scheduling 0
		.amdhsa_exception_fp_ieee_invalid_op 0
		.amdhsa_exception_fp_denorm_src 0
		.amdhsa_exception_fp_ieee_div_zero 0
		.amdhsa_exception_fp_ieee_overflow 0
		.amdhsa_exception_fp_ieee_underflow 0
		.amdhsa_exception_fp_ieee_inexact 0
		.amdhsa_exception_int_div_zero 0
	.end_amdhsa_kernel
	.section	.text._ZN9rocsparseL18bsrxmvn_4x4_kernelILj128ELj8EillaaiEEvT3_20rocsparse_direction_NS_24const_host_device_scalarIT1_EES1_PKS1_PKT2_SA_S7_PKT4_PKT5_S5_PT6_21rocsparse_index_base_b,"axG",@progbits,_ZN9rocsparseL18bsrxmvn_4x4_kernelILj128ELj8EillaaiEEvT3_20rocsparse_direction_NS_24const_host_device_scalarIT1_EES1_PKS1_PKT2_SA_S7_PKT4_PKT5_S5_PT6_21rocsparse_index_base_b,comdat
.Lfunc_end71:
	.size	_ZN9rocsparseL18bsrxmvn_4x4_kernelILj128ELj8EillaaiEEvT3_20rocsparse_direction_NS_24const_host_device_scalarIT1_EES1_PKS1_PKT2_SA_S7_PKT4_PKT5_S5_PT6_21rocsparse_index_base_b, .Lfunc_end71-_ZN9rocsparseL18bsrxmvn_4x4_kernelILj128ELj8EillaaiEEvT3_20rocsparse_direction_NS_24const_host_device_scalarIT1_EES1_PKS1_PKT2_SA_S7_PKT4_PKT5_S5_PT6_21rocsparse_index_base_b
                                        ; -- End function
	.set _ZN9rocsparseL18bsrxmvn_4x4_kernelILj128ELj8EillaaiEEvT3_20rocsparse_direction_NS_24const_host_device_scalarIT1_EES1_PKS1_PKT2_SA_S7_PKT4_PKT5_S5_PT6_21rocsparse_index_base_b.num_vgpr, 67
	.set _ZN9rocsparseL18bsrxmvn_4x4_kernelILj128ELj8EillaaiEEvT3_20rocsparse_direction_NS_24const_host_device_scalarIT1_EES1_PKS1_PKT2_SA_S7_PKT4_PKT5_S5_PT6_21rocsparse_index_base_b.num_agpr, 0
	.set _ZN9rocsparseL18bsrxmvn_4x4_kernelILj128ELj8EillaaiEEvT3_20rocsparse_direction_NS_24const_host_device_scalarIT1_EES1_PKS1_PKT2_SA_S7_PKT4_PKT5_S5_PT6_21rocsparse_index_base_b.numbered_sgpr, 14
	.set _ZN9rocsparseL18bsrxmvn_4x4_kernelILj128ELj8EillaaiEEvT3_20rocsparse_direction_NS_24const_host_device_scalarIT1_EES1_PKS1_PKT2_SA_S7_PKT4_PKT5_S5_PT6_21rocsparse_index_base_b.num_named_barrier, 0
	.set _ZN9rocsparseL18bsrxmvn_4x4_kernelILj128ELj8EillaaiEEvT3_20rocsparse_direction_NS_24const_host_device_scalarIT1_EES1_PKS1_PKT2_SA_S7_PKT4_PKT5_S5_PT6_21rocsparse_index_base_b.private_seg_size, 0
	.set _ZN9rocsparseL18bsrxmvn_4x4_kernelILj128ELj8EillaaiEEvT3_20rocsparse_direction_NS_24const_host_device_scalarIT1_EES1_PKS1_PKT2_SA_S7_PKT4_PKT5_S5_PT6_21rocsparse_index_base_b.uses_vcc, 1
	.set _ZN9rocsparseL18bsrxmvn_4x4_kernelILj128ELj8EillaaiEEvT3_20rocsparse_direction_NS_24const_host_device_scalarIT1_EES1_PKS1_PKT2_SA_S7_PKT4_PKT5_S5_PT6_21rocsparse_index_base_b.uses_flat_scratch, 0
	.set _ZN9rocsparseL18bsrxmvn_4x4_kernelILj128ELj8EillaaiEEvT3_20rocsparse_direction_NS_24const_host_device_scalarIT1_EES1_PKS1_PKT2_SA_S7_PKT4_PKT5_S5_PT6_21rocsparse_index_base_b.has_dyn_sized_stack, 0
	.set _ZN9rocsparseL18bsrxmvn_4x4_kernelILj128ELj8EillaaiEEvT3_20rocsparse_direction_NS_24const_host_device_scalarIT1_EES1_PKS1_PKT2_SA_S7_PKT4_PKT5_S5_PT6_21rocsparse_index_base_b.has_recursion, 0
	.set _ZN9rocsparseL18bsrxmvn_4x4_kernelILj128ELj8EillaaiEEvT3_20rocsparse_direction_NS_24const_host_device_scalarIT1_EES1_PKS1_PKT2_SA_S7_PKT4_PKT5_S5_PT6_21rocsparse_index_base_b.has_indirect_call, 0
	.section	.AMDGPU.csdata,"",@progbits
; Kernel info:
; codeLenInByte = 3832
; TotalNumSgprs: 16
; NumVgprs: 67
; ScratchSize: 0
; MemoryBound: 0
; FloatMode: 240
; IeeeMode: 1
; LDSByteSize: 0 bytes/workgroup (compile time only)
; SGPRBlocks: 0
; VGPRBlocks: 4
; NumSGPRsForWavesPerEU: 16
; NumVGPRsForWavesPerEU: 67
; NamedBarCnt: 0
; Occupancy: 12
; WaveLimiterHint : 1
; COMPUTE_PGM_RSRC2:SCRATCH_EN: 0
; COMPUTE_PGM_RSRC2:USER_SGPR: 2
; COMPUTE_PGM_RSRC2:TRAP_HANDLER: 0
; COMPUTE_PGM_RSRC2:TGID_X_EN: 1
; COMPUTE_PGM_RSRC2:TGID_Y_EN: 0
; COMPUTE_PGM_RSRC2:TGID_Z_EN: 0
; COMPUTE_PGM_RSRC2:TIDIG_COMP_CNT: 0
	.section	.text._ZN9rocsparseL18bsrxmvn_4x4_kernelILj128ELj16EillaaiEEvT3_20rocsparse_direction_NS_24const_host_device_scalarIT1_EES1_PKS1_PKT2_SA_S7_PKT4_PKT5_S5_PT6_21rocsparse_index_base_b,"axG",@progbits,_ZN9rocsparseL18bsrxmvn_4x4_kernelILj128ELj16EillaaiEEvT3_20rocsparse_direction_NS_24const_host_device_scalarIT1_EES1_PKS1_PKT2_SA_S7_PKT4_PKT5_S5_PT6_21rocsparse_index_base_b,comdat
	.globl	_ZN9rocsparseL18bsrxmvn_4x4_kernelILj128ELj16EillaaiEEvT3_20rocsparse_direction_NS_24const_host_device_scalarIT1_EES1_PKS1_PKT2_SA_S7_PKT4_PKT5_S5_PT6_21rocsparse_index_base_b ; -- Begin function _ZN9rocsparseL18bsrxmvn_4x4_kernelILj128ELj16EillaaiEEvT3_20rocsparse_direction_NS_24const_host_device_scalarIT1_EES1_PKS1_PKT2_SA_S7_PKT4_PKT5_S5_PT6_21rocsparse_index_base_b
	.p2align	8
	.type	_ZN9rocsparseL18bsrxmvn_4x4_kernelILj128ELj16EillaaiEEvT3_20rocsparse_direction_NS_24const_host_device_scalarIT1_EES1_PKS1_PKT2_SA_S7_PKT4_PKT5_S5_PT6_21rocsparse_index_base_b,@function
_ZN9rocsparseL18bsrxmvn_4x4_kernelILj128ELj16EillaaiEEvT3_20rocsparse_direction_NS_24const_host_device_scalarIT1_EES1_PKS1_PKT2_SA_S7_PKT4_PKT5_S5_PT6_21rocsparse_index_base_b: ; @_ZN9rocsparseL18bsrxmvn_4x4_kernelILj128ELj16EillaaiEEvT3_20rocsparse_direction_NS_24const_host_device_scalarIT1_EES1_PKS1_PKT2_SA_S7_PKT4_PKT5_S5_PT6_21rocsparse_index_base_b
; %bb.0:
	s_clause 0x1
	s_load_b64 s[2:3], s[0:1], 0x60
	s_load_b128 s[4:7], s[0:1], 0x10
	s_mov_b32 s10, -1
                                        ; implicit-def: $sgpr12
	s_wait_kmcnt 0x0
	s_bitcmp1_b32 s3, 0
	s_cselect_b32 s3, -1, 0
	s_delay_alu instid0(SALU_CYCLE_1) | instskip(NEXT) | instid1(SALU_CYCLE_1)
	s_xor_b32 s3, s3, -1
	s_and_b32 vcc_lo, exec_lo, s3
	s_cbranch_vccnz .LBB72_4
; %bb.1:
	s_load_b64 s[8:9], s[0:1], 0x50
	s_and_not1_b32 vcc_lo, exec_lo, s10
	s_cbranch_vccz .LBB72_5
.LBB72_2:
	s_and_b32 vcc_lo, exec_lo, s3
	s_cbranch_vccz .LBB72_6
.LBB72_3:
	s_wait_kmcnt 0x0
	s_load_b32 s13, s[8:9], 0x0
	s_cbranch_execz .LBB72_7
	s_branch .LBB72_8
.LBB72_4:
	s_load_b32 s12, s[4:5], 0x0
	s_load_b64 s[8:9], s[0:1], 0x50
	s_cbranch_execnz .LBB72_2
.LBB72_5:
	s_wait_kmcnt 0x0
	s_mov_b32 s12, s4
	s_and_b32 vcc_lo, exec_lo, s3
	s_cbranch_vccnz .LBB72_3
.LBB72_6:
                                        ; implicit-def: $sgpr13
.LBB72_7:
	s_wait_kmcnt 0x0
	s_mov_b32 s13, s8
.LBB72_8:
	s_wait_kmcnt 0x0
	s_cmp_lg_u32 s12, 0
	s_mov_b32 s8, 0
	s_cselect_b32 s3, -1, 0
	s_cmp_lg_u32 s13, 1
	s_cselect_b32 s4, -1, 0
	s_delay_alu instid0(SALU_CYCLE_1) | instskip(NEXT) | instid1(SALU_CYCLE_1)
	s_or_b32 s3, s3, s4
	s_and_not1_b32 vcc_lo, exec_lo, s3
	s_cbranch_vccnz .LBB72_14
; %bb.9:
	s_load_b64 s[4:5], s[0:1], 0x20
	s_bfe_u32 s3, ttmp6, 0x4000c
	s_and_b32 s9, ttmp6, 15
	s_add_co_i32 s3, s3, 1
	s_getreg_b32 s10, hwreg(HW_REG_IB_STS2, 6, 4)
	s_mul_i32 s3, ttmp9, s3
	v_dual_lshrrev_b32 v1, 4, v0 :: v_dual_mov_b32 v7, 0
	s_add_co_i32 s9, s9, s3
	s_cmp_eq_u32 s10, 0
	s_cselect_b32 s3, ttmp9, s9
	s_delay_alu instid0(VALU_DEP_1) | instid1(SALU_CYCLE_1)
	v_lshl_or_b32 v6, s3, 3, v1
	s_wait_kmcnt 0x0
	s_cmp_lg_u64 s[4:5], 0
	s_cbranch_scc0 .LBB72_15
; %bb.10:
	s_delay_alu instid0(VALU_DEP_1) | instskip(SKIP_2) | instid1(SALU_CYCLE_1)
	v_cmp_gt_i64_e32 vcc_lo, s[6:7], v[6:7]
	s_mov_b32 s6, 0
                                        ; implicit-def: $vgpr4_vgpr5
                                        ; implicit-def: $vgpr2_vgpr3
	s_and_saveexec_b32 s3, vcc_lo
	s_xor_b32 s7, exec_lo, s3
	s_cbranch_execz .LBB72_12
; %bb.11:
	v_lshl_add_u64 v[2:3], v[6:7], 3, s[4:5]
	s_mov_b32 s3, 0
	s_mov_b32 s8, exec_lo
	global_load_b64 v[2:3], v[2:3], off
	s_wait_loadcnt 0x0
	v_sub_nc_u64_e64 v[4:5], v[2:3], s[2:3]
	v_mov_b64_e32 v[2:3], s[2:3]
.LBB72_12:
	s_or_b32 exec_lo, exec_lo, s7
	s_delay_alu instid0(SALU_CYCLE_1)
	s_and_b32 vcc_lo, exec_lo, s6
	s_cbranch_vccnz .LBB72_16
.LBB72_13:
	s_and_saveexec_b32 s2, s8
	s_cbranch_execnz .LBB72_19
.LBB72_14:
	s_endpgm
.LBB72_15:
                                        ; implicit-def: $vgpr4_vgpr5
                                        ; implicit-def: $vgpr2_vgpr3
	s_cbranch_execz .LBB72_13
.LBB72_16:
	s_load_b64 s[4:5], s[0:1], 0x0
	s_wait_kmcnt 0x0
	v_cmp_gt_i64_e32 vcc_lo, s[4:5], v[6:7]
	s_and_saveexec_b32 s4, vcc_lo
; %bb.17:
	s_mov_b32 s3, 0
	s_or_b32 s8, s8, exec_lo
; %bb.18:
	s_or_b32 exec_lo, exec_lo, s4
	v_mov_b64_e32 v[2:3], s[2:3]
	v_mov_b64_e32 v[4:5], v[6:7]
	s_and_saveexec_b32 s2, s8
	s_cbranch_execz .LBB72_14
.LBB72_19:
	s_load_b256 s[4:11], s[0:1], 0x28
	s_delay_alu instid0(VALU_DEP_1) | instskip(SKIP_2) | instid1(VALU_DEP_2)
	v_lshlrev_b64_e32 v[6:7], 3, v[4:5]
	v_dual_mov_b32 v1, 0 :: v_dual_bitop2_b32 v0, 15, v0 bitop3:0x40
	s_wait_kmcnt 0x0
	v_add_nc_u64_e32 v[8:9], s[4:5], v[6:7]
	v_add_nc_u64_e32 v[6:7], s[6:7], v[6:7]
	s_cmp_eq_u64 s[6:7], 0
	s_cselect_b32 vcc_lo, -1, 0
	s_delay_alu instid0(VALU_DEP_2)
	v_add_nc_u64_e32 v[12:13], 8, v[8:9]
	global_load_b64 v[10:11], v[8:9], off
	v_dual_cndmask_b32 v7, v7, v13 :: v_dual_cndmask_b32 v6, v6, v12
	global_load_b64 v[6:7], v[6:7], off
	s_clause 0x1
	s_load_b32 s3, s[0:1], 0x8
	s_load_b64 s[4:5], s[0:1], 0x48
	s_wait_kmcnt 0x0
	s_cmp_eq_u32 s3, 1
	s_wait_loadcnt 0x1
	v_sub_nc_u64_e32 v[8:9], v[10:11], v[2:3]
	s_delay_alu instid0(VALU_DEP_1) | instskip(SKIP_2) | instid1(VALU_DEP_2)
	v_add_nc_u64_e32 v[8:9], v[8:9], v[0:1]
	s_wait_loadcnt 0x0
	v_sub_nc_u64_e32 v[12:13], v[6:7], v[2:3]
	v_lshl_add_u64 v[6:7], v[8:9], 4, s[10:11]
	s_delay_alu instid0(VALU_DEP_2)
	v_cmp_lt_i64_e64 s2, v[8:9], v[12:13]
	s_cbranch_scc1 .LBB72_31
; %bb.20:
	v_dual_mov_b32 v25, v1 :: v_dual_mov_b32 v26, v1
	v_dual_mov_b32 v27, v1 :: v_dual_mov_b32 v24, v1
	s_and_saveexec_b32 s3, s2
	s_cbranch_execz .LBB72_30
; %bb.21:
	v_dual_mov_b32 v15, v1 :: v_dual_bitop2_b32 v14, 16, v0 bitop3:0x54
	v_sub_nc_u64_e32 v[16:17], v[2:3], v[0:1]
	v_not_b32_e32 v19, v11
	v_not_b32_e32 v18, v10
	v_dual_mov_b32 v24, 0 :: v_dual_mov_b32 v27, 0
	v_sub_nc_u64_e32 v[14:15], v[14:15], v[2:3]
	v_dual_mov_b32 v26, 0 :: v_dual_mov_b32 v25, 0
	s_delay_alu instid0(VALU_DEP_4) | instskip(SKIP_1) | instid1(VALU_DEP_4)
	v_add_nc_u64_e32 v[16:17], v[16:17], v[18:19]
	v_mov_b64_e32 v[18:19], v[8:9]
	v_add_nc_u64_e32 v[14:15], v[14:15], v[10:11]
	s_delay_alu instid0(VALU_DEP_1) | instskip(NEXT) | instid1(VALU_DEP_1)
	v_max_i64 v[14:15], v[14:15], v[12:13]
	v_add_nc_u64_e32 v[14:15], v[16:17], v[14:15]
	s_delay_alu instid0(VALU_DEP_1) | instskip(SKIP_2) | instid1(VALU_DEP_3)
	v_lshrrev_b64 v[16:17], 4, v[14:15]
	v_cmp_lt_u64_e32 vcc_lo, 47, v[14:15]
	v_mov_b64_e32 v[14:15], v[6:7]
	v_add_nc_u64_e32 v[16:17], 1, v[16:17]
	s_and_saveexec_b32 s6, vcc_lo
	s_cbranch_execz .LBB72_25
; %bb.22:
	v_lshl_add_u64 v[14:15], v[8:9], 3, s[8:9]
	v_mov_b64_e32 v[18:19], v[8:9]
	s_delay_alu instid0(VALU_DEP_3) | instskip(SKIP_1) | instid1(VALU_DEP_4)
	v_dual_mov_b32 v21, v17 :: v_dual_bitop2_b32 v20, -4, v16 bitop3:0x40
	v_dual_mov_b32 v25, 0 :: v_dual_mov_b32 v26, 0
	v_add_nc_u64_e32 v[22:23], 0x100, v[14:15]
	v_mov_b64_e32 v[14:15], v[6:7]
	v_dual_mov_b32 v27, 0 :: v_dual_mov_b32 v24, 0
	s_mov_b32 s7, 0
.LBB72_23:                              ; =>This Inner Loop Header: Depth=1
	s_clause 0x3
	global_load_b64 v[28:29], v[22:23], off offset:-256
	global_load_b64 v[44:45], v[22:23], off offset:-128
	global_load_b64 v[46:47], v[22:23], off
	global_load_b64 v[48:49], v[22:23], off offset:128
	v_add_nc_u64_e32 v[20:21], -4, v[20:21]
	v_add_nc_u64_e32 v[18:19], 64, v[18:19]
	s_wait_xcnt 0x0
	v_add_nc_u64_e32 v[22:23], 0x200, v[22:23]
	s_delay_alu instid0(VALU_DEP_3)
	v_cmp_eq_u64_e32 vcc_lo, 0, v[20:21]
	s_or_b32 s7, vcc_lo, s7
	s_wait_loadcnt 0x3
	v_sub_nc_u64_e32 v[40:41], v[28:29], v[2:3]
	s_clause 0x2
	global_load_b128 v[28:31], v[14:15], off
	global_load_b128 v[32:35], v[14:15], off offset:512
	global_load_b128 v[36:39], v[14:15], off offset:768
	s_wait_loadcnt 0x5
	v_sub_nc_u64_e32 v[44:45], v[44:45], v[2:3]
	s_wait_loadcnt 0x3
	v_sub_nc_u64_e32 v[48:49], v[48:49], v[2:3]
	v_sub_nc_u64_e32 v[46:47], v[46:47], v[2:3]
	v_lshl_add_u64 v[50:51], v[40:41], 2, s[4:5]
	global_load_b128 v[40:43], v[14:15], off offset:256
	global_load_b32 v17, v[50:51], off
	v_lshl_add_u64 v[44:45], v[44:45], 2, s[4:5]
	v_lshl_add_u64 v[48:49], v[48:49], 2, s[4:5]
	;; [unrolled: 1-line block ×3, first 2 shown]
	s_clause 0x2
	global_load_b32 v50, v[44:45], off
	global_load_b32 v51, v[48:49], off
	;; [unrolled: 1-line block ×3, first 2 shown]
	v_add_nc_u64_e32 v[14:15], 0x400, v[14:15]
	s_wait_loadcnt 0x7
	s_wait_xcnt 0x2
	v_perm_b32 v44, v31, v31, 0xc0c0100
	v_perm_b32 v45, v30, v30, 0xc0c0100
	s_wait_xcnt 0x0
	v_perm_b32 v46, v29, v29, 0xc0c0100
	v_perm_b32 v47, v28, v28, 0xc0c0100
	;; [unrolled: 1-line block ×6, first 2 shown]
	s_wait_loadcnt 0x5
	v_bfe_i32 v48, v36, 0, 8
	v_bfe_i32 v49, v37, 0, 8
	;; [unrolled: 1-line block ×4, first 2 shown]
	s_wait_loadcnt 0x3
	v_perm_b32 v55, v17, v17, 0xc0c0100
	v_perm_b32 v17, v17, v17, 0xc0c0302
	;; [unrolled: 1-line block ×5, first 2 shown]
	v_dot4_i32_iu8 v24, v55, v47, v24 neg_lo:[1,1,0]
	v_dot4_i32_iu8 v27, v46, v55, v27 neg_lo:[1,1,0]
	;; [unrolled: 1-line block ×4, first 2 shown]
	s_delay_alu instid0(VALU_DEP_4) | instskip(NEXT) | instid1(VALU_DEP_4)
	v_dot4_i32_iu8 v24, v17, v28, v24 neg_lo:[1,1,0]
	v_dot4_i32_iu8 v27, v17, v29, v27 neg_lo:[1,1,0]
	s_delay_alu instid0(VALU_DEP_4) | instskip(NEXT) | instid1(VALU_DEP_4)
	v_dot4_i32_iu8 v26, v17, v30, v26 neg_lo:[1,1,0]
	v_dot4_i32_iu8 v17, v17, v31, v25 neg_lo:[1,1,0]
	s_wait_loadcnt 0x1
	v_bfe_i32 v28, v51, 0, 8
	v_dot4_i32_iu8 v24, v50, v40, v24 neg_lo:[1,1,0]
	v_dot4_i32_iu8 v27, v50, v41, v27 neg_lo:[1,1,0]
	;; [unrolled: 1-line block ×4, first 2 shown]
	v_perm_b32 v25, v39, v39, 0xc030201
	s_wait_loadcnt 0x0
	v_dot4_i32_iu8 v24, v52, v32, v24 neg_lo:[1,1,0]
	v_dot4_i32_iu8 v27, v52, v33, v27 neg_lo:[1,1,0]
	;; [unrolled: 1-line block ×4, first 2 shown]
	v_perm_b32 v29, v51, v51, 0xc030201
	v_mad_i32_i24 v24, v28, v48, v24
	v_mad_i32_i24 v27, v49, v28, v27
	v_mad_i32_i24 v26, v53, v28, v26
	v_mad_i32_i24 v17, v54, v28, v17
	s_delay_alu instid0(VALU_DEP_4) | instskip(NEXT) | instid1(VALU_DEP_4)
	v_dot4_i32_iu8 v24, v29, v36, v24 neg_lo:[1,1,0]
	v_dot4_i32_iu8 v27, v29, v37, v27 neg_lo:[1,1,0]
	s_delay_alu instid0(VALU_DEP_4) | instskip(NEXT) | instid1(VALU_DEP_4)
	v_dot4_i32_iu8 v26, v29, v38, v26 neg_lo:[1,1,0]
	v_dot4_i32_iu8 v25, v29, v25, v17 neg_lo:[1,1,0]
	s_and_not1_b32 exec_lo, exec_lo, s7
	s_cbranch_execnz .LBB72_23
; %bb.24:
	s_or_b32 exec_lo, exec_lo, s7
.LBB72_25:
	s_delay_alu instid0(SALU_CYCLE_1) | instskip(NEXT) | instid1(VALU_DEP_1)
	s_or_b32 exec_lo, exec_lo, s6
	v_dual_mov_b32 v17, 0 :: v_dual_bitop2_b32 v16, 3, v16 bitop3:0x40
	s_mov_b32 s6, exec_lo
	s_delay_alu instid0(VALU_DEP_1)
	v_cmpx_ne_u64_e32 0, v[16:17]
	s_cbranch_execz .LBB72_29
; %bb.26:
	v_lshl_add_u64 v[18:19], v[18:19], 3, s[8:9]
	v_lshlrev_b32_e32 v16, 1, v16
	s_mov_b32 s7, 0
.LBB72_27:                              ; =>This Inner Loop Header: Depth=1
	global_load_b64 v[20:21], v[18:19], off
	v_add_nc_u64_e32 v[16:17], -2, v[16:17]
	s_wait_xcnt 0x0
	v_add_nc_u64_e32 v[18:19], 0x80, v[18:19]
	s_delay_alu instid0(VALU_DEP_2) | instskip(SKIP_3) | instid1(VALU_DEP_1)
	v_cmp_eq_u64_e32 vcc_lo, 0, v[16:17]
	s_or_b32 s7, vcc_lo, s7
	s_wait_loadcnt 0x0
	v_sub_nc_u64_e32 v[20:21], v[20:21], v[2:3]
	v_lshl_add_u64 v[28:29], v[20:21], 2, s[4:5]
	global_load_b128 v[20:23], v[14:15], off
	global_load_b32 v30, v[28:29], off
	s_wait_xcnt 0x1
	v_add_nc_u64_e32 v[14:15], 0x100, v[14:15]
	s_wait_loadcnt 0x0
	v_dot4_i32_iu8 v24, v30, v20, v24 neg_lo:[1,1,0]
	v_dot4_i32_iu8 v27, v30, v21, v27 neg_lo:[1,1,0]
	;; [unrolled: 1-line block ×4, first 2 shown]
	s_and_not1_b32 exec_lo, exec_lo, s7
	s_cbranch_execnz .LBB72_27
; %bb.28:
	s_or_b32 exec_lo, exec_lo, s7
.LBB72_29:
	s_delay_alu instid0(SALU_CYCLE_1)
	s_or_b32 exec_lo, exec_lo, s6
.LBB72_30:
	s_delay_alu instid0(SALU_CYCLE_1)
	s_or_b32 exec_lo, exec_lo, s3
	s_cbranch_execz .LBB72_32
	s_branch .LBB72_43
.LBB72_31:
                                        ; implicit-def: $vgpr25
                                        ; implicit-def: $vgpr26
                                        ; implicit-def: $vgpr27
                                        ; implicit-def: $vgpr24
.LBB72_32:
	v_dual_mov_b32 v25, 0 :: v_dual_mov_b32 v26, 0
	v_dual_mov_b32 v27, 0 :: v_dual_mov_b32 v24, 0
	s_and_saveexec_b32 s3, s2
	s_cbranch_execz .LBB72_42
; %bb.33:
	v_dual_mov_b32 v15, v1 :: v_dual_bitop2_b32 v14, 16, v0 bitop3:0x54
	v_dual_mov_b32 v24, 0 :: v_dual_mov_b32 v27, 0
	v_dual_mov_b32 v26, 0 :: v_dual_mov_b32 v25, 0
	s_delay_alu instid0(VALU_DEP_3) | instskip(NEXT) | instid1(VALU_DEP_1)
	v_sub_nc_u64_e32 v[14:15], v[14:15], v[2:3]
	v_add_nc_u64_e32 v[14:15], v[14:15], v[10:11]
	v_not_b32_e32 v11, v11
	v_not_b32_e32 v10, v10
	s_delay_alu instid0(VALU_DEP_3) | instskip(SKIP_1) | instid1(VALU_DEP_1)
	v_max_i64 v[12:13], v[14:15], v[12:13]
	v_sub_nc_u64_e32 v[14:15], v[2:3], v[0:1]
	v_add_nc_u64_e32 v[10:11], v[14:15], v[10:11]
	s_delay_alu instid0(VALU_DEP_1) | instskip(NEXT) | instid1(VALU_DEP_1)
	v_add_nc_u64_e32 v[10:11], v[10:11], v[12:13]
	v_lshrrev_b64 v[12:13], 4, v[10:11]
	v_cmp_lt_u64_e32 vcc_lo, 47, v[10:11]
	s_delay_alu instid0(VALU_DEP_2)
	v_add_nc_u64_e32 v[10:11], 1, v[12:13]
	s_and_saveexec_b32 s2, vcc_lo
	s_cbranch_execz .LBB72_37
; %bb.34:
	v_lshl_add_u64 v[14:15], v[8:9], 3, s[8:9]
	s_delay_alu instid0(VALU_DEP_2) | instskip(SKIP_1) | instid1(VALU_DEP_3)
	v_dual_mov_b32 v13, v11 :: v_dual_bitop2_b32 v12, -4, v10 bitop3:0x40
	v_dual_mov_b32 v24, 0 :: v_dual_mov_b32 v27, 0
	v_add_nc_u64_e32 v[14:15], 0x100, v[14:15]
	v_dual_mov_b32 v26, 0 :: v_dual_mov_b32 v25, 0
	s_mov_b32 s6, 0
.LBB72_35:                              ; =>This Inner Loop Header: Depth=1
	s_clause 0x3
	global_load_b64 v[36:37], v[14:15], off offset:-256
	global_load_b64 v[38:39], v[14:15], off offset:-128
	global_load_b64 v[40:41], v[14:15], off
	global_load_b64 v[42:43], v[14:15], off offset:128
	s_clause 0x3
	global_load_b128 v[16:19], v[6:7], off
	global_load_b128 v[20:23], v[6:7], off offset:256
	global_load_b128 v[28:31], v[6:7], off offset:512
	;; [unrolled: 1-line block ×3, first 2 shown]
	v_add_nc_u64_e32 v[12:13], -4, v[12:13]
	s_wait_xcnt 0x0
	v_add_nc_u64_e32 v[6:7], 0x400, v[6:7]
	v_add_nc_u64_e32 v[8:9], 64, v[8:9]
	;; [unrolled: 1-line block ×3, first 2 shown]
	s_delay_alu instid0(VALU_DEP_4)
	v_cmp_eq_u64_e32 vcc_lo, 0, v[12:13]
	s_or_b32 s6, vcc_lo, s6
	s_wait_loadcnt 0x7
	v_sub_nc_u64_e32 v[36:37], v[36:37], v[2:3]
	s_wait_loadcnt 0x6
	v_sub_nc_u64_e32 v[38:39], v[38:39], v[2:3]
	;; [unrolled: 2-line block ×4, first 2 shown]
	s_wait_loadcnt 0x2
	v_perm_b32 v46, v23, v22, 0x4000c0c
	v_perm_b32 v47, v21, v20, 0xc0c0501
	v_lshl_add_u64 v[36:37], v[36:37], 2, s[4:5]
	v_lshl_add_u64 v[38:39], v[38:39], 2, s[4:5]
	v_lshl_add_u64 v[40:41], v[40:41], 2, s[4:5]
	v_lshl_add_u64 v[42:43], v[42:43], 2, s[4:5]
	v_perm_b32 v48, v23, v22, 0x5010c0c
	v_perm_b32 v49, v21, v20, 0xc0c0602
	;; [unrolled: 1-line block ×3, first 2 shown]
	s_clause 0x3
	global_load_b32 v1, v[36:37], off
	global_load_b32 v11, v[42:43], off
	;; [unrolled: 1-line block ×4, first 2 shown]
	s_wait_xcnt 0x1
	v_dual_lshrrev_b32 v36, 16, v17 :: v_dual_ashrrev_i32 v39, 24, v16
	s_wait_xcnt 0x0
	v_ashrrev_i16 v40, 8, v17
	v_bfe_i32 v17, v17, 0, 8
	v_perm_b32 v41, v19, v18, 0xc0c0703
	v_perm_b32 v42, v19, v18, 0xc0c0602
	v_perm_b32 v43, v19, v18, 0xc0c0501
	v_perm_b32 v18, v19, v18, 0xc0c0400
	v_perm_b32 v19, v21, v20, 0xc0c0400
	v_perm_b32 v20, v21, v20, 0xc0c0703
	v_perm_b32 v21, v23, v22, 0x7030c0c
	s_wait_loadcnt 0x5
	v_perm_b32 v22, v29, v28, 0xc0c0703
	v_perm_b32 v23, v31, v30, 0x7030c0c
	;; [unrolled: 1-line block ×8, first 2 shown]
	s_wait_loadcnt 0x4
	v_dual_lshrrev_b32 v30, 16, v32 :: v_dual_bitop2_b32 v19, v46, v19 bitop3:0x54
	v_perm_b32 v55, v35, v34, 0xc07030c
	v_perm_b32 v56, v33, v33, 0xc0c0c03
	;; [unrolled: 1-line block ×8, first 2 shown]
	v_ashrrev_i16 v35, 8, v36
	v_bfe_i32 v36, v36, 0, 8
	v_ashrrev_i16 v31, 8, v32
	v_bfe_i32 v32, v32, 0, 8
	v_perm_b32 v17, v40, v17, 0x5040100
	v_or_b32_e32 v40, v48, v47
	v_or_b32_e32 v28, v29, v28
	v_ashrrev_i16 v29, 8, v30
	v_bfe_i32 v30, v30, 0, 8
	v_or_b32_e32 v33, v34, v33
	v_perm_b32 v34, v35, v36, 0x5040100
	v_bfe_i32 v37, v16, 0, 8
	v_bfe_i32 v38, v16, 8, 8
	;; [unrolled: 1-line block ×3, first 2 shown]
	v_perm_b32 v31, v31, v32, 0x5040100
	v_perm_b32 v29, v29, v30, 0x5040100
	s_wait_loadcnt 0x3
	v_dual_lshrrev_b32 v35, 8, v1 :: v_dual_bitop2_b32 v48, v59, v60 bitop3:0x54
	v_bfe_i32 v30, v1, 0, 8
	s_wait_loadcnt 0x2
	v_bfe_i32 v36, v11, 0, 8
	v_perm_b32 v1, v1, v1, 0xc0c0302
	v_perm_b32 v11, v11, v11, 0xc030201
	v_bfe_i32 v35, v35, 0, 8
	v_mul_i32_i24_e32 v38, v30, v38
	v_mul_i32_i24_e32 v37, v30, v37
	;; [unrolled: 1-line block ×4, first 2 shown]
	v_pk_mul_lo_u16 v30, v36, v31 op_sel_hi:[0,1]
	v_pk_mul_lo_u16 v31, v35, v34 op_sel_hi:[0,1]
	v_or_b32_e32 v46, v50, v49
	v_pk_mul_lo_u16 v17, v35, v17 op_sel_hi:[0,1]
	v_or_b32_e32 v20, v21, v20
	v_pk_mul_lo_u16 v29, v36, v29 op_sel_hi:[0,1]
	v_ashrrev_i32_e32 v34, 16, v31
	v_bfe_i32 v31, v31, 0, 16
	v_ashrrev_i32_e32 v35, 16, v17
	v_bfe_i32 v17, v17, 0, 16
	v_dual_ashrrev_i32 v36, 16, v29 :: v_dual_bitop2_b32 v21, v23, v22 bitop3:0x54
	s_delay_alu instid0(VALU_DEP_4)
	v_add3_u32 v16, v16, v26, v31
	v_add3_u32 v25, v39, v25, v34
	;; [unrolled: 1-line block ×3, first 2 shown]
	v_or_b32_e32 v22, v52, v51
	v_add3_u32 v17, v37, v24, v17
	v_dot4_i32_iu8 v16, v1, v42, v16 neg_lo:[1,1,0]
	v_dot4_i32_iu8 v25, v1, v41, v25 neg_lo:[1,1,0]
	;; [unrolled: 1-line block ×3, first 2 shown]
	v_bfe_i32 v24, v29, 0, 16
	v_dot4_i32_iu8 v1, v1, v18, v17 neg_lo:[1,1,0]
	s_wait_loadcnt 0x1
	v_dot4_i32_iu8 v16, v44, v46, v16 neg_lo:[1,1,0]
	v_ashrrev_i32_e32 v17, 16, v30
	v_dot4_i32_iu8 v18, v44, v20, v25 neg_lo:[1,1,0]
	v_dot4_i32_iu8 v20, v44, v40, v26 neg_lo:[1,1,0]
	;; [unrolled: 1-line block ×3, first 2 shown]
	s_wait_loadcnt 0x0
	v_dot4_i32_iu8 v16, v45, v22, v16 neg_lo:[1,1,0]
	v_or_b32_e32 v23, v54, v53
	v_bfe_i32 v19, v30, 0, 16
	v_dot4_i32_iu8 v18, v45, v21, v18 neg_lo:[1,1,0]
	s_delay_alu instid0(VALU_DEP_4) | instskip(NEXT) | instid1(VALU_DEP_4)
	v_dual_add_nc_u32 v16, v16, v24 :: v_dual_bitop2_b32 v47, v57, v58 bitop3:0x54
	v_dot4_i32_iu8 v20, v45, v23, v20 neg_lo:[1,1,0]
	s_delay_alu instid0(VALU_DEP_3) | instskip(NEXT) | instid1(VALU_DEP_3)
	v_add_nc_u32_e32 v18, v18, v36
	v_dot4_i32_iu8 v26, v11, v47, v16 neg_lo:[1,1,0]
	s_delay_alu instid0(VALU_DEP_3) | instskip(SKIP_2) | instid1(VALU_DEP_3)
	v_add_nc_u32_e32 v17, v20, v17
	v_dot4_i32_iu8 v1, v45, v28, v1 neg_lo:[1,1,0]
	v_or_b32_e32 v32, v55, v56
	v_dot4_i32_iu8 v27, v11, v48, v17 neg_lo:[1,1,0]
	s_delay_alu instid0(VALU_DEP_3) | instskip(NEXT) | instid1(VALU_DEP_3)
	v_add_nc_u32_e32 v1, v1, v19
	v_dot4_i32_iu8 v25, v11, v32, v18 neg_lo:[1,1,0]
	s_delay_alu instid0(VALU_DEP_2)
	v_dot4_i32_iu8 v24, v11, v33, v1 neg_lo:[1,1,0]
	s_and_not1_b32 exec_lo, exec_lo, s6
	s_cbranch_execnz .LBB72_35
; %bb.36:
	s_or_b32 exec_lo, exec_lo, s6
.LBB72_37:
	s_delay_alu instid0(SALU_CYCLE_1) | instskip(NEXT) | instid1(VALU_DEP_1)
	s_or_b32 exec_lo, exec_lo, s2
	v_dual_mov_b32 v11, 0 :: v_dual_bitop2_b32 v10, 3, v10 bitop3:0x40
	s_mov_b32 s2, exec_lo
	s_delay_alu instid0(VALU_DEP_1)
	v_cmpx_ne_u64_e32 0, v[10:11]
	s_cbranch_execz .LBB72_41
; %bb.38:
	v_lshl_add_u64 v[8:9], v[8:9], 3, s[8:9]
	v_lshlrev_b32_e32 v10, 1, v10
	s_mov_b32 s6, 0
.LBB72_39:                              ; =>This Inner Loop Header: Depth=1
	global_load_b64 v[12:13], v[8:9], off
	v_add_nc_u64_e32 v[10:11], -2, v[10:11]
	s_wait_xcnt 0x0
	v_add_nc_u64_e32 v[8:9], 0x80, v[8:9]
	s_delay_alu instid0(VALU_DEP_2)
	v_cmp_eq_u64_e32 vcc_lo, 0, v[10:11]
	s_or_b32 s6, vcc_lo, s6
	s_wait_loadcnt 0x0
	v_sub_nc_u64_e32 v[16:17], v[12:13], v[2:3]
	global_load_b128 v[12:15], v[6:7], off
	s_wait_xcnt 0x0
	v_add_nc_u64_e32 v[6:7], 0x100, v[6:7]
	v_lshl_add_u64 v[16:17], v[16:17], 2, s[4:5]
	global_load_b32 v1, v[16:17], off
	s_wait_loadcnt 0x1
	s_wait_xcnt 0x0
	v_perm_b32 v16, v13, v12, 0xc0c0400
	v_perm_b32 v17, v15, v14, 0x4000c0c
	;; [unrolled: 1-line block ×8, first 2 shown]
	v_or_b32_e32 v14, v17, v16
	v_or_b32_e32 v15, v19, v18
	;; [unrolled: 1-line block ×3, first 2 shown]
	s_delay_alu instid0(VALU_DEP_4)
	v_or_b32_e32 v12, v13, v12
	s_wait_loadcnt 0x0
	v_dot4_i32_iu8 v24, v1, v14, v24 neg_lo:[1,1,0]
	v_dot4_i32_iu8 v27, v1, v15, v27 neg_lo:[1,1,0]
	v_dot4_i32_iu8 v26, v1, v16, v26 neg_lo:[1,1,0]
	v_dot4_i32_iu8 v25, v1, v12, v25 neg_lo:[1,1,0]
	s_and_not1_b32 exec_lo, exec_lo, s6
	s_cbranch_execnz .LBB72_39
; %bb.40:
	s_or_b32 exec_lo, exec_lo, s6
.LBB72_41:
	s_delay_alu instid0(SALU_CYCLE_1)
	s_or_b32 exec_lo, exec_lo, s2
.LBB72_42:
	s_delay_alu instid0(SALU_CYCLE_1)
	s_or_b32 exec_lo, exec_lo, s3
.LBB72_43:
	v_mbcnt_lo_u32_b32 v1, -1, 0
	s_mov_b32 s2, -1
	s_delay_alu instid0(VALU_DEP_1) | instskip(SKIP_1) | instid1(VALU_DEP_1)
	v_xor_b32_e32 v8, 4, v1
	v_xor_b32_e32 v2, 8, v1
	v_cmp_gt_i32_e32 vcc_lo, 32, v2
	v_cndmask_b32_e32 v2, v1, v2, vcc_lo
	s_delay_alu instid0(VALU_DEP_4) | instskip(SKIP_1) | instid1(VALU_DEP_1)
	v_cmp_gt_i32_e32 vcc_lo, 32, v8
	v_cndmask_b32_e32 v8, v1, v8, vcc_lo
	v_dual_lshlrev_b32 v8, 2, v8 :: v_dual_lshlrev_b32 v2, 2, v2
	ds_bpermute_b32 v3, v2, v24
	s_wait_dscnt 0x0
	v_add_nc_u32_e32 v3, v3, v24
	ds_bpermute_b32 v6, v2, v27
	ds_bpermute_b32 v7, v2, v26
	;; [unrolled: 1-line block ×4, first 2 shown]
	s_wait_dscnt 0x3
	v_dual_add_nc_u32 v6, v6, v27 :: v_dual_bitop2_b32 v12, 2, v1 bitop3:0x14
	s_wait_dscnt 0x1
	v_dual_add_nc_u32 v7, v7, v26 :: v_dual_add_nc_u32 v2, v2, v25
	s_wait_dscnt 0x0
	v_add_nc_u32_e32 v3, v9, v3
	ds_bpermute_b32 v10, v8, v6
	ds_bpermute_b32 v11, v8, v7
	;; [unrolled: 1-line block ×3, first 2 shown]
	v_cmp_gt_i32_e32 vcc_lo, 32, v12
	s_wait_dscnt 0x2
	v_dual_cndmask_b32 v12, v1, v12 :: v_dual_add_nc_u32 v9, v10, v6
	s_wait_dscnt 0x1
	s_delay_alu instid0(VALU_DEP_1)
	v_dual_lshlrev_b32 v12, 2, v12 :: v_dual_add_nc_u32 v7, v11, v7
	s_wait_dscnt 0x0
	v_dual_add_nc_u32 v8, v8, v2 :: v_dual_bitop2_b32 v6, 1, v1 bitop3:0x14
	ds_bpermute_b32 v2, v12, v3
	ds_bpermute_b32 v10, v12, v9
	;; [unrolled: 1-line block ×4, first 2 shown]
	v_cmp_gt_i32_e32 vcc_lo, 32, v6
	v_cndmask_b32_e32 v1, v1, v6, vcc_lo
	v_cmp_eq_u32_e32 vcc_lo, 15, v0
	s_wait_dscnt 0x3
	s_delay_alu instid0(VALU_DEP_2)
	v_dual_add_nc_u32 v6, v2, v3 :: v_dual_lshlrev_b32 v13, 2, v1
	s_wait_dscnt 0x1
	v_dual_add_nc_u32 v2, v11, v7 :: v_dual_add_nc_u32 v3, v10, v9
	s_wait_dscnt 0x0
	v_add_nc_u32_e32 v1, v12, v8
	ds_bpermute_b32 v7, v13, v6
	ds_bpermute_b32 v9, v13, v2
	;; [unrolled: 1-line block ×4, first 2 shown]
	s_and_b32 exec_lo, exec_lo, vcc_lo
	s_cbranch_execz .LBB72_14
; %bb.44:
	s_load_b64 s[0:1], s[0:1], 0x58
	s_wait_dscnt 0x1
	v_dual_add_nc_u32 v0, v7, v6 :: v_dual_add_nc_u32 v3, v8, v3
	s_wait_dscnt 0x0
	v_dual_add_nc_u32 v2, v9, v2 :: v_dual_add_nc_u32 v6, v10, v1
	s_cmp_eq_u32 s13, 0
	s_delay_alu instid0(VALU_DEP_2) | instskip(SKIP_1) | instid1(VALU_DEP_3)
	v_mul_lo_u32 v0, v0, s12
	v_mul_lo_u32 v1, v3, s12
	;; [unrolled: 1-line block ×4, first 2 shown]
	s_wait_kmcnt 0x0
	v_lshl_add_u64 v[4:5], v[4:5], 4, s[0:1]
	s_cbranch_scc1 .LBB72_46
; %bb.45:
	global_load_b128 v[6:9], v[4:5], off
	s_mov_b32 s2, 0
	s_wait_loadcnt 0x0
	v_mad_u32 v7, v7, s13, v1
	v_mad_u32 v6, v6, s13, v0
	;; [unrolled: 1-line block ×4, first 2 shown]
	global_store_b128 v[4:5], v[6:9], off
.LBB72_46:
	s_and_not1_b32 vcc_lo, exec_lo, s2
	s_cbranch_vccnz .LBB72_14
; %bb.47:
	global_store_b128 v[4:5], v[0:3], off
	s_endpgm
	.section	.rodata,"a",@progbits
	.p2align	6, 0x0
	.amdhsa_kernel _ZN9rocsparseL18bsrxmvn_4x4_kernelILj128ELj16EillaaiEEvT3_20rocsparse_direction_NS_24const_host_device_scalarIT1_EES1_PKS1_PKT2_SA_S7_PKT4_PKT5_S5_PT6_21rocsparse_index_base_b
		.amdhsa_group_segment_fixed_size 0
		.amdhsa_private_segment_fixed_size 0
		.amdhsa_kernarg_size 104
		.amdhsa_user_sgpr_count 2
		.amdhsa_user_sgpr_dispatch_ptr 0
		.amdhsa_user_sgpr_queue_ptr 0
		.amdhsa_user_sgpr_kernarg_segment_ptr 1
		.amdhsa_user_sgpr_dispatch_id 0
		.amdhsa_user_sgpr_kernarg_preload_length 0
		.amdhsa_user_sgpr_kernarg_preload_offset 0
		.amdhsa_user_sgpr_private_segment_size 0
		.amdhsa_wavefront_size32 1
		.amdhsa_uses_dynamic_stack 0
		.amdhsa_enable_private_segment 0
		.amdhsa_system_sgpr_workgroup_id_x 1
		.amdhsa_system_sgpr_workgroup_id_y 0
		.amdhsa_system_sgpr_workgroup_id_z 0
		.amdhsa_system_sgpr_workgroup_info 0
		.amdhsa_system_vgpr_workitem_id 0
		.amdhsa_next_free_vgpr 61
		.amdhsa_next_free_sgpr 14
		.amdhsa_named_barrier_count 0
		.amdhsa_reserve_vcc 1
		.amdhsa_float_round_mode_32 0
		.amdhsa_float_round_mode_16_64 0
		.amdhsa_float_denorm_mode_32 3
		.amdhsa_float_denorm_mode_16_64 3
		.amdhsa_fp16_overflow 0
		.amdhsa_memory_ordered 1
		.amdhsa_forward_progress 1
		.amdhsa_inst_pref_size 31
		.amdhsa_round_robin_scheduling 0
		.amdhsa_exception_fp_ieee_invalid_op 0
		.amdhsa_exception_fp_denorm_src 0
		.amdhsa_exception_fp_ieee_div_zero 0
		.amdhsa_exception_fp_ieee_overflow 0
		.amdhsa_exception_fp_ieee_underflow 0
		.amdhsa_exception_fp_ieee_inexact 0
		.amdhsa_exception_int_div_zero 0
	.end_amdhsa_kernel
	.section	.text._ZN9rocsparseL18bsrxmvn_4x4_kernelILj128ELj16EillaaiEEvT3_20rocsparse_direction_NS_24const_host_device_scalarIT1_EES1_PKS1_PKT2_SA_S7_PKT4_PKT5_S5_PT6_21rocsparse_index_base_b,"axG",@progbits,_ZN9rocsparseL18bsrxmvn_4x4_kernelILj128ELj16EillaaiEEvT3_20rocsparse_direction_NS_24const_host_device_scalarIT1_EES1_PKS1_PKT2_SA_S7_PKT4_PKT5_S5_PT6_21rocsparse_index_base_b,comdat
.Lfunc_end72:
	.size	_ZN9rocsparseL18bsrxmvn_4x4_kernelILj128ELj16EillaaiEEvT3_20rocsparse_direction_NS_24const_host_device_scalarIT1_EES1_PKS1_PKT2_SA_S7_PKT4_PKT5_S5_PT6_21rocsparse_index_base_b, .Lfunc_end72-_ZN9rocsparseL18bsrxmvn_4x4_kernelILj128ELj16EillaaiEEvT3_20rocsparse_direction_NS_24const_host_device_scalarIT1_EES1_PKS1_PKT2_SA_S7_PKT4_PKT5_S5_PT6_21rocsparse_index_base_b
                                        ; -- End function
	.set _ZN9rocsparseL18bsrxmvn_4x4_kernelILj128ELj16EillaaiEEvT3_20rocsparse_direction_NS_24const_host_device_scalarIT1_EES1_PKS1_PKT2_SA_S7_PKT4_PKT5_S5_PT6_21rocsparse_index_base_b.num_vgpr, 61
	.set _ZN9rocsparseL18bsrxmvn_4x4_kernelILj128ELj16EillaaiEEvT3_20rocsparse_direction_NS_24const_host_device_scalarIT1_EES1_PKS1_PKT2_SA_S7_PKT4_PKT5_S5_PT6_21rocsparse_index_base_b.num_agpr, 0
	.set _ZN9rocsparseL18bsrxmvn_4x4_kernelILj128ELj16EillaaiEEvT3_20rocsparse_direction_NS_24const_host_device_scalarIT1_EES1_PKS1_PKT2_SA_S7_PKT4_PKT5_S5_PT6_21rocsparse_index_base_b.numbered_sgpr, 14
	.set _ZN9rocsparseL18bsrxmvn_4x4_kernelILj128ELj16EillaaiEEvT3_20rocsparse_direction_NS_24const_host_device_scalarIT1_EES1_PKS1_PKT2_SA_S7_PKT4_PKT5_S5_PT6_21rocsparse_index_base_b.num_named_barrier, 0
	.set _ZN9rocsparseL18bsrxmvn_4x4_kernelILj128ELj16EillaaiEEvT3_20rocsparse_direction_NS_24const_host_device_scalarIT1_EES1_PKS1_PKT2_SA_S7_PKT4_PKT5_S5_PT6_21rocsparse_index_base_b.private_seg_size, 0
	.set _ZN9rocsparseL18bsrxmvn_4x4_kernelILj128ELj16EillaaiEEvT3_20rocsparse_direction_NS_24const_host_device_scalarIT1_EES1_PKS1_PKT2_SA_S7_PKT4_PKT5_S5_PT6_21rocsparse_index_base_b.uses_vcc, 1
	.set _ZN9rocsparseL18bsrxmvn_4x4_kernelILj128ELj16EillaaiEEvT3_20rocsparse_direction_NS_24const_host_device_scalarIT1_EES1_PKS1_PKT2_SA_S7_PKT4_PKT5_S5_PT6_21rocsparse_index_base_b.uses_flat_scratch, 0
	.set _ZN9rocsparseL18bsrxmvn_4x4_kernelILj128ELj16EillaaiEEvT3_20rocsparse_direction_NS_24const_host_device_scalarIT1_EES1_PKS1_PKT2_SA_S7_PKT4_PKT5_S5_PT6_21rocsparse_index_base_b.has_dyn_sized_stack, 0
	.set _ZN9rocsparseL18bsrxmvn_4x4_kernelILj128ELj16EillaaiEEvT3_20rocsparse_direction_NS_24const_host_device_scalarIT1_EES1_PKS1_PKT2_SA_S7_PKT4_PKT5_S5_PT6_21rocsparse_index_base_b.has_recursion, 0
	.set _ZN9rocsparseL18bsrxmvn_4x4_kernelILj128ELj16EillaaiEEvT3_20rocsparse_direction_NS_24const_host_device_scalarIT1_EES1_PKS1_PKT2_SA_S7_PKT4_PKT5_S5_PT6_21rocsparse_index_base_b.has_indirect_call, 0
	.section	.AMDGPU.csdata,"",@progbits
; Kernel info:
; codeLenInByte = 3956
; TotalNumSgprs: 16
; NumVgprs: 61
; ScratchSize: 0
; MemoryBound: 0
; FloatMode: 240
; IeeeMode: 1
; LDSByteSize: 0 bytes/workgroup (compile time only)
; SGPRBlocks: 0
; VGPRBlocks: 3
; NumSGPRsForWavesPerEU: 16
; NumVGPRsForWavesPerEU: 61
; NamedBarCnt: 0
; Occupancy: 16
; WaveLimiterHint : 1
; COMPUTE_PGM_RSRC2:SCRATCH_EN: 0
; COMPUTE_PGM_RSRC2:USER_SGPR: 2
; COMPUTE_PGM_RSRC2:TRAP_HANDLER: 0
; COMPUTE_PGM_RSRC2:TGID_X_EN: 1
; COMPUTE_PGM_RSRC2:TGID_Y_EN: 0
; COMPUTE_PGM_RSRC2:TGID_Z_EN: 0
; COMPUTE_PGM_RSRC2:TIDIG_COMP_CNT: 0
	.section	.text._ZN9rocsparseL18bsrxmvn_4x4_kernelILj128ELj32EillaaiEEvT3_20rocsparse_direction_NS_24const_host_device_scalarIT1_EES1_PKS1_PKT2_SA_S7_PKT4_PKT5_S5_PT6_21rocsparse_index_base_b,"axG",@progbits,_ZN9rocsparseL18bsrxmvn_4x4_kernelILj128ELj32EillaaiEEvT3_20rocsparse_direction_NS_24const_host_device_scalarIT1_EES1_PKS1_PKT2_SA_S7_PKT4_PKT5_S5_PT6_21rocsparse_index_base_b,comdat
	.globl	_ZN9rocsparseL18bsrxmvn_4x4_kernelILj128ELj32EillaaiEEvT3_20rocsparse_direction_NS_24const_host_device_scalarIT1_EES1_PKS1_PKT2_SA_S7_PKT4_PKT5_S5_PT6_21rocsparse_index_base_b ; -- Begin function _ZN9rocsparseL18bsrxmvn_4x4_kernelILj128ELj32EillaaiEEvT3_20rocsparse_direction_NS_24const_host_device_scalarIT1_EES1_PKS1_PKT2_SA_S7_PKT4_PKT5_S5_PT6_21rocsparse_index_base_b
	.p2align	8
	.type	_ZN9rocsparseL18bsrxmvn_4x4_kernelILj128ELj32EillaaiEEvT3_20rocsparse_direction_NS_24const_host_device_scalarIT1_EES1_PKS1_PKT2_SA_S7_PKT4_PKT5_S5_PT6_21rocsparse_index_base_b,@function
_ZN9rocsparseL18bsrxmvn_4x4_kernelILj128ELj32EillaaiEEvT3_20rocsparse_direction_NS_24const_host_device_scalarIT1_EES1_PKS1_PKT2_SA_S7_PKT4_PKT5_S5_PT6_21rocsparse_index_base_b: ; @_ZN9rocsparseL18bsrxmvn_4x4_kernelILj128ELj32EillaaiEEvT3_20rocsparse_direction_NS_24const_host_device_scalarIT1_EES1_PKS1_PKT2_SA_S7_PKT4_PKT5_S5_PT6_21rocsparse_index_base_b
; %bb.0:
	s_clause 0x1
	s_load_b64 s[2:3], s[0:1], 0x60
	s_load_b128 s[4:7], s[0:1], 0x10
	s_mov_b32 s10, -1
                                        ; implicit-def: $sgpr12
	s_wait_kmcnt 0x0
	s_bitcmp1_b32 s3, 0
	s_cselect_b32 s3, -1, 0
	s_delay_alu instid0(SALU_CYCLE_1) | instskip(NEXT) | instid1(SALU_CYCLE_1)
	s_xor_b32 s3, s3, -1
	s_and_b32 vcc_lo, exec_lo, s3
	s_cbranch_vccnz .LBB73_4
; %bb.1:
	s_load_b64 s[8:9], s[0:1], 0x50
	s_and_not1_b32 vcc_lo, exec_lo, s10
	s_cbranch_vccz .LBB73_5
.LBB73_2:
	s_and_b32 vcc_lo, exec_lo, s3
	s_cbranch_vccz .LBB73_6
.LBB73_3:
	s_wait_kmcnt 0x0
	s_load_b32 s13, s[8:9], 0x0
	s_cbranch_execz .LBB73_7
	s_branch .LBB73_8
.LBB73_4:
	s_load_b32 s12, s[4:5], 0x0
	s_load_b64 s[8:9], s[0:1], 0x50
	s_cbranch_execnz .LBB73_2
.LBB73_5:
	s_wait_kmcnt 0x0
	s_mov_b32 s12, s4
	s_and_b32 vcc_lo, exec_lo, s3
	s_cbranch_vccnz .LBB73_3
.LBB73_6:
                                        ; implicit-def: $sgpr13
.LBB73_7:
	s_wait_kmcnt 0x0
	s_mov_b32 s13, s8
.LBB73_8:
	s_wait_kmcnt 0x0
	s_cmp_lg_u32 s12, 0
	s_mov_b32 s8, 0
	s_cselect_b32 s3, -1, 0
	s_cmp_lg_u32 s13, 1
	s_cselect_b32 s4, -1, 0
	s_delay_alu instid0(SALU_CYCLE_1) | instskip(NEXT) | instid1(SALU_CYCLE_1)
	s_or_b32 s3, s3, s4
	s_and_not1_b32 vcc_lo, exec_lo, s3
	s_cbranch_vccnz .LBB73_14
; %bb.9:
	s_load_b64 s[4:5], s[0:1], 0x20
	s_bfe_u32 s3, ttmp6, 0x4000c
	s_and_b32 s9, ttmp6, 15
	s_add_co_i32 s3, s3, 1
	s_getreg_b32 s10, hwreg(HW_REG_IB_STS2, 6, 4)
	s_mul_i32 s3, ttmp9, s3
	v_dual_lshrrev_b32 v1, 5, v0 :: v_dual_mov_b32 v7, 0
	s_add_co_i32 s9, s9, s3
	s_cmp_eq_u32 s10, 0
	s_cselect_b32 s3, ttmp9, s9
	s_delay_alu instid0(VALU_DEP_1) | instid1(SALU_CYCLE_1)
	v_lshl_or_b32 v6, s3, 2, v1
	s_wait_kmcnt 0x0
	s_cmp_lg_u64 s[4:5], 0
	s_cbranch_scc0 .LBB73_15
; %bb.10:
	s_delay_alu instid0(VALU_DEP_1) | instskip(SKIP_2) | instid1(SALU_CYCLE_1)
	v_cmp_gt_i64_e32 vcc_lo, s[6:7], v[6:7]
	s_mov_b32 s6, 0
                                        ; implicit-def: $vgpr4_vgpr5
                                        ; implicit-def: $vgpr2_vgpr3
	s_and_saveexec_b32 s3, vcc_lo
	s_xor_b32 s7, exec_lo, s3
	s_cbranch_execz .LBB73_12
; %bb.11:
	v_lshl_add_u64 v[2:3], v[6:7], 3, s[4:5]
	s_mov_b32 s3, 0
	s_mov_b32 s8, exec_lo
	global_load_b64 v[2:3], v[2:3], off
	s_wait_loadcnt 0x0
	v_sub_nc_u64_e64 v[4:5], v[2:3], s[2:3]
	v_mov_b64_e32 v[2:3], s[2:3]
.LBB73_12:
	s_or_b32 exec_lo, exec_lo, s7
	s_delay_alu instid0(SALU_CYCLE_1)
	s_and_b32 vcc_lo, exec_lo, s6
	s_cbranch_vccnz .LBB73_16
.LBB73_13:
	s_and_saveexec_b32 s2, s8
	s_cbranch_execnz .LBB73_19
.LBB73_14:
	s_sendmsg sendmsg(MSG_DEALLOC_VGPRS)
	s_endpgm
.LBB73_15:
                                        ; implicit-def: $vgpr4_vgpr5
                                        ; implicit-def: $vgpr2_vgpr3
	s_cbranch_execz .LBB73_13
.LBB73_16:
	s_load_b64 s[4:5], s[0:1], 0x0
	s_wait_kmcnt 0x0
	v_cmp_gt_i64_e32 vcc_lo, s[4:5], v[6:7]
	s_and_saveexec_b32 s4, vcc_lo
; %bb.17:
	s_mov_b32 s3, 0
	s_or_b32 s8, s8, exec_lo
; %bb.18:
	s_or_b32 exec_lo, exec_lo, s4
	v_mov_b64_e32 v[2:3], s[2:3]
	v_mov_b64_e32 v[4:5], v[6:7]
	s_and_saveexec_b32 s2, s8
	s_cbranch_execz .LBB73_14
.LBB73_19:
	s_load_b256 s[4:11], s[0:1], 0x28
	s_delay_alu instid0(VALU_DEP_1) | instskip(SKIP_2) | instid1(VALU_DEP_2)
	v_lshlrev_b64_e32 v[6:7], 3, v[4:5]
	v_dual_mov_b32 v1, 0 :: v_dual_bitop2_b32 v0, 31, v0 bitop3:0x40
	s_wait_kmcnt 0x0
	v_add_nc_u64_e32 v[8:9], s[4:5], v[6:7]
	v_add_nc_u64_e32 v[6:7], s[6:7], v[6:7]
	s_cmp_eq_u64 s[6:7], 0
	s_cselect_b32 vcc_lo, -1, 0
	s_delay_alu instid0(VALU_DEP_2)
	v_add_nc_u64_e32 v[12:13], 8, v[8:9]
	global_load_b64 v[10:11], v[8:9], off
	v_dual_cndmask_b32 v7, v7, v13 :: v_dual_cndmask_b32 v6, v6, v12
	global_load_b64 v[6:7], v[6:7], off
	s_clause 0x1
	s_load_b32 s3, s[0:1], 0x8
	s_load_b64 s[4:5], s[0:1], 0x48
	s_wait_kmcnt 0x0
	s_cmp_eq_u32 s3, 1
	s_wait_loadcnt 0x1
	v_sub_nc_u64_e32 v[8:9], v[10:11], v[2:3]
	s_delay_alu instid0(VALU_DEP_1) | instskip(SKIP_2) | instid1(VALU_DEP_2)
	v_add_nc_u64_e32 v[8:9], v[8:9], v[0:1]
	s_wait_loadcnt 0x0
	v_sub_nc_u64_e32 v[12:13], v[6:7], v[2:3]
	v_lshl_add_u64 v[6:7], v[8:9], 4, s[10:11]
	s_delay_alu instid0(VALU_DEP_2)
	v_cmp_lt_i64_e64 s2, v[8:9], v[12:13]
	s_cbranch_scc1 .LBB73_31
; %bb.20:
	v_dual_mov_b32 v24, v1 :: v_dual_mov_b32 v25, v1
	v_dual_mov_b32 v26, v1 :: v_dual_mov_b32 v27, v1
	s_and_saveexec_b32 s3, s2
	s_cbranch_execz .LBB73_30
; %bb.21:
	v_dual_mov_b32 v15, v1 :: v_dual_bitop2_b32 v14, 32, v0 bitop3:0x54
	v_sub_nc_u64_e32 v[16:17], v[2:3], v[0:1]
	v_not_b32_e32 v19, v11
	v_not_b32_e32 v18, v10
	v_dual_mov_b32 v27, 0 :: v_dual_mov_b32 v26, 0
	v_sub_nc_u64_e32 v[14:15], v[14:15], v[2:3]
	v_dual_mov_b32 v25, 0 :: v_dual_mov_b32 v24, 0
	s_delay_alu instid0(VALU_DEP_4) | instskip(SKIP_1) | instid1(VALU_DEP_4)
	v_add_nc_u64_e32 v[16:17], v[16:17], v[18:19]
	v_mov_b64_e32 v[18:19], v[8:9]
	v_add_nc_u64_e32 v[14:15], v[14:15], v[10:11]
	s_delay_alu instid0(VALU_DEP_1) | instskip(NEXT) | instid1(VALU_DEP_1)
	v_max_i64 v[14:15], v[14:15], v[12:13]
	v_add_nc_u64_e32 v[14:15], v[16:17], v[14:15]
	s_delay_alu instid0(VALU_DEP_1) | instskip(SKIP_2) | instid1(VALU_DEP_3)
	v_lshrrev_b64 v[16:17], 5, v[14:15]
	v_cmp_lt_u64_e32 vcc_lo, 0x5f, v[14:15]
	v_mov_b64_e32 v[14:15], v[6:7]
	v_add_nc_u64_e32 v[16:17], 1, v[16:17]
	s_and_saveexec_b32 s6, vcc_lo
	s_cbranch_execz .LBB73_25
; %bb.22:
	v_lshl_add_u64 v[14:15], v[8:9], 3, s[8:9]
	v_mov_b64_e32 v[18:19], v[8:9]
	s_delay_alu instid0(VALU_DEP_3) | instskip(SKIP_1) | instid1(VALU_DEP_4)
	v_dual_mov_b32 v21, v17 :: v_dual_bitop2_b32 v20, -4, v16 bitop3:0x40
	v_dual_mov_b32 v24, 0 :: v_dual_mov_b32 v25, 0
	v_add_nc_u64_e32 v[22:23], 0x200, v[14:15]
	v_mov_b64_e32 v[14:15], v[6:7]
	v_dual_mov_b32 v26, 0 :: v_dual_mov_b32 v27, 0
	s_mov_b32 s7, 0
.LBB73_23:                              ; =>This Inner Loop Header: Depth=1
	s_clause 0x3
	global_load_b64 v[44:45], v[22:23], off offset:-512
	global_load_b64 v[46:47], v[22:23], off offset:-256
	global_load_b64 v[48:49], v[22:23], off
	global_load_b64 v[50:51], v[22:23], off offset:256
	s_clause 0x3
	global_load_b128 v[28:31], v[14:15], off
	global_load_b128 v[32:35], v[14:15], off offset:512
	global_load_b128 v[36:39], v[14:15], off offset:1024
	;; [unrolled: 1-line block ×3, first 2 shown]
	v_add_nc_u64_e32 v[20:21], -4, v[20:21]
	s_wait_xcnt 0x0
	v_add_nc_u64_e32 v[14:15], 0x800, v[14:15]
	v_add_nc_u64_e32 v[18:19], 0x80, v[18:19]
	;; [unrolled: 1-line block ×3, first 2 shown]
	s_delay_alu instid0(VALU_DEP_4)
	v_cmp_eq_u64_e32 vcc_lo, 0, v[20:21]
	s_or_b32 s7, vcc_lo, s7
	s_wait_loadcnt 0x7
	v_sub_nc_u64_e32 v[44:45], v[44:45], v[2:3]
	s_wait_loadcnt 0x6
	v_sub_nc_u64_e32 v[46:47], v[46:47], v[2:3]
	;; [unrolled: 2-line block ×4, first 2 shown]
	s_wait_loadcnt 0x3
	v_perm_b32 v28, v28, v28, 0x7060100
	s_wait_loadcnt 0x1
	v_perm_b32 v56, v39, v31, 0xc0c0703
	v_lshl_add_u64 v[44:45], v[44:45], 2, s[4:5]
	v_lshl_add_u64 v[46:47], v[46:47], 2, s[4:5]
	;; [unrolled: 1-line block ×4, first 2 shown]
	v_perm_b32 v57, v39, v31, 0xc0c0501
	s_clause 0x3
	global_load_b32 v17, v[44:45], off
	global_load_b32 v52, v[46:47], off
	;; [unrolled: 1-line block ×4, first 2 shown]
	s_wait_xcnt 0x3
	v_perm_b32 v44, v29, v29, 0xc0c0100
	s_wait_xcnt 0x2
	v_lshrrev_b16 v46, 8, v35
	v_perm_b32 v45, v30, v30, 0xc0c0100
	v_bfe_i32 v47, v32, 0, 8
	s_wait_xcnt 0x1
	v_ashrrev_i32_e32 v48, 24, v35
	v_bfe_i32 v49, v35, 16, 8
	v_bfe_i32 v35, v35, 0, 8
	;; [unrolled: 1-line block ×3, first 2 shown]
	v_perm_b32 v32, v32, v32, 0xc030201
	v_perm_b32 v58, v39, v31, 0xc0c0602
	;; [unrolled: 1-line block ×5, first 2 shown]
	s_wait_xcnt 0x0
	v_bfe_i32 v50, v36, 8, 8
	v_bfe_i32 v51, v36, 0, 8
	s_wait_loadcnt 0x4
	v_bfe_i32 v55, v43, 0, 8
	v_perm_b32 v33, v37, v33, 0x5040302
	v_perm_b32 v34, v38, v34, 0x5040302
	v_bfe_i32 v39, v43, 8, 8
	v_perm_b32 v36, v40, v36, 0x5040302
	v_perm_b32 v59, v41, v41, 0xc0c0302
	;; [unrolled: 1-line block ×5, first 2 shown]
	s_wait_loadcnt 0x3
	v_dot4_i32_iu8 v27, v17, v28, v27 neg_lo:[1,1,0]
	v_perm_b32 v28, v17, v17, 0xc0c0100
	s_wait_loadcnt 0x2
	v_lshrrev_b16 v61, 8, v52
	v_ashrrev_i32_e32 v62, 24, v52
	v_bfe_i32 v63, v52, 16, 8
	v_bfe_i32 v64, v52, 0, 8
	v_dot4_i32_iu8 v26, v28, v44, v26 neg_lo:[1,1,0]
	v_bfe_i32 v44, v61, 0, 8
	v_perm_b32 v65, v52, v52, 0xc030201
	v_perm_b32 v66, v52, v17, 0x5040302
	s_wait_loadcnt 0x1
	v_lshrrev_b16 v67, 8, v53
	v_perm_b32 v71, v53, v17, 0xc0c0703
	v_perm_b32 v72, v53, v17, 0xc0c0501
	;; [unrolled: 1-line block ×4, first 2 shown]
	v_dot4_i32_iu8 v25, v28, v45, v25 neg_lo:[1,1,0]
	v_mad_i32_i24 v27, v64, v47, v27
	v_mul_i32_i24_e32 v28, v35, v64
	v_mul_i32_i24_e32 v35, v49, v63
	;; [unrolled: 1-line block ×4, first 2 shown]
	v_bfe_i32 v68, v53, 0, 8
	s_wait_loadcnt 0x0
	v_bfe_i32 v69, v54, 0, 8
	v_bfe_i32 v48, v67, 0, 8
	v_dot4_i32_iu8 v27, v65, v32, v27 neg_lo:[1,1,0]
	v_dot4_i32_iu8 v32, v56, v71, v45 neg_lo:[1,1,0]
	;; [unrolled: 1-line block ×5, first 2 shown]
	v_perm_b32 v52, v53, v52, 0x5040302
	v_bfe_i32 v70, v54, 8, 8
	v_mul_i32_i24_e32 v47, v68, v51
	v_mul_i32_i24_e32 v49, v55, v69
	v_dot4_i32_iu8 v26, v66, v29, v26 neg_lo:[1,1,0]
	v_mul_i32_i24_e32 v29, v48, v50
	v_dot4_i32_iu8 v25, v66, v30, v25 neg_lo:[1,1,0]
	v_dual_add_nc_u32 v17, v17, v35 :: v_dual_add_nc_u32 v28, v28, v32
	v_perm_b32 v38, v54, v38, 0x5040302
	v_perm_b32 v37, v54, v37, 0x5040302
	;; [unrolled: 1-line block ×5, first 2 shown]
	v_mul_i32_i24_e32 v30, v39, v70
	v_add3_u32 v27, v27, v47, v29
	v_dot4_i32_iu8 v26, v52, v33, v26 neg_lo:[1,1,0]
	v_dot4_i32_iu8 v25, v52, v34, v25 neg_lo:[1,1,0]
	v_add3_u32 v17, v17, v28, v49
	v_perm_b32 v28, v54, v54, 0xc0c0302
	v_dot4_i32_iu8 v27, v53, v36, v27 neg_lo:[1,1,0]
	v_dot4_i32_iu8 v26, v41, v37, v26 neg_lo:[1,1,0]
	;; [unrolled: 1-line block ×3, first 2 shown]
	v_add3_u32 v17, v17, v24, v30
	s_delay_alu instid0(VALU_DEP_4) | instskip(NEXT) | instid1(VALU_DEP_4)
	v_dot4_i32_iu8 v27, v28, v40, v27 neg_lo:[1,1,0]
	v_dot4_i32_iu8 v26, v28, v59, v26 neg_lo:[1,1,0]
	s_delay_alu instid0(VALU_DEP_4) | instskip(NEXT) | instid1(VALU_DEP_4)
	v_dot4_i32_iu8 v25, v28, v60, v25 neg_lo:[1,1,0]
	v_dot4_i32_iu8 v24, v28, v43, v17 neg_lo:[1,1,0]
	s_and_not1_b32 exec_lo, exec_lo, s7
	s_cbranch_execnz .LBB73_23
; %bb.24:
	s_or_b32 exec_lo, exec_lo, s7
.LBB73_25:
	s_delay_alu instid0(SALU_CYCLE_1) | instskip(NEXT) | instid1(VALU_DEP_1)
	s_or_b32 exec_lo, exec_lo, s6
	v_dual_mov_b32 v17, 0 :: v_dual_bitop2_b32 v16, 3, v16 bitop3:0x40
	s_mov_b32 s6, exec_lo
	s_delay_alu instid0(VALU_DEP_1)
	v_cmpx_ne_u64_e32 0, v[16:17]
	s_cbranch_execz .LBB73_29
; %bb.26:
	v_lshl_add_u64 v[18:19], v[18:19], 3, s[8:9]
	v_lshlrev_b32_e32 v16, 1, v16
	s_mov_b32 s7, 0
.LBB73_27:                              ; =>This Inner Loop Header: Depth=1
	global_load_b64 v[20:21], v[18:19], off
	v_add_nc_u64_e32 v[16:17], -2, v[16:17]
	s_wait_xcnt 0x0
	v_add_nc_u64_e32 v[18:19], 0x100, v[18:19]
	s_delay_alu instid0(VALU_DEP_2) | instskip(SKIP_3) | instid1(VALU_DEP_1)
	v_cmp_eq_u64_e32 vcc_lo, 0, v[16:17]
	s_or_b32 s7, vcc_lo, s7
	s_wait_loadcnt 0x0
	v_sub_nc_u64_e32 v[20:21], v[20:21], v[2:3]
	v_lshl_add_u64 v[28:29], v[20:21], 2, s[4:5]
	global_load_b128 v[20:23], v[14:15], off
	global_load_b32 v30, v[28:29], off
	s_wait_xcnt 0x1
	v_add_nc_u64_e32 v[14:15], 0x200, v[14:15]
	s_wait_loadcnt 0x1
	s_wait_xcnt 0x0
	v_bfe_i32 v28, v20, 0, 8
	v_bfe_i32 v29, v21, 0, 8
	;; [unrolled: 1-line block ×4, first 2 shown]
	s_wait_loadcnt 0x0
	v_bfe_i32 v33, v30, 0, 8
	v_perm_b32 v20, v20, v20, 0xc030201
	v_perm_b32 v21, v21, v21, 0xc030201
	;; [unrolled: 1-line block ×5, first 2 shown]
	v_mad_i32_i24 v27, v33, v28, v27
	v_mad_i32_i24 v26, v29, v33, v26
	;; [unrolled: 1-line block ×4, first 2 shown]
	s_delay_alu instid0(VALU_DEP_4) | instskip(NEXT) | instid1(VALU_DEP_4)
	v_dot4_i32_iu8 v27, v30, v20, v27 neg_lo:[1,1,0]
	v_dot4_i32_iu8 v26, v30, v21, v26 neg_lo:[1,1,0]
	s_delay_alu instid0(VALU_DEP_4) | instskip(NEXT) | instid1(VALU_DEP_4)
	v_dot4_i32_iu8 v25, v30, v22, v25 neg_lo:[1,1,0]
	v_dot4_i32_iu8 v24, v30, v23, v24 neg_lo:[1,1,0]
	s_and_not1_b32 exec_lo, exec_lo, s7
	s_cbranch_execnz .LBB73_27
; %bb.28:
	s_or_b32 exec_lo, exec_lo, s7
.LBB73_29:
	s_delay_alu instid0(SALU_CYCLE_1)
	s_or_b32 exec_lo, exec_lo, s6
.LBB73_30:
	s_delay_alu instid0(SALU_CYCLE_1)
	s_or_b32 exec_lo, exec_lo, s3
	s_cbranch_execz .LBB73_32
	s_branch .LBB73_43
.LBB73_31:
                                        ; implicit-def: $vgpr24
                                        ; implicit-def: $vgpr25
                                        ; implicit-def: $vgpr26
                                        ; implicit-def: $vgpr27
.LBB73_32:
	v_dual_mov_b32 v24, 0 :: v_dual_mov_b32 v25, 0
	v_dual_mov_b32 v26, 0 :: v_dual_mov_b32 v27, 0
	s_and_saveexec_b32 s3, s2
	s_cbranch_execz .LBB73_42
; %bb.33:
	v_dual_mov_b32 v15, v1 :: v_dual_bitop2_b32 v14, 32, v0 bitop3:0x54
	v_dual_mov_b32 v27, 0 :: v_dual_mov_b32 v26, 0
	v_dual_mov_b32 v25, 0 :: v_dual_mov_b32 v24, 0
	s_delay_alu instid0(VALU_DEP_3) | instskip(NEXT) | instid1(VALU_DEP_1)
	v_sub_nc_u64_e32 v[14:15], v[14:15], v[2:3]
	v_add_nc_u64_e32 v[14:15], v[14:15], v[10:11]
	v_not_b32_e32 v11, v11
	v_not_b32_e32 v10, v10
	s_delay_alu instid0(VALU_DEP_3) | instskip(SKIP_1) | instid1(VALU_DEP_1)
	v_max_i64 v[12:13], v[14:15], v[12:13]
	v_sub_nc_u64_e32 v[14:15], v[2:3], v[0:1]
	v_add_nc_u64_e32 v[10:11], v[14:15], v[10:11]
	s_delay_alu instid0(VALU_DEP_1) | instskip(NEXT) | instid1(VALU_DEP_1)
	v_add_nc_u64_e32 v[10:11], v[10:11], v[12:13]
	v_lshrrev_b64 v[12:13], 5, v[10:11]
	v_cmp_lt_u64_e32 vcc_lo, 0x5f, v[10:11]
	s_delay_alu instid0(VALU_DEP_2)
	v_add_nc_u64_e32 v[10:11], 1, v[12:13]
	s_and_saveexec_b32 s2, vcc_lo
	s_cbranch_execz .LBB73_37
; %bb.34:
	v_lshl_add_u64 v[14:15], v[8:9], 3, s[8:9]
	s_delay_alu instid0(VALU_DEP_2) | instskip(SKIP_1) | instid1(VALU_DEP_3)
	v_dual_mov_b32 v13, v11 :: v_dual_bitop2_b32 v12, -4, v10 bitop3:0x40
	v_dual_mov_b32 v27, 0 :: v_dual_mov_b32 v26, 0
	v_add_nc_u64_e32 v[14:15], 0x200, v[14:15]
	v_dual_mov_b32 v25, 0 :: v_dual_mov_b32 v24, 0
	s_mov_b32 s6, 0
.LBB73_35:                              ; =>This Inner Loop Header: Depth=1
	s_clause 0x3
	global_load_b64 v[36:37], v[14:15], off offset:-512
	global_load_b64 v[38:39], v[14:15], off offset:256
	global_load_b64 v[40:41], v[14:15], off offset:-256
	global_load_b64 v[42:43], v[14:15], off
	s_clause 0x3
	global_load_b128 v[16:19], v[6:7], off
	global_load_b128 v[20:23], v[6:7], off offset:512
	global_load_b128 v[28:31], v[6:7], off offset:1024
	;; [unrolled: 1-line block ×3, first 2 shown]
	v_add_nc_u64_e32 v[12:13], -4, v[12:13]
	s_wait_xcnt 0x0
	v_add_nc_u64_e32 v[6:7], 0x800, v[6:7]
	v_add_nc_u64_e32 v[8:9], 0x80, v[8:9]
	;; [unrolled: 1-line block ×3, first 2 shown]
	s_delay_alu instid0(VALU_DEP_4)
	v_cmp_eq_u64_e32 vcc_lo, 0, v[12:13]
	s_or_b32 s6, vcc_lo, s6
	s_wait_loadcnt 0x7
	v_sub_nc_u64_e32 v[36:37], v[36:37], v[2:3]
	s_wait_loadcnt 0x6
	v_sub_nc_u64_e32 v[38:39], v[38:39], v[2:3]
	;; [unrolled: 2-line block ×4, first 2 shown]
	s_wait_loadcnt 0x2
	v_perm_b32 v46, v22, v21, 0xc0c0501
	s_wait_loadcnt 0x1
	v_perm_b32 v47, v28, v23, 0x5010c0c
	v_lshl_add_u64 v[36:37], v[36:37], 2, s[4:5]
	v_lshl_add_u64 v[38:39], v[38:39], 2, s[4:5]
	v_lshl_add_u64 v[40:41], v[40:41], 2, s[4:5]
	v_lshl_add_u64 v[42:43], v[42:43], 2, s[4:5]
	v_perm_b32 v48, v22, v21, 0xc0c0602
	s_clause 0x3
	global_load_b32 v1, v[36:37], off
	global_load_b32 v11, v[38:39], off
	;; [unrolled: 1-line block ×4, first 2 shown]
	s_wait_xcnt 0x3
	v_lshrrev_b32_e32 v36, 16, v18
	v_perm_b32 v37, v17, v16, 0xc0c0501
	s_wait_xcnt 0x2
	v_perm_b32 v38, v17, v16, 0xc0c0400
	v_perm_b32 v39, v17, v16, 0xc0c0703
	;; [unrolled: 1-line block ×3, first 2 shown]
	v_ashrrev_i16 v17, 8, v18
	v_bfe_i32 v18, v18, 0, 8
	s_wait_xcnt 0x1
	v_perm_b32 v40, v20, v19, 0xc0c0703
	v_perm_b32 v41, v20, v19, 0xc0c0602
	s_wait_xcnt 0x0
	v_perm_b32 v42, v20, v19, 0xc0c0501
	v_perm_b32 v19, v20, v19, 0xc0c0400
	;; [unrolled: 1-line block ×8, first 2 shown]
	s_wait_loadcnt 0x4
	v_perm_b32 v50, v32, v31, 0x7030c0c
	v_perm_b32 v51, v30, v29, 0xc0c0602
	v_perm_b32 v52, v32, v31, 0x6020c0c
	v_perm_b32 v53, v30, v29, 0xc0c0501
	v_perm_b32 v54, v32, v31, 0x5010c0c
	v_perm_b32 v29, v30, v29, 0xc0c0400
	v_perm_b32 v30, v32, v31, 0x4000c0c
	v_ashrrev_i16 v31, 8, v33
	v_bfe_i32 v32, v33, 0, 8
	v_lshrrev_b32_e32 v23, 16, v33
	v_perm_b32 v33, v35, v34, 0xc0c0703
	v_perm_b32 v55, v35, v34, 0xc0c0602
	;; [unrolled: 1-line block ×4, first 2 shown]
	v_ashrrev_i16 v35, 8, v36
	v_bfe_i32 v36, v36, 0, 8
	v_perm_b32 v17, v17, v18, 0x5040100
	v_or_b32_e32 v18, v43, v20
	v_or_b32_e32 v29, v30, v29
	v_perm_b32 v30, v31, v32, 0x5040100
	v_or_b32_e32 v20, v47, v46
	v_ashrrev_i16 v46, 8, v23
	v_bfe_i32 v23, v23, 0, 8
	v_perm_b32 v31, v35, v36, 0x5040100
	s_delay_alu instid0(VALU_DEP_2)
	v_perm_b32 v23, v46, v23, 0x5040100
	s_wait_loadcnt 0x3
	v_lshrrev_b32_e32 v32, 16, v1
	v_perm_b32 v35, v1, v1, 0xc0c0100
	s_wait_loadcnt 0x2
	v_lshrrev_b32_e32 v36, 8, v11
	s_wait_loadcnt 0x1
	v_perm_b32 v1, v44, v1, 0xc0c0403
	s_wait_loadcnt 0x0
	v_perm_b32 v44, v45, v44, 0x4030201
	v_bfe_i32 v32, v32, 0, 8
	v_dot4_i32_iu8 v16, v35, v16, v25 neg_lo:[1,1,0]
	v_bfe_i32 v36, v36, 0, 8
	v_dot4_i32_iu8 v26, v35, v37, v26 neg_lo:[1,1,0]
	v_dot4_i32_iu8 v27, v35, v38, v27 neg_lo:[1,1,0]
	v_pk_mul_lo_u16 v25, v32, v31 op_sel_hi:[0,1]
	v_or_b32_e32 v43, v49, v48
	v_pk_mul_lo_u16 v23, v36, v23 op_sel_hi:[0,1]
	v_or_b32_e32 v21, v22, v21
	v_dot4_i32_iu8 v24, v35, v39, v24 neg_lo:[1,1,0]
	v_ashrrev_i32_e32 v31, 16, v25
	v_bfe_i32 v25, v25, 0, 16
	v_ashrrev_i32_e32 v35, 16, v23
	v_pk_mul_lo_u16 v17, v32, v17 op_sel_hi:[0,1]
	v_or_b32_e32 v22, v50, v28
	v_perm_b32 v45, v11, v45, 0x4030201
	v_add_nc_u32_e32 v16, v16, v25
	v_dual_add_nc_u32 v24, v24, v31 :: v_dual_bitop2_b32 v47, v54, v53 bitop3:0x54
	v_dual_ashrrev_i32 v32, 16, v17 :: v_dual_bitop2_b32 v28, v52, v51 bitop3:0x54
	s_delay_alu instid0(VALU_DEP_3) | instskip(SKIP_2) | instid1(VALU_DEP_4)
	v_dot4_i32_iu8 v16, v1, v41, v16 neg_lo:[1,1,0]
	v_bfe_i32 v17, v17, 0, 16
	v_bfe_i32 v23, v23, 0, 16
	v_add_nc_u32_e32 v25, v26, v32
	v_dot4_i32_iu8 v24, v1, v40, v24 neg_lo:[1,1,0]
	v_dot4_i32_iu8 v16, v44, v43, v16 neg_lo:[1,1,0]
	v_pk_mul_lo_u16 v30, v36, v30 op_sel_hi:[0,1]
	v_perm_b32 v11, v11, v11, 0xc0c0302
	v_dot4_i32_iu8 v25, v1, v42, v25 neg_lo:[1,1,0]
	s_delay_alu instid0(VALU_DEP_4) | instskip(SKIP_1) | instid1(VALU_DEP_3)
	v_dot4_i32_iu8 v16, v45, v28, v16 neg_lo:[1,1,0]
	v_add_nc_u32_e32 v17, v27, v17
	v_dot4_i32_iu8 v20, v44, v20, v25 neg_lo:[1,1,0]
	s_delay_alu instid0(VALU_DEP_3) | instskip(NEXT) | instid1(VALU_DEP_3)
	v_add_nc_u32_e32 v16, v16, v23
	v_dot4_i32_iu8 v1, v1, v19, v17 neg_lo:[1,1,0]
	v_dot4_i32_iu8 v19, v44, v21, v24 neg_lo:[1,1,0]
	v_ashrrev_i32_e32 v17, 16, v30
	v_dot4_i32_iu8 v20, v45, v47, v20 neg_lo:[1,1,0]
	v_dot4_i32_iu8 v25, v11, v55, v16 neg_lo:[1,1,0]
	v_dot4_i32_iu8 v1, v44, v18, v1 neg_lo:[1,1,0]
	v_bfe_i32 v18, v30, 0, 16
	v_dot4_i32_iu8 v19, v45, v22, v19 neg_lo:[1,1,0]
	s_delay_alu instid0(VALU_DEP_3) | instskip(NEXT) | instid1(VALU_DEP_2)
	v_dot4_i32_iu8 v1, v45, v29, v1 neg_lo:[1,1,0]
	v_dual_add_nc_u32 v17, v20, v17 :: v_dual_add_nc_u32 v19, v19, v35
	s_delay_alu instid0(VALU_DEP_2) | instskip(NEXT) | instid1(VALU_DEP_2)
	v_add_nc_u32_e32 v1, v1, v18
	v_dot4_i32_iu8 v26, v11, v56, v17 neg_lo:[1,1,0]
	s_delay_alu instid0(VALU_DEP_3) | instskip(NEXT) | instid1(VALU_DEP_3)
	v_dot4_i32_iu8 v24, v11, v33, v19 neg_lo:[1,1,0]
	v_dot4_i32_iu8 v27, v11, v34, v1 neg_lo:[1,1,0]
	s_and_not1_b32 exec_lo, exec_lo, s6
	s_cbranch_execnz .LBB73_35
; %bb.36:
	s_or_b32 exec_lo, exec_lo, s6
.LBB73_37:
	s_delay_alu instid0(SALU_CYCLE_1) | instskip(NEXT) | instid1(VALU_DEP_1)
	s_or_b32 exec_lo, exec_lo, s2
	v_dual_mov_b32 v11, 0 :: v_dual_bitop2_b32 v10, 3, v10 bitop3:0x40
	s_mov_b32 s2, exec_lo
	s_delay_alu instid0(VALU_DEP_1)
	v_cmpx_ne_u64_e32 0, v[10:11]
	s_cbranch_execz .LBB73_41
; %bb.38:
	v_lshl_add_u64 v[8:9], v[8:9], 3, s[8:9]
	v_lshlrev_b32_e32 v10, 1, v10
	s_mov_b32 s6, 0
.LBB73_39:                              ; =>This Inner Loop Header: Depth=1
	global_load_b64 v[12:13], v[8:9], off
	v_add_nc_u64_e32 v[10:11], -2, v[10:11]
	s_wait_xcnt 0x0
	v_add_nc_u64_e32 v[8:9], 0x100, v[8:9]
	s_delay_alu instid0(VALU_DEP_2)
	v_cmp_eq_u64_e32 vcc_lo, 0, v[10:11]
	s_or_b32 s6, vcc_lo, s6
	s_wait_loadcnt 0x0
	v_sub_nc_u64_e32 v[16:17], v[12:13], v[2:3]
	global_load_b128 v[12:15], v[6:7], off
	s_wait_xcnt 0x0
	v_add_nc_u64_e32 v[6:7], 0x200, v[6:7]
	v_lshl_add_u64 v[16:17], v[16:17], 2, s[4:5]
	global_load_b32 v1, v[16:17], off
	s_wait_loadcnt 0x1
	s_wait_xcnt 0x0
	v_dual_lshrrev_b32 v16, 16, v12 :: v_dual_ashrrev_i32 v18, 24, v12
	v_ashrrev_i16 v17, 8, v12
	v_bfe_i32 v12, v12, 0, 8
	v_perm_b32 v19, v15, v14, 0xc04000c
	v_perm_b32 v21, v15, v14, 0xc05010c
	;; [unrolled: 1-line block ×4, first 2 shown]
	v_bfe_i32 v15, v16, 0, 8
	v_perm_b32 v12, v17, v12, 0x5040100
	v_perm_b32 v20, v13, v13, 0xc0c0c00
	;; [unrolled: 1-line block ×5, first 2 shown]
	s_wait_loadcnt 0x0
	v_bfe_i32 v18, v1, 0, 8
	v_perm_b32 v13, v13, v13, 0xc0c0c03
	v_perm_b32 v1, v1, v1, 0xc030201
	s_delay_alu instid0(VALU_DEP_3)
	v_pk_mul_lo_u16 v12, v18, v12 op_sel_hi:[0,1]
	v_pk_mul_lo_u16 v15, v18, v15 op_sel_hi:[0,1]
	v_or_b32_e32 v16, v19, v20
	v_or_b32_e32 v17, v21, v22
	;; [unrolled: 1-line block ×3, first 2 shown]
	v_bfe_i32 v14, v12, 0, 16
	v_ashrrev_i32_e32 v12, 16, v12
	v_bfe_i32 v18, v15, 0, 16
	v_dual_ashrrev_i32 v15, 16, v15 :: v_dual_bitop2_b32 v19, v23, v28 bitop3:0x54
	s_delay_alu instid0(VALU_DEP_3) | instskip(NEXT) | instid1(VALU_DEP_2)
	v_dual_add_nc_u32 v14, v27, v14 :: v_dual_add_nc_u32 v12, v26, v12
	v_dual_add_nc_u32 v18, v25, v18 :: v_dual_add_nc_u32 v15, v24, v15
	s_delay_alu instid0(VALU_DEP_2) | instskip(NEXT) | instid1(VALU_DEP_3)
	v_dot4_i32_iu8 v27, v1, v16, v14 neg_lo:[1,1,0]
	v_dot4_i32_iu8 v26, v1, v17, v12 neg_lo:[1,1,0]
	s_delay_alu instid0(VALU_DEP_3) | instskip(NEXT) | instid1(VALU_DEP_4)
	v_dot4_i32_iu8 v25, v1, v19, v18 neg_lo:[1,1,0]
	v_dot4_i32_iu8 v24, v1, v13, v15 neg_lo:[1,1,0]
	s_and_not1_b32 exec_lo, exec_lo, s6
	s_cbranch_execnz .LBB73_39
; %bb.40:
	s_or_b32 exec_lo, exec_lo, s6
.LBB73_41:
	s_delay_alu instid0(SALU_CYCLE_1)
	s_or_b32 exec_lo, exec_lo, s2
.LBB73_42:
	s_delay_alu instid0(SALU_CYCLE_1)
	s_or_b32 exec_lo, exec_lo, s3
.LBB73_43:
	v_mbcnt_lo_u32_b32 v1, -1, 0
	s_mov_b32 s2, -1
	s_delay_alu instid0(VALU_DEP_1) | instskip(SKIP_1) | instid1(VALU_DEP_1)
	v_xor_b32_e32 v8, 8, v1
	v_xor_b32_e32 v2, 16, v1
	v_cmp_gt_i32_e32 vcc_lo, 32, v2
	v_cndmask_b32_e32 v2, v1, v2, vcc_lo
	s_delay_alu instid0(VALU_DEP_4) | instskip(SKIP_1) | instid1(VALU_DEP_1)
	v_cmp_gt_i32_e32 vcc_lo, 32, v8
	v_cndmask_b32_e32 v8, v1, v8, vcc_lo
	v_dual_lshlrev_b32 v8, 2, v8 :: v_dual_lshlrev_b32 v2, 2, v2
	ds_bpermute_b32 v3, v2, v27
	s_wait_dscnt 0x0
	v_add_nc_u32_e32 v3, v3, v27
	ds_bpermute_b32 v6, v2, v26
	ds_bpermute_b32 v7, v2, v25
	;; [unrolled: 1-line block ×4, first 2 shown]
	s_wait_dscnt 0x3
	v_dual_add_nc_u32 v6, v6, v26 :: v_dual_bitop2_b32 v12, 4, v1 bitop3:0x14
	s_wait_dscnt 0x1
	v_dual_add_nc_u32 v7, v7, v25 :: v_dual_add_nc_u32 v2, v2, v24
	s_wait_dscnt 0x0
	v_add_nc_u32_e32 v3, v9, v3
	ds_bpermute_b32 v10, v8, v6
	ds_bpermute_b32 v11, v8, v7
	ds_bpermute_b32 v8, v8, v2
	v_cmp_gt_i32_e32 vcc_lo, 32, v12
	s_wait_dscnt 0x2
	v_dual_cndmask_b32 v12, v1, v12, vcc_lo :: v_dual_add_nc_u32 v6, v10, v6
	s_wait_dscnt 0x1
	s_delay_alu instid0(VALU_DEP_1)
	v_dual_lshlrev_b32 v12, 2, v12 :: v_dual_add_nc_u32 v7, v11, v7
	s_wait_dscnt 0x0
	v_add_nc_u32_e32 v2, v8, v2
	ds_bpermute_b32 v8, v12, v3
	ds_bpermute_b32 v9, v12, v6
	;; [unrolled: 1-line block ×4, first 2 shown]
	v_xor_b32_e32 v12, 2, v1
	s_delay_alu instid0(VALU_DEP_1) | instskip(SKIP_3) | instid1(VALU_DEP_1)
	v_cmp_gt_i32_e32 vcc_lo, 32, v12
	s_wait_dscnt 0x3
	v_dual_cndmask_b32 v12, v1, v12 :: v_dual_add_nc_u32 v3, v8, v3
	s_wait_dscnt 0x2
	v_dual_lshlrev_b32 v12, 2, v12 :: v_dual_add_nc_u32 v8, v9, v6
	s_wait_dscnt 0x0
	v_dual_add_nc_u32 v7, v10, v7 :: v_dual_add_nc_u32 v9, v11, v2
	v_xor_b32_e32 v6, 1, v1
	ds_bpermute_b32 v2, v12, v3
	ds_bpermute_b32 v10, v12, v8
	;; [unrolled: 1-line block ×4, first 2 shown]
	v_cmp_gt_i32_e32 vcc_lo, 32, v6
	v_cndmask_b32_e32 v1, v1, v6, vcc_lo
	v_cmp_eq_u32_e32 vcc_lo, 31, v0
	s_wait_dscnt 0x3
	s_delay_alu instid0(VALU_DEP_2)
	v_dual_add_nc_u32 v6, v2, v3 :: v_dual_lshlrev_b32 v13, 2, v1
	s_wait_dscnt 0x1
	v_dual_add_nc_u32 v3, v10, v8 :: v_dual_add_nc_u32 v2, v11, v7
	s_wait_dscnt 0x0
	v_add_nc_u32_e32 v1, v12, v9
	ds_bpermute_b32 v7, v13, v6
	ds_bpermute_b32 v8, v13, v3
	;; [unrolled: 1-line block ×4, first 2 shown]
	s_and_b32 exec_lo, exec_lo, vcc_lo
	s_cbranch_execz .LBB73_14
; %bb.44:
	s_load_b64 s[0:1], s[0:1], 0x58
	s_wait_dscnt 0x2
	v_dual_add_nc_u32 v0, v7, v6 :: v_dual_add_nc_u32 v3, v8, v3
	s_wait_dscnt 0x0
	v_dual_add_nc_u32 v2, v9, v2 :: v_dual_add_nc_u32 v6, v10, v1
	s_cmp_eq_u32 s13, 0
	s_delay_alu instid0(VALU_DEP_2) | instskip(SKIP_1) | instid1(VALU_DEP_3)
	v_mul_lo_u32 v0, v0, s12
	v_mul_lo_u32 v1, v3, s12
	;; [unrolled: 1-line block ×4, first 2 shown]
	s_wait_kmcnt 0x0
	v_lshl_add_u64 v[4:5], v[4:5], 4, s[0:1]
	s_cbranch_scc1 .LBB73_46
; %bb.45:
	global_load_b128 v[6:9], v[4:5], off
	s_mov_b32 s2, 0
	s_wait_loadcnt 0x0
	v_mad_u32 v7, v7, s13, v1
	v_mad_u32 v6, v6, s13, v0
	;; [unrolled: 1-line block ×4, first 2 shown]
	global_store_b128 v[4:5], v[6:9], off
.LBB73_46:
	s_and_not1_b32 vcc_lo, exec_lo, s2
	s_cbranch_vccnz .LBB73_14
; %bb.47:
	global_store_b128 v[4:5], v[0:3], off
	s_sendmsg sendmsg(MSG_DEALLOC_VGPRS)
	s_endpgm
	.section	.rodata,"a",@progbits
	.p2align	6, 0x0
	.amdhsa_kernel _ZN9rocsparseL18bsrxmvn_4x4_kernelILj128ELj32EillaaiEEvT3_20rocsparse_direction_NS_24const_host_device_scalarIT1_EES1_PKS1_PKT2_SA_S7_PKT4_PKT5_S5_PT6_21rocsparse_index_base_b
		.amdhsa_group_segment_fixed_size 0
		.amdhsa_private_segment_fixed_size 0
		.amdhsa_kernarg_size 104
		.amdhsa_user_sgpr_count 2
		.amdhsa_user_sgpr_dispatch_ptr 0
		.amdhsa_user_sgpr_queue_ptr 0
		.amdhsa_user_sgpr_kernarg_segment_ptr 1
		.amdhsa_user_sgpr_dispatch_id 0
		.amdhsa_user_sgpr_kernarg_preload_length 0
		.amdhsa_user_sgpr_kernarg_preload_offset 0
		.amdhsa_user_sgpr_private_segment_size 0
		.amdhsa_wavefront_size32 1
		.amdhsa_uses_dynamic_stack 0
		.amdhsa_enable_private_segment 0
		.amdhsa_system_sgpr_workgroup_id_x 1
		.amdhsa_system_sgpr_workgroup_id_y 0
		.amdhsa_system_sgpr_workgroup_id_z 0
		.amdhsa_system_sgpr_workgroup_info 0
		.amdhsa_system_vgpr_workitem_id 0
		.amdhsa_next_free_vgpr 74
		.amdhsa_next_free_sgpr 14
		.amdhsa_named_barrier_count 0
		.amdhsa_reserve_vcc 1
		.amdhsa_float_round_mode_32 0
		.amdhsa_float_round_mode_16_64 0
		.amdhsa_float_denorm_mode_32 3
		.amdhsa_float_denorm_mode_16_64 3
		.amdhsa_fp16_overflow 0
		.amdhsa_memory_ordered 1
		.amdhsa_forward_progress 1
		.amdhsa_inst_pref_size 37
		.amdhsa_round_robin_scheduling 0
		.amdhsa_exception_fp_ieee_invalid_op 0
		.amdhsa_exception_fp_denorm_src 0
		.amdhsa_exception_fp_ieee_div_zero 0
		.amdhsa_exception_fp_ieee_overflow 0
		.amdhsa_exception_fp_ieee_underflow 0
		.amdhsa_exception_fp_ieee_inexact 0
		.amdhsa_exception_int_div_zero 0
	.end_amdhsa_kernel
	.section	.text._ZN9rocsparseL18bsrxmvn_4x4_kernelILj128ELj32EillaaiEEvT3_20rocsparse_direction_NS_24const_host_device_scalarIT1_EES1_PKS1_PKT2_SA_S7_PKT4_PKT5_S5_PT6_21rocsparse_index_base_b,"axG",@progbits,_ZN9rocsparseL18bsrxmvn_4x4_kernelILj128ELj32EillaaiEEvT3_20rocsparse_direction_NS_24const_host_device_scalarIT1_EES1_PKS1_PKT2_SA_S7_PKT4_PKT5_S5_PT6_21rocsparse_index_base_b,comdat
.Lfunc_end73:
	.size	_ZN9rocsparseL18bsrxmvn_4x4_kernelILj128ELj32EillaaiEEvT3_20rocsparse_direction_NS_24const_host_device_scalarIT1_EES1_PKS1_PKT2_SA_S7_PKT4_PKT5_S5_PT6_21rocsparse_index_base_b, .Lfunc_end73-_ZN9rocsparseL18bsrxmvn_4x4_kernelILj128ELj32EillaaiEEvT3_20rocsparse_direction_NS_24const_host_device_scalarIT1_EES1_PKS1_PKT2_SA_S7_PKT4_PKT5_S5_PT6_21rocsparse_index_base_b
                                        ; -- End function
	.set _ZN9rocsparseL18bsrxmvn_4x4_kernelILj128ELj32EillaaiEEvT3_20rocsparse_direction_NS_24const_host_device_scalarIT1_EES1_PKS1_PKT2_SA_S7_PKT4_PKT5_S5_PT6_21rocsparse_index_base_b.num_vgpr, 74
	.set _ZN9rocsparseL18bsrxmvn_4x4_kernelILj128ELj32EillaaiEEvT3_20rocsparse_direction_NS_24const_host_device_scalarIT1_EES1_PKS1_PKT2_SA_S7_PKT4_PKT5_S5_PT6_21rocsparse_index_base_b.num_agpr, 0
	.set _ZN9rocsparseL18bsrxmvn_4x4_kernelILj128ELj32EillaaiEEvT3_20rocsparse_direction_NS_24const_host_device_scalarIT1_EES1_PKS1_PKT2_SA_S7_PKT4_PKT5_S5_PT6_21rocsparse_index_base_b.numbered_sgpr, 14
	.set _ZN9rocsparseL18bsrxmvn_4x4_kernelILj128ELj32EillaaiEEvT3_20rocsparse_direction_NS_24const_host_device_scalarIT1_EES1_PKS1_PKT2_SA_S7_PKT4_PKT5_S5_PT6_21rocsparse_index_base_b.num_named_barrier, 0
	.set _ZN9rocsparseL18bsrxmvn_4x4_kernelILj128ELj32EillaaiEEvT3_20rocsparse_direction_NS_24const_host_device_scalarIT1_EES1_PKS1_PKT2_SA_S7_PKT4_PKT5_S5_PT6_21rocsparse_index_base_b.private_seg_size, 0
	.set _ZN9rocsparseL18bsrxmvn_4x4_kernelILj128ELj32EillaaiEEvT3_20rocsparse_direction_NS_24const_host_device_scalarIT1_EES1_PKS1_PKT2_SA_S7_PKT4_PKT5_S5_PT6_21rocsparse_index_base_b.uses_vcc, 1
	.set _ZN9rocsparseL18bsrxmvn_4x4_kernelILj128ELj32EillaaiEEvT3_20rocsparse_direction_NS_24const_host_device_scalarIT1_EES1_PKS1_PKT2_SA_S7_PKT4_PKT5_S5_PT6_21rocsparse_index_base_b.uses_flat_scratch, 0
	.set _ZN9rocsparseL18bsrxmvn_4x4_kernelILj128ELj32EillaaiEEvT3_20rocsparse_direction_NS_24const_host_device_scalarIT1_EES1_PKS1_PKT2_SA_S7_PKT4_PKT5_S5_PT6_21rocsparse_index_base_b.has_dyn_sized_stack, 0
	.set _ZN9rocsparseL18bsrxmvn_4x4_kernelILj128ELj32EillaaiEEvT3_20rocsparse_direction_NS_24const_host_device_scalarIT1_EES1_PKS1_PKT2_SA_S7_PKT4_PKT5_S5_PT6_21rocsparse_index_base_b.has_recursion, 0
	.set _ZN9rocsparseL18bsrxmvn_4x4_kernelILj128ELj32EillaaiEEvT3_20rocsparse_direction_NS_24const_host_device_scalarIT1_EES1_PKS1_PKT2_SA_S7_PKT4_PKT5_S5_PT6_21rocsparse_index_base_b.has_indirect_call, 0
	.section	.AMDGPU.csdata,"",@progbits
; Kernel info:
; codeLenInByte = 4720
; TotalNumSgprs: 16
; NumVgprs: 74
; ScratchSize: 0
; MemoryBound: 0
; FloatMode: 240
; IeeeMode: 1
; LDSByteSize: 0 bytes/workgroup (compile time only)
; SGPRBlocks: 0
; VGPRBlocks: 4
; NumSGPRsForWavesPerEU: 16
; NumVGPRsForWavesPerEU: 74
; NamedBarCnt: 0
; Occupancy: 12
; WaveLimiterHint : 1
; COMPUTE_PGM_RSRC2:SCRATCH_EN: 0
; COMPUTE_PGM_RSRC2:USER_SGPR: 2
; COMPUTE_PGM_RSRC2:TRAP_HANDLER: 0
; COMPUTE_PGM_RSRC2:TGID_X_EN: 1
; COMPUTE_PGM_RSRC2:TGID_Y_EN: 0
; COMPUTE_PGM_RSRC2:TGID_Z_EN: 0
; COMPUTE_PGM_RSRC2:TIDIG_COMP_CNT: 0
	.section	.text._ZN9rocsparseL18bsrxmvn_4x4_kernelILj128ELj64EillaaiEEvT3_20rocsparse_direction_NS_24const_host_device_scalarIT1_EES1_PKS1_PKT2_SA_S7_PKT4_PKT5_S5_PT6_21rocsparse_index_base_b,"axG",@progbits,_ZN9rocsparseL18bsrxmvn_4x4_kernelILj128ELj64EillaaiEEvT3_20rocsparse_direction_NS_24const_host_device_scalarIT1_EES1_PKS1_PKT2_SA_S7_PKT4_PKT5_S5_PT6_21rocsparse_index_base_b,comdat
	.globl	_ZN9rocsparseL18bsrxmvn_4x4_kernelILj128ELj64EillaaiEEvT3_20rocsparse_direction_NS_24const_host_device_scalarIT1_EES1_PKS1_PKT2_SA_S7_PKT4_PKT5_S5_PT6_21rocsparse_index_base_b ; -- Begin function _ZN9rocsparseL18bsrxmvn_4x4_kernelILj128ELj64EillaaiEEvT3_20rocsparse_direction_NS_24const_host_device_scalarIT1_EES1_PKS1_PKT2_SA_S7_PKT4_PKT5_S5_PT6_21rocsparse_index_base_b
	.p2align	8
	.type	_ZN9rocsparseL18bsrxmvn_4x4_kernelILj128ELj64EillaaiEEvT3_20rocsparse_direction_NS_24const_host_device_scalarIT1_EES1_PKS1_PKT2_SA_S7_PKT4_PKT5_S5_PT6_21rocsparse_index_base_b,@function
_ZN9rocsparseL18bsrxmvn_4x4_kernelILj128ELj64EillaaiEEvT3_20rocsparse_direction_NS_24const_host_device_scalarIT1_EES1_PKS1_PKT2_SA_S7_PKT4_PKT5_S5_PT6_21rocsparse_index_base_b: ; @_ZN9rocsparseL18bsrxmvn_4x4_kernelILj128ELj64EillaaiEEvT3_20rocsparse_direction_NS_24const_host_device_scalarIT1_EES1_PKS1_PKT2_SA_S7_PKT4_PKT5_S5_PT6_21rocsparse_index_base_b
; %bb.0:
	s_clause 0x1
	s_load_b64 s[2:3], s[0:1], 0x60
	s_load_b128 s[4:7], s[0:1], 0x10
	s_mov_b32 s10, -1
                                        ; implicit-def: $sgpr12
	s_wait_kmcnt 0x0
	s_bitcmp1_b32 s3, 0
	s_cselect_b32 s3, -1, 0
	s_delay_alu instid0(SALU_CYCLE_1) | instskip(NEXT) | instid1(SALU_CYCLE_1)
	s_xor_b32 s3, s3, -1
	s_and_b32 vcc_lo, exec_lo, s3
	s_cbranch_vccnz .LBB74_4
; %bb.1:
	s_load_b64 s[8:9], s[0:1], 0x50
	s_and_not1_b32 vcc_lo, exec_lo, s10
	s_cbranch_vccz .LBB74_5
.LBB74_2:
	s_and_b32 vcc_lo, exec_lo, s3
	s_cbranch_vccz .LBB74_6
.LBB74_3:
	s_wait_kmcnt 0x0
	s_load_b32 s13, s[8:9], 0x0
	s_cbranch_execz .LBB74_7
	s_branch .LBB74_8
.LBB74_4:
	s_load_b32 s12, s[4:5], 0x0
	s_load_b64 s[8:9], s[0:1], 0x50
	s_cbranch_execnz .LBB74_2
.LBB74_5:
	s_wait_kmcnt 0x0
	s_mov_b32 s12, s4
	s_and_b32 vcc_lo, exec_lo, s3
	s_cbranch_vccnz .LBB74_3
.LBB74_6:
                                        ; implicit-def: $sgpr13
.LBB74_7:
	s_wait_kmcnt 0x0
	s_mov_b32 s13, s8
.LBB74_8:
	s_wait_kmcnt 0x0
	s_cmp_lg_u32 s12, 0
	s_mov_b32 s8, 0
	s_cselect_b32 s3, -1, 0
	s_cmp_lg_u32 s13, 1
	s_cselect_b32 s4, -1, 0
	s_delay_alu instid0(SALU_CYCLE_1) | instskip(NEXT) | instid1(SALU_CYCLE_1)
	s_or_b32 s3, s3, s4
	s_and_not1_b32 vcc_lo, exec_lo, s3
	s_cbranch_vccnz .LBB74_14
; %bb.9:
	s_load_b64 s[4:5], s[0:1], 0x20
	s_bfe_u32 s3, ttmp6, 0x4000c
	s_and_b32 s9, ttmp6, 15
	s_add_co_i32 s3, s3, 1
	s_getreg_b32 s10, hwreg(HW_REG_IB_STS2, 6, 4)
	s_mul_i32 s3, ttmp9, s3
	v_dual_lshrrev_b32 v1, 6, v0 :: v_dual_mov_b32 v7, 0
	s_add_co_i32 s9, s9, s3
	s_cmp_eq_u32 s10, 0
	s_cselect_b32 s3, ttmp9, s9
	s_delay_alu instid0(VALU_DEP_1) | instid1(SALU_CYCLE_1)
	v_lshl_or_b32 v6, s3, 1, v1
	s_wait_kmcnt 0x0
	s_cmp_lg_u64 s[4:5], 0
	s_cbranch_scc0 .LBB74_15
; %bb.10:
	s_delay_alu instid0(VALU_DEP_1) | instskip(SKIP_2) | instid1(SALU_CYCLE_1)
	v_cmp_gt_i64_e32 vcc_lo, s[6:7], v[6:7]
	s_mov_b32 s6, 0
                                        ; implicit-def: $vgpr4_vgpr5
                                        ; implicit-def: $vgpr2_vgpr3
	s_and_saveexec_b32 s3, vcc_lo
	s_xor_b32 s7, exec_lo, s3
	s_cbranch_execz .LBB74_12
; %bb.11:
	v_lshl_add_u64 v[2:3], v[6:7], 3, s[4:5]
	s_mov_b32 s3, 0
	s_mov_b32 s8, exec_lo
	global_load_b64 v[2:3], v[2:3], off
	s_wait_loadcnt 0x0
	v_sub_nc_u64_e64 v[4:5], v[2:3], s[2:3]
	v_mov_b64_e32 v[2:3], s[2:3]
.LBB74_12:
	s_or_b32 exec_lo, exec_lo, s7
	s_delay_alu instid0(SALU_CYCLE_1)
	s_and_b32 vcc_lo, exec_lo, s6
	s_cbranch_vccnz .LBB74_16
.LBB74_13:
	s_and_saveexec_b32 s2, s8
	s_cbranch_execnz .LBB74_19
.LBB74_14:
	s_sendmsg sendmsg(MSG_DEALLOC_VGPRS)
	s_endpgm
.LBB74_15:
                                        ; implicit-def: $vgpr4_vgpr5
                                        ; implicit-def: $vgpr2_vgpr3
	s_cbranch_execz .LBB74_13
.LBB74_16:
	s_load_b64 s[4:5], s[0:1], 0x0
	s_wait_kmcnt 0x0
	v_cmp_gt_i64_e32 vcc_lo, s[4:5], v[6:7]
	s_and_saveexec_b32 s4, vcc_lo
; %bb.17:
	s_mov_b32 s3, 0
	s_or_b32 s8, s8, exec_lo
; %bb.18:
	s_or_b32 exec_lo, exec_lo, s4
	v_mov_b64_e32 v[2:3], s[2:3]
	v_mov_b64_e32 v[4:5], v[6:7]
	s_and_saveexec_b32 s2, s8
	s_cbranch_execz .LBB74_14
.LBB74_19:
	s_load_b256 s[4:11], s[0:1], 0x28
	s_delay_alu instid0(VALU_DEP_1) | instskip(SKIP_2) | instid1(VALU_DEP_2)
	v_lshlrev_b64_e32 v[6:7], 3, v[4:5]
	v_dual_mov_b32 v1, 0 :: v_dual_bitop2_b32 v0, 63, v0 bitop3:0x40
	s_wait_kmcnt 0x0
	v_add_nc_u64_e32 v[8:9], s[4:5], v[6:7]
	v_add_nc_u64_e32 v[6:7], s[6:7], v[6:7]
	s_cmp_eq_u64 s[6:7], 0
	s_cselect_b32 vcc_lo, -1, 0
	s_delay_alu instid0(VALU_DEP_2)
	v_add_nc_u64_e32 v[10:11], 8, v[8:9]
	global_load_b64 v[14:15], v[8:9], off
	v_dual_cndmask_b32 v7, v7, v11 :: v_dual_cndmask_b32 v6, v6, v10
	global_load_b64 v[6:7], v[6:7], off
	s_clause 0x1
	s_load_b32 s3, s[0:1], 0x8
	s_load_b64 s[4:5], s[0:1], 0x48
	s_wait_kmcnt 0x0
	s_cmp_eq_u32 s3, 1
	s_wait_loadcnt 0x1
	v_sub_nc_u64_e32 v[8:9], v[14:15], v[2:3]
	s_delay_alu instid0(VALU_DEP_1) | instskip(SKIP_2) | instid1(VALU_DEP_2)
	v_add_nc_u64_e32 v[12:13], v[8:9], v[0:1]
	s_wait_loadcnt 0x0
	v_sub_nc_u64_e32 v[16:17], v[6:7], v[2:3]
	v_lshl_add_u64 v[6:7], v[12:13], 4, s[10:11]
	s_delay_alu instid0(VALU_DEP_2)
	v_cmp_lt_i64_e64 s2, v[12:13], v[16:17]
	s_cbranch_scc1 .LBB74_31
; %bb.20:
	v_dual_mov_b32 v9, v1 :: v_dual_mov_b32 v8, v1
	v_dual_mov_b32 v11, v1 :: v_dual_mov_b32 v10, v1
	s_and_saveexec_b32 s3, s2
	s_cbranch_execz .LBB74_30
; %bb.21:
	v_dual_mov_b32 v9, v1 :: v_dual_bitop2_b32 v8, 64, v0 bitop3:0x54
	v_sub_nc_u64_e32 v[10:11], v[2:3], v[0:1]
	v_not_b32_e32 v19, v15
	v_not_b32_e32 v18, v14
	v_mov_b64_e32 v[22:23], v[12:13]
	v_sub_nc_u64_e32 v[8:9], v[8:9], v[2:3]
	s_delay_alu instid0(VALU_DEP_3) | instskip(NEXT) | instid1(VALU_DEP_2)
	v_add_nc_u64_e32 v[10:11], v[10:11], v[18:19]
	v_add_nc_u64_e32 v[8:9], v[8:9], v[14:15]
	s_delay_alu instid0(VALU_DEP_1) | instskip(NEXT) | instid1(VALU_DEP_1)
	v_max_i64 v[8:9], v[8:9], v[16:17]
	v_add_nc_u64_e32 v[18:19], v[10:11], v[8:9]
	v_dual_mov_b32 v10, 0 :: v_dual_mov_b32 v11, 0
	v_dual_mov_b32 v8, 0 :: v_dual_mov_b32 v9, 0
	s_delay_alu instid0(VALU_DEP_3) | instskip(SKIP_2) | instid1(VALU_DEP_3)
	v_lshrrev_b64 v[20:21], 6, v[18:19]
	v_cmp_lt_u64_e32 vcc_lo, 0xbf, v[18:19]
	v_mov_b64_e32 v[18:19], v[6:7]
	v_add_nc_u64_e32 v[20:21], 1, v[20:21]
	s_and_saveexec_b32 s6, vcc_lo
	s_cbranch_execz .LBB74_25
; %bb.22:
	v_lshl_add_u64 v[10:11], v[12:13], 3, s[8:9]
	v_mov_b64_e32 v[18:19], v[6:7]
	v_mov_b64_e32 v[22:23], v[12:13]
	s_delay_alu instid0(VALU_DEP_4) | instskip(NEXT) | instid1(VALU_DEP_4)
	v_dual_mov_b32 v25, v21 :: v_dual_bitop2_b32 v24, -4, v20 bitop3:0x40
	v_add_nc_u64_e32 v[26:27], 0x400, v[10:11]
	v_dual_mov_b32 v9, 0 :: v_dual_mov_b32 v8, 0
	v_dual_mov_b32 v11, 0 :: v_dual_mov_b32 v10, 0
	s_mov_b32 s7, 0
.LBB74_23:                              ; =>This Inner Loop Header: Depth=1
	s_clause 0x3
	global_load_b64 v[44:45], v[26:27], off offset:-1024
	global_load_b64 v[46:47], v[26:27], off offset:-512
	global_load_b64 v[48:49], v[26:27], off
	global_load_b64 v[50:51], v[26:27], off offset:512
	s_clause 0x3
	global_load_b128 v[28:31], v[18:19], off offset:1024
	global_load_b128 v[32:35], v[18:19], off
	global_load_b128 v[36:39], v[18:19], off offset:2048
	global_load_b128 v[40:43], v[18:19], off offset:3072
	v_add_nc_u64_e32 v[24:25], -4, v[24:25]
	s_wait_xcnt 0x0
	v_add_nc_u64_e32 v[18:19], 0x1000, v[18:19]
	v_add_nc_u64_e32 v[22:23], 0x100, v[22:23]
	;; [unrolled: 1-line block ×3, first 2 shown]
	s_delay_alu instid0(VALU_DEP_4)
	v_cmp_eq_u64_e32 vcc_lo, 0, v[24:25]
	s_or_b32 s7, vcc_lo, s7
	s_wait_loadcnt 0x7
	v_sub_nc_u64_e32 v[44:45], v[44:45], v[2:3]
	s_wait_loadcnt 0x6
	v_sub_nc_u64_e32 v[46:47], v[46:47], v[2:3]
	;; [unrolled: 2-line block ×4, first 2 shown]
	s_wait_loadcnt 0x1
	v_perm_b32 v56, v39, v35, 0xc0c0703
	v_lshl_add_u64 v[44:45], v[44:45], 2, s[4:5]
	v_lshl_add_u64 v[46:47], v[46:47], 2, s[4:5]
	;; [unrolled: 1-line block ×4, first 2 shown]
	s_wait_loadcnt 0x0
	v_bfe_i32 v55, v43, 16, 8
	s_clause 0x3
	global_load_b32 v21, v[44:45], off
	global_load_b32 v52, v[46:47], off
	global_load_b32 v53, v[48:49], off
	global_load_b32 v54, v[50:51], off
	s_wait_xcnt 0x3
	v_lshrrev_b16 v44, 8, v31
	s_wait_xcnt 0x0
	v_bfe_i32 v50, v43, 0, 8
	v_bfe_i32 v51, v43, 8, 8
	v_perm_b32 v57, v39, v35, 0xc0c0501
	v_perm_b32 v58, v39, v35, 0xc0c0602
	;; [unrolled: 1-line block ×3, first 2 shown]
	v_ashrrev_i32_e32 v39, 24, v43
	v_bfe_i32 v43, v44, 0, 8
	v_bfe_i32 v45, v28, 0, 8
	v_dual_ashrrev_i32 v46, 24, v31 :: v_dual_ashrrev_i32 v49, 24, v40
	v_perm_b32 v28, v28, v28, 0xc030201
	v_bfe_i32 v47, v31, 16, 8
	v_bfe_i32 v31, v31, 0, 8
	;; [unrolled: 1-line block ×3, first 2 shown]
	v_perm_b32 v36, v40, v36, 0x4030201
	v_perm_b32 v40, v40, v40, 0xc0c0201
	;; [unrolled: 1-line block ×3, first 2 shown]
	s_wait_loadcnt 0x3
	v_dot4_i32_iu8 v10, v21, v32, v10 neg_lo:[1,1,0]
	s_wait_loadcnt 0x2
	v_lshrrev_b16 v44, 8, v52
	v_dot4_i32_iu8 v11, v21, v33, v11 neg_lo:[1,1,0]
	v_bfe_i32 v32, v52, 0, 8
	v_ashrrev_i32_e32 v33, 24, v52
	v_dot4_i32_iu8 v8, v21, v34, v8 neg_lo:[1,1,0]
	v_bfe_i32 v44, v44, 0, 8
	v_perm_b32 v34, v52, v52, 0xc030201
	v_bfe_i32 v59, v52, 16, 8
	s_wait_loadcnt 0x1
	v_perm_b32 v60, v53, v21, 0xc0c0703
	v_perm_b32 v63, v53, v21, 0xc0c0501
	v_mad_i32_i24 v10, v32, v45, v10
	v_mul_i32_i24_e32 v33, v46, v33
	v_mul_i32_i24_e32 v43, v43, v44
	v_bfe_i32 v61, v53, 0, 8
	s_wait_loadcnt 0x0
	v_bfe_i32 v62, v54, 16, 8
	v_mul_i32_i24_e32 v31, v31, v32
	v_mul_i32_i24_e32 v47, v47, v59
	v_perm_b32 v59, v53, v21, 0xc0c0602
	v_perm_b32 v21, v53, v21, 0xc0c0400
	v_dot4_i32_iu8 v10, v34, v28, v10 neg_lo:[1,1,0]
	v_dot4_i32_iu8 v28, v56, v60, v33 neg_lo:[1,1,0]
	;; [unrolled: 1-line block ×3, first 2 shown]
	v_ashrrev_i32_e32 v64, 24, v54
	v_bfe_i32 v45, v54, 8, 8
	v_bfe_i32 v46, v54, 0, 8
	v_perm_b32 v32, v54, v53, 0x4030201
	v_mul_i32_i24_e32 v55, v55, v62
	v_dot4_i32_iu8 v11, v52, v29, v11 neg_lo:[1,1,0]
	v_dot4_i32_iu8 v29, v58, v59, v47 neg_lo:[1,1,0]
	;; [unrolled: 1-line block ×3, first 2 shown]
	v_mad_i32_i24 v10, v61, v48, v10
	v_add_nc_u32_e32 v28, v33, v28
	v_perm_b32 v44, v54, v54, 0xc0c0201
	v_dot4_i32_iu8 v8, v52, v30, v8 neg_lo:[1,1,0]
	v_mul_i32_i24_e32 v30, v46, v50
	v_mad_i32_i24 v31, v45, v51, v55
	v_dot4_i32_iu8 v10, v32, v36, v10 neg_lo:[1,1,0]
	v_add3_u32 v21, v21, v29, v28
	v_mul_i32_i24_e32 v28, v39, v64
	v_dot4_i32_iu8 v11, v53, v37, v11 neg_lo:[1,1,0]
	v_dot4_i32_iu8 v8, v53, v38, v8 neg_lo:[1,1,0]
	;; [unrolled: 1-line block ×3, first 2 shown]
	v_add3_u32 v21, v21, v30, v31
	s_delay_alu instid0(VALU_DEP_4) | instskip(NEXT) | instid1(VALU_DEP_4)
	v_dot4_i32_iu8 v11, v41, v54, v11 neg_lo:[1,1,0]
	v_dot4_i32_iu8 v8, v42, v54, v8 neg_lo:[1,1,0]
	s_delay_alu instid0(VALU_DEP_4) | instskip(NEXT) | instid1(VALU_DEP_4)
	v_mad_i32_i24 v10, v64, v49, v10
	v_add3_u32 v9, v21, v9, v28
	s_and_not1_b32 exec_lo, exec_lo, s7
	s_cbranch_execnz .LBB74_23
; %bb.24:
	s_or_b32 exec_lo, exec_lo, s7
.LBB74_25:
	s_delay_alu instid0(SALU_CYCLE_1) | instskip(NEXT) | instid1(VALU_DEP_1)
	s_or_b32 exec_lo, exec_lo, s6
	v_dual_mov_b32 v21, 0 :: v_dual_bitop2_b32 v20, 3, v20 bitop3:0x40
	s_mov_b32 s6, exec_lo
	s_delay_alu instid0(VALU_DEP_1)
	v_cmpx_ne_u64_e32 0, v[20:21]
	s_cbranch_execz .LBB74_29
; %bb.26:
	v_lshl_add_u64 v[22:23], v[22:23], 3, s[8:9]
	v_lshlrev_b32_e32 v20, 1, v20
	s_mov_b32 s7, 0
.LBB74_27:                              ; =>This Inner Loop Header: Depth=1
	global_load_b64 v[24:25], v[22:23], off
	v_add_nc_u64_e32 v[20:21], -2, v[20:21]
	s_wait_xcnt 0x0
	v_add_nc_u64_e32 v[22:23], 0x200, v[22:23]
	s_delay_alu instid0(VALU_DEP_2) | instskip(SKIP_3) | instid1(VALU_DEP_1)
	v_cmp_eq_u64_e32 vcc_lo, 0, v[20:21]
	s_or_b32 s7, vcc_lo, s7
	s_wait_loadcnt 0x0
	v_sub_nc_u64_e32 v[24:25], v[24:25], v[2:3]
	v_lshl_add_u64 v[28:29], v[24:25], 2, s[4:5]
	global_load_b128 v[24:27], v[18:19], off
	global_load_b32 v30, v[28:29], off
	s_wait_xcnt 0x1
	v_add_nc_u64_e32 v[18:19], 0x400, v[18:19]
	s_wait_loadcnt 0x0
	v_dot4_i32_iu8 v10, v24, v30, v10 neg_lo:[1,1,0]
	v_dot4_i32_iu8 v11, v25, v30, v11 neg_lo:[1,1,0]
	;; [unrolled: 1-line block ×4, first 2 shown]
	s_and_not1_b32 exec_lo, exec_lo, s7
	s_cbranch_execnz .LBB74_27
; %bb.28:
	s_or_b32 exec_lo, exec_lo, s7
.LBB74_29:
	s_delay_alu instid0(SALU_CYCLE_1)
	s_or_b32 exec_lo, exec_lo, s6
.LBB74_30:
	s_delay_alu instid0(SALU_CYCLE_1)
	s_or_b32 exec_lo, exec_lo, s3
	s_cbranch_execz .LBB74_32
	s_branch .LBB74_43
.LBB74_31:
                                        ; implicit-def: $vgpr9
                                        ; implicit-def: $vgpr11
.LBB74_32:
	v_dual_mov_b32 v9, 0 :: v_dual_mov_b32 v8, 0
	v_dual_mov_b32 v11, 0 :: v_dual_mov_b32 v10, 0
	s_and_saveexec_b32 s3, s2
	s_cbranch_execz .LBB74_42
; %bb.33:
	v_dual_mov_b32 v9, v1 :: v_dual_bitop2_b32 v8, 64, v0 bitop3:0x54
	v_sub_nc_u64_e32 v[10:11], v[2:3], v[0:1]
	s_delay_alu instid0(VALU_DEP_2) | instskip(NEXT) | instid1(VALU_DEP_1)
	v_sub_nc_u64_e32 v[8:9], v[8:9], v[2:3]
	v_add_nc_u64_e32 v[8:9], v[8:9], v[14:15]
	v_not_b32_e32 v15, v15
	v_not_b32_e32 v14, v14
	s_delay_alu instid0(VALU_DEP_1) | instskip(NEXT) | instid1(VALU_DEP_4)
	v_add_nc_u64_e32 v[10:11], v[10:11], v[14:15]
	v_max_i64 v[8:9], v[8:9], v[16:17]
	s_delay_alu instid0(VALU_DEP_1) | instskip(SKIP_1) | instid1(VALU_DEP_2)
	v_add_nc_u64_e32 v[8:9], v[10:11], v[8:9]
	v_mov_b64_e32 v[10:11], 0
	v_lshrrev_b64 v[14:15], 6, v[8:9]
	v_cmp_lt_u64_e32 vcc_lo, 0xbf, v[8:9]
	v_mov_b64_e32 v[8:9], 0
	s_delay_alu instid0(VALU_DEP_3)
	v_add_nc_u64_e32 v[14:15], 1, v[14:15]
	s_and_saveexec_b32 s2, vcc_lo
	s_cbranch_execz .LBB74_37
; %bb.34:
	v_lshl_add_u64 v[10:11], v[12:13], 3, s[8:9]
	s_delay_alu instid0(VALU_DEP_2) | instskip(SKIP_1) | instid1(VALU_DEP_3)
	v_dual_mov_b32 v17, v15 :: v_dual_bitop2_b32 v16, -4, v14 bitop3:0x40
	v_dual_mov_b32 v8, 0 :: v_dual_mov_b32 v9, 0
	v_add_nc_u64_e32 v[18:19], 0x400, v[10:11]
	v_dual_mov_b32 v10, 0 :: v_dual_mov_b32 v11, 0
	s_mov_b32 s6, 0
.LBB74_35:                              ; =>This Inner Loop Header: Depth=1
	s_clause 0x3
	global_load_b64 v[36:37], v[18:19], off offset:-1024
	global_load_b64 v[38:39], v[18:19], off offset:512
	global_load_b64 v[40:41], v[18:19], off offset:-512
	global_load_b64 v[42:43], v[18:19], off
	s_clause 0x3
	global_load_b128 v[20:23], v[6:7], off
	global_load_b128 v[24:27], v[6:7], off offset:1024
	global_load_b128 v[28:31], v[6:7], off offset:2048
	;; [unrolled: 1-line block ×3, first 2 shown]
	v_add_nc_u64_e32 v[16:17], -4, v[16:17]
	s_wait_xcnt 0x0
	v_add_nc_u64_e32 v[6:7], 0x1000, v[6:7]
	v_add_nc_u64_e32 v[12:13], 0x100, v[12:13]
	;; [unrolled: 1-line block ×3, first 2 shown]
	s_delay_alu instid0(VALU_DEP_4)
	v_cmp_eq_u64_e32 vcc_lo, 0, v[16:17]
	s_or_b32 s6, vcc_lo, s6
	s_wait_loadcnt 0x7
	v_sub_nc_u64_e32 v[36:37], v[36:37], v[2:3]
	s_wait_loadcnt 0x6
	v_sub_nc_u64_e32 v[38:39], v[38:39], v[2:3]
	;; [unrolled: 2-line block ×4, first 2 shown]
	s_wait_loadcnt 0x2
	v_perm_b32 v46, v26, v25, 0x5010c0c
	s_wait_loadcnt 0x1
	v_perm_b32 v47, v28, v27, 0xc0c0501
	v_lshl_add_u64 v[36:37], v[36:37], 2, s[4:5]
	v_lshl_add_u64 v[38:39], v[38:39], 2, s[4:5]
	;; [unrolled: 1-line block ×4, first 2 shown]
	v_perm_b32 v48, v30, v29, 0x5010c0c
	s_clause 0x3
	global_load_b32 v1, v[36:37], off
	global_load_b32 v15, v[38:39], off
	;; [unrolled: 1-line block ×4, first 2 shown]
	s_wait_xcnt 0x3
	v_perm_b32 v36, v22, v21, 0xc05010c
	v_perm_b32 v37, v20, v20, 0xc0c0c01
	s_wait_xcnt 0x2
	v_perm_b32 v38, v22, v21, 0xc04000c
	v_perm_b32 v39, v20, v20, 0xc0c0c00
	;; [unrolled: 3-line block ×3, first 2 shown]
	v_perm_b32 v21, v22, v21, 0xc06020c
	v_perm_b32 v20, v20, v20, 0xc0c0c02
	;; [unrolled: 1-line block ×3, first 2 shown]
	s_wait_xcnt 0x0
	v_perm_b32 v42, v26, v25, 0x4000c0c
	v_perm_b32 v43, v24, v23, 0xc0c0501
	;; [unrolled: 1-line block ×12, first 2 shown]
	s_wait_loadcnt 0x4
	v_perm_b32 v29, v32, v31, 0xc0c0602
	v_perm_b32 v30, v34, v33, 0x6020c0c
	v_dual_lshrrev_b32 v51, 8, v35 :: v_dual_lshrrev_b32 v52, 24, v35
	v_lshrrev_b32_e32 v53, 16, v35
	v_perm_b32 v54, v32, v31, 0xc0c0400
	v_perm_b32 v56, v32, v31, 0xc0c0501
	;; [unrolled: 1-line block ×4, first 2 shown]
	v_or_b32_e32 v20, v21, v20
	v_or_b32_e32 v27, v28, v27
	v_or_b32_e32 v28, v30, v29
	v_perm_b32 v55, v34, v33, 0x4000c0c
	v_perm_b32 v57, v34, v33, 0x5010c0c
	v_bfe_i32 v33, v35, 0, 8
	v_or_b32_e32 v34, v36, v37
	v_or_b32_e32 v35, v38, v39
	;; [unrolled: 1-line block ×7, first 2 shown]
	v_bfe_i32 v25, v51, 0, 8
	v_bfe_i32 v26, v53, 0, 8
	;; [unrolled: 1-line block ×3, first 2 shown]
	v_or_b32_e32 v29, v32, v31
	v_or_b32_e32 v22, v46, v43
	v_perm_b32 v25, v25, v33, 0x5040100
	v_or_b32_e32 v39, v55, v54
	v_perm_b32 v26, v42, v26, 0x5040100
	v_or_b32_e32 v40, v57, v56
	s_wait_loadcnt 0x3
	v_perm_b32 v30, v1, v1, 0xc020100
	s_wait_loadcnt 0x2
	v_lshrrev_b32_e32 v31, 24, v15
	s_wait_loadcnt 0x1
	v_perm_b32 v1, v44, v1, 0x6050403
	s_wait_loadcnt 0x0
	v_perm_b32 v32, v45, v44, 0x6050403
	v_perm_b32 v15, v15, v45, 0x6050403
	v_dot4_i32_iu8 v8, v30, v20, v8 neg_lo:[1,1,0]
	v_dot4_i32_iu8 v10, v30, v35, v10 neg_lo:[1,1,0]
	;; [unrolled: 1-line block ×4, first 2 shown]
	v_bfe_i32 v20, v31, 0, 8
	v_dot4_i32_iu8 v8, v1, v41, v8 neg_lo:[1,1,0]
	v_dot4_i32_iu8 v10, v1, v21, v10 neg_lo:[1,1,0]
	v_dot4_i32_iu8 v11, v1, v22, v11 neg_lo:[1,1,0]
	v_dot4_i32_iu8 v1, v1, v23, v9 neg_lo:[1,1,0]
	v_pk_mul_lo_u16 v9, v20, v25 op_sel_hi:[0,1]
	v_pk_mul_lo_u16 v20, v20, v26 op_sel_hi:[0,1]
	v_dot4_i32_iu8 v8, v32, v27, v8 neg_lo:[1,1,0]
	s_delay_alu instid0(VALU_DEP_4) | instskip(NEXT) | instid1(VALU_DEP_4)
	v_dot4_i32_iu8 v1, v32, v24, v1 neg_lo:[1,1,0]
	v_bfe_i32 v21, v9, 0, 16
	s_delay_alu instid0(VALU_DEP_4) | instskip(NEXT) | instid1(VALU_DEP_4)
	v_bfe_i32 v22, v20, 0, 16
	v_dot4_i32_iu8 v8, v15, v28, v8 neg_lo:[1,1,0]
	v_or_b32_e32 v38, v50, v49
	v_dual_ashrrev_i32 v9, 16, v9 :: v_dual_ashrrev_i32 v20, 16, v20
	v_dot4_i32_iu8 v1, v15, v29, v1 neg_lo:[1,1,0]
	s_delay_alu instid0(VALU_DEP_4) | instskip(NEXT) | instid1(VALU_DEP_4)
	v_add_nc_u32_e32 v8, v8, v22
	v_dot4_i32_iu8 v10, v32, v38, v10 neg_lo:[1,1,0]
	s_delay_alu instid0(VALU_DEP_1) | instskip(NEXT) | instid1(VALU_DEP_1)
	v_dot4_i32_iu8 v10, v15, v39, v10 neg_lo:[1,1,0]
	v_dual_add_nc_u32 v10, v10, v21 :: v_dual_bitop2_b32 v37, v48, v47 bitop3:0x54
	s_delay_alu instid0(VALU_DEP_1) | instskip(NEXT) | instid1(VALU_DEP_1)
	v_dot4_i32_iu8 v11, v32, v37, v11 neg_lo:[1,1,0]
	v_dot4_i32_iu8 v11, v15, v40, v11 neg_lo:[1,1,0]
	s_delay_alu instid0(VALU_DEP_1)
	v_dual_add_nc_u32 v11, v11, v9 :: v_dual_add_nc_u32 v9, v1, v20
	s_and_not1_b32 exec_lo, exec_lo, s6
	s_cbranch_execnz .LBB74_35
; %bb.36:
	s_or_b32 exec_lo, exec_lo, s6
.LBB74_37:
	s_delay_alu instid0(SALU_CYCLE_1) | instskip(NEXT) | instid1(VALU_DEP_1)
	s_or_b32 exec_lo, exec_lo, s2
	v_dual_mov_b32 v15, 0 :: v_dual_bitop2_b32 v14, 3, v14 bitop3:0x40
	s_mov_b32 s2, exec_lo
	s_delay_alu instid0(VALU_DEP_1)
	v_cmpx_ne_u64_e32 0, v[14:15]
	s_cbranch_execz .LBB74_41
; %bb.38:
	v_lshl_add_u64 v[12:13], v[12:13], 3, s[8:9]
	v_lshlrev_b32_e32 v14, 1, v14
	s_mov_b32 s6, 0
.LBB74_39:                              ; =>This Inner Loop Header: Depth=1
	global_load_b64 v[20:21], v[12:13], off
	global_load_b128 v[16:19], v[6:7], off
	v_add_nc_u64_e32 v[14:15], -2, v[14:15]
	s_wait_xcnt 0x0
	v_add_nc_u64_e32 v[6:7], 0x400, v[6:7]
	v_add_nc_u64_e32 v[12:13], 0x200, v[12:13]
	s_delay_alu instid0(VALU_DEP_3)
	v_cmp_eq_u64_e32 vcc_lo, 0, v[14:15]
	s_or_b32 s6, vcc_lo, s6
	s_wait_loadcnt 0x1
	v_sub_nc_u64_e32 v[20:21], v[20:21], v[2:3]
	s_wait_loadcnt 0x0
	v_dual_lshrrev_b32 v22, 16, v18 :: v_dual_ashrrev_i32 v27, 24, v19
	v_perm_b32 v23, v17, v16, 0xc0c0400
	v_perm_b32 v24, v17, v16, 0xc0c0501
	;; [unrolled: 1-line block ×4, first 2 shown]
	v_lshl_add_u64 v[20:21], v[20:21], 2, s[4:5]
	v_bfe_i32 v17, v18, 0, 8
	v_bfe_i32 v22, v22, 0, 8
	;; [unrolled: 1-line block ×3, first 2 shown]
	global_load_b32 v1, v[20:21], off
	s_wait_xcnt 0x0
	v_dual_lshrrev_b32 v20, 8, v18 :: v_dual_lshrrev_b32 v21, 24, v18
	v_bfe_i32 v18, v19, 8, 8
	v_bfe_i32 v19, v19, 16, 8
	s_delay_alu instid0(VALU_DEP_3) | instskip(NEXT) | instid1(VALU_DEP_4)
	v_bfe_i32 v20, v20, 0, 8
	v_bfe_i32 v21, v21, 0, 8
	s_delay_alu instid0(VALU_DEP_2) | instskip(NEXT) | instid1(VALU_DEP_2)
	v_perm_b32 v17, v20, v17, 0x5040100
	v_perm_b32 v20, v21, v22, 0x5040100
	s_wait_loadcnt 0x0
	v_lshrrev_b32_e32 v22, 16, v1
	v_perm_b32 v21, v1, v1, 0xc0c0100
	v_ashrrev_i32_e32 v1, 24, v1
	s_delay_alu instid0(VALU_DEP_3) | instskip(NEXT) | instid1(VALU_DEP_3)
	v_bfe_i32 v22, v22, 0, 8
	v_dot4_i32_iu8 v10, v21, v23, v10 neg_lo:[1,1,0]
	v_dot4_i32_iu8 v11, v21, v24, v11 neg_lo:[1,1,0]
	v_dot4_i32_iu8 v8, v21, v25, v8 neg_lo:[1,1,0]
	v_dot4_i32_iu8 v9, v21, v16, v9 neg_lo:[1,1,0]
	v_pk_mul_lo_u16 v17, v22, v17 op_sel_hi:[0,1]
	v_pk_mul_lo_u16 v20, v22, v20 op_sel_hi:[0,1]
	v_mul_i32_i24_e32 v16, v1, v26
	v_mul_i32_i24_e32 v18, v1, v18
	;; [unrolled: 1-line block ×4, first 2 shown]
	v_dual_ashrrev_i32 v19, 16, v17 :: v_dual_ashrrev_i32 v22, 16, v20
	v_bfe_i32 v17, v17, 0, 16
	v_bfe_i32 v20, v20, 0, 16
	s_delay_alu instid0(VALU_DEP_3) | instskip(NEXT) | instid1(VALU_DEP_4)
	v_add3_u32 v11, v11, v19, v18
	v_add3_u32 v9, v9, v22, v21
	s_delay_alu instid0(VALU_DEP_4) | instskip(NEXT) | instid1(VALU_DEP_4)
	v_add3_u32 v10, v10, v17, v16
	v_add3_u32 v8, v8, v20, v1
	s_and_not1_b32 exec_lo, exec_lo, s6
	s_cbranch_execnz .LBB74_39
; %bb.40:
	s_or_b32 exec_lo, exec_lo, s6
.LBB74_41:
	s_delay_alu instid0(SALU_CYCLE_1)
	s_or_b32 exec_lo, exec_lo, s2
.LBB74_42:
	s_delay_alu instid0(SALU_CYCLE_1)
	s_or_b32 exec_lo, exec_lo, s3
.LBB74_43:
	v_mbcnt_lo_u32_b32 v1, -1, 0
	s_mov_b32 s2, -1
	s_delay_alu instid0(VALU_DEP_1) | instskip(SKIP_1) | instid1(VALU_DEP_1)
	v_xor_b32_e32 v12, 16, v1
	v_or_b32_e32 v2, 32, v1
	v_cmp_gt_i32_e32 vcc_lo, 32, v2
	v_cndmask_b32_e32 v2, v1, v2, vcc_lo
	s_delay_alu instid0(VALU_DEP_4) | instskip(SKIP_1) | instid1(VALU_DEP_1)
	v_cmp_gt_i32_e32 vcc_lo, 32, v12
	v_cndmask_b32_e32 v12, v1, v12, vcc_lo
	v_dual_lshlrev_b32 v12, 2, v12 :: v_dual_lshlrev_b32 v2, 2, v2
	ds_bpermute_b32 v6, v2, v11
	s_wait_dscnt 0x0
	v_add_nc_u32_e32 v6, v6, v11
	ds_bpermute_b32 v3, v2, v10
	ds_bpermute_b32 v7, v2, v8
	;; [unrolled: 1-line block ×3, first 2 shown]
	s_wait_dscnt 0x2
	v_add_nc_u32_e32 v3, v3, v10
	s_wait_dscnt 0x0
	v_dual_add_nc_u32 v7, v7, v8 :: v_dual_add_nc_u32 v2, v2, v9
	ds_bpermute_b32 v9, v12, v6
	ds_bpermute_b32 v8, v12, v3
	;; [unrolled: 1-line block ×4, first 2 shown]
	s_wait_dscnt 0x3
	v_dual_add_nc_u32 v6, v9, v6 :: v_dual_bitop2_b32 v12, 8, v1 bitop3:0x14
	s_wait_dscnt 0x2
	v_add_nc_u32_e32 v3, v8, v3
	s_delay_alu instid0(VALU_DEP_2) | instskip(SKIP_3) | instid1(VALU_DEP_1)
	v_cmp_gt_i32_e32 vcc_lo, 32, v12
	s_wait_dscnt 0x0
	v_dual_add_nc_u32 v7, v10, v7 :: v_dual_add_nc_u32 v2, v11, v2
	v_cndmask_b32_e32 v12, v1, v12, vcc_lo
	v_lshlrev_b32_e32 v12, 2, v12
	ds_bpermute_b32 v8, v12, v3
	ds_bpermute_b32 v9, v12, v6
	;; [unrolled: 1-line block ×4, first 2 shown]
	v_xor_b32_e32 v12, 4, v1
	s_delay_alu instid0(VALU_DEP_1) | instskip(SKIP_3) | instid1(VALU_DEP_1)
	v_cmp_gt_i32_e32 vcc_lo, 32, v12
	s_wait_dscnt 0x3
	v_dual_cndmask_b32 v12, v1, v12 :: v_dual_add_nc_u32 v3, v8, v3
	s_wait_dscnt 0x2
	v_dual_lshlrev_b32 v12, 2, v12 :: v_dual_add_nc_u32 v6, v9, v6
	s_wait_dscnt 0x0
	v_dual_add_nc_u32 v7, v10, v7 :: v_dual_add_nc_u32 v2, v11, v2
	ds_bpermute_b32 v8, v12, v3
	ds_bpermute_b32 v9, v12, v6
	;; [unrolled: 1-line block ×4, first 2 shown]
	s_wait_dscnt 0x3
	v_dual_add_nc_u32 v3, v8, v3 :: v_dual_bitop2_b32 v12, 2, v1 bitop3:0x14
	s_delay_alu instid0(VALU_DEP_1) | instskip(SKIP_4) | instid1(VALU_DEP_1)
	v_cmp_gt_i32_e32 vcc_lo, 32, v12
	s_wait_dscnt 0x0
	v_dual_add_nc_u32 v7, v10, v7 :: v_dual_add_nc_u32 v8, v11, v2
	v_add_nc_u32_e32 v6, v9, v6
	v_cndmask_b32_e32 v12, v1, v12, vcc_lo
	v_lshlrev_b32_e32 v12, 2, v12
	ds_bpermute_b32 v2, v12, v3
	ds_bpermute_b32 v9, v12, v6
	ds_bpermute_b32 v10, v12, v7
	ds_bpermute_b32 v11, v12, v8
	v_xor_b32_e32 v12, 1, v1
	s_delay_alu instid0(VALU_DEP_1) | instskip(SKIP_3) | instid1(VALU_DEP_2)
	v_cmp_gt_i32_e32 vcc_lo, 32, v12
	v_cndmask_b32_e32 v1, v1, v12, vcc_lo
	v_cmp_eq_u32_e32 vcc_lo, 63, v0
	s_wait_dscnt 0x3
	v_dual_add_nc_u32 v2, v2, v3 :: v_dual_lshlrev_b32 v12, 2, v1
	s_wait_dscnt 0x1
	v_dual_add_nc_u32 v1, v9, v6 :: v_dual_add_nc_u32 v6, v10, v7
	s_wait_dscnt 0x0
	v_add_nc_u32_e32 v3, v11, v8
	ds_bpermute_b32 v9, v12, v2
	ds_bpermute_b32 v10, v12, v1
	ds_bpermute_b32 v7, v12, v6
	ds_bpermute_b32 v8, v12, v3
	s_and_b32 exec_lo, exec_lo, vcc_lo
	s_cbranch_execz .LBB74_14
; %bb.44:
	s_load_b64 s[0:1], s[0:1], 0x58
	s_wait_dscnt 0x2
	v_dual_add_nc_u32 v0, v9, v2 :: v_dual_add_nc_u32 v1, v10, v1
	s_wait_dscnt 0x0
	v_dual_add_nc_u32 v2, v7, v6 :: v_dual_add_nc_u32 v3, v8, v3
	s_cmp_eq_u32 s13, 0
	s_delay_alu instid0(VALU_DEP_2) | instskip(SKIP_1) | instid1(VALU_DEP_3)
	v_mul_lo_u32 v0, v0, s12
	v_mul_lo_u32 v1, v1, s12
	;; [unrolled: 1-line block ×4, first 2 shown]
	s_wait_kmcnt 0x0
	v_lshl_add_u64 v[4:5], v[4:5], 4, s[0:1]
	s_cbranch_scc1 .LBB74_46
; %bb.45:
	global_load_b128 v[6:9], v[4:5], off
	s_mov_b32 s2, 0
	s_wait_loadcnt 0x0
	v_mad_u32 v7, v7, s13, v1
	v_mad_u32 v6, v6, s13, v0
	;; [unrolled: 1-line block ×4, first 2 shown]
	global_store_b128 v[4:5], v[6:9], off
.LBB74_46:
	s_and_not1_b32 vcc_lo, exec_lo, s2
	s_cbranch_vccnz .LBB74_14
; %bb.47:
	global_store_b128 v[4:5], v[0:3], off
	s_sendmsg sendmsg(MSG_DEALLOC_VGPRS)
	s_endpgm
	.section	.rodata,"a",@progbits
	.p2align	6, 0x0
	.amdhsa_kernel _ZN9rocsparseL18bsrxmvn_4x4_kernelILj128ELj64EillaaiEEvT3_20rocsparse_direction_NS_24const_host_device_scalarIT1_EES1_PKS1_PKT2_SA_S7_PKT4_PKT5_S5_PT6_21rocsparse_index_base_b
		.amdhsa_group_segment_fixed_size 0
		.amdhsa_private_segment_fixed_size 0
		.amdhsa_kernarg_size 104
		.amdhsa_user_sgpr_count 2
		.amdhsa_user_sgpr_dispatch_ptr 0
		.amdhsa_user_sgpr_queue_ptr 0
		.amdhsa_user_sgpr_kernarg_segment_ptr 1
		.amdhsa_user_sgpr_dispatch_id 0
		.amdhsa_user_sgpr_kernarg_preload_length 0
		.amdhsa_user_sgpr_kernarg_preload_offset 0
		.amdhsa_user_sgpr_private_segment_size 0
		.amdhsa_wavefront_size32 1
		.amdhsa_uses_dynamic_stack 0
		.amdhsa_enable_private_segment 0
		.amdhsa_system_sgpr_workgroup_id_x 1
		.amdhsa_system_sgpr_workgroup_id_y 0
		.amdhsa_system_sgpr_workgroup_id_z 0
		.amdhsa_system_sgpr_workgroup_info 0
		.amdhsa_system_vgpr_workitem_id 0
		.amdhsa_next_free_vgpr 65
		.amdhsa_next_free_sgpr 14
		.amdhsa_named_barrier_count 0
		.amdhsa_reserve_vcc 1
		.amdhsa_float_round_mode_32 0
		.amdhsa_float_round_mode_16_64 0
		.amdhsa_float_denorm_mode_32 3
		.amdhsa_float_denorm_mode_16_64 3
		.amdhsa_fp16_overflow 0
		.amdhsa_memory_ordered 1
		.amdhsa_forward_progress 1
		.amdhsa_inst_pref_size 35
		.amdhsa_round_robin_scheduling 0
		.amdhsa_exception_fp_ieee_invalid_op 0
		.amdhsa_exception_fp_denorm_src 0
		.amdhsa_exception_fp_ieee_div_zero 0
		.amdhsa_exception_fp_ieee_overflow 0
		.amdhsa_exception_fp_ieee_underflow 0
		.amdhsa_exception_fp_ieee_inexact 0
		.amdhsa_exception_int_div_zero 0
	.end_amdhsa_kernel
	.section	.text._ZN9rocsparseL18bsrxmvn_4x4_kernelILj128ELj64EillaaiEEvT3_20rocsparse_direction_NS_24const_host_device_scalarIT1_EES1_PKS1_PKT2_SA_S7_PKT4_PKT5_S5_PT6_21rocsparse_index_base_b,"axG",@progbits,_ZN9rocsparseL18bsrxmvn_4x4_kernelILj128ELj64EillaaiEEvT3_20rocsparse_direction_NS_24const_host_device_scalarIT1_EES1_PKS1_PKT2_SA_S7_PKT4_PKT5_S5_PT6_21rocsparse_index_base_b,comdat
.Lfunc_end74:
	.size	_ZN9rocsparseL18bsrxmvn_4x4_kernelILj128ELj64EillaaiEEvT3_20rocsparse_direction_NS_24const_host_device_scalarIT1_EES1_PKS1_PKT2_SA_S7_PKT4_PKT5_S5_PT6_21rocsparse_index_base_b, .Lfunc_end74-_ZN9rocsparseL18bsrxmvn_4x4_kernelILj128ELj64EillaaiEEvT3_20rocsparse_direction_NS_24const_host_device_scalarIT1_EES1_PKS1_PKT2_SA_S7_PKT4_PKT5_S5_PT6_21rocsparse_index_base_b
                                        ; -- End function
	.set _ZN9rocsparseL18bsrxmvn_4x4_kernelILj128ELj64EillaaiEEvT3_20rocsparse_direction_NS_24const_host_device_scalarIT1_EES1_PKS1_PKT2_SA_S7_PKT4_PKT5_S5_PT6_21rocsparse_index_base_b.num_vgpr, 65
	.set _ZN9rocsparseL18bsrxmvn_4x4_kernelILj128ELj64EillaaiEEvT3_20rocsparse_direction_NS_24const_host_device_scalarIT1_EES1_PKS1_PKT2_SA_S7_PKT4_PKT5_S5_PT6_21rocsparse_index_base_b.num_agpr, 0
	.set _ZN9rocsparseL18bsrxmvn_4x4_kernelILj128ELj64EillaaiEEvT3_20rocsparse_direction_NS_24const_host_device_scalarIT1_EES1_PKS1_PKT2_SA_S7_PKT4_PKT5_S5_PT6_21rocsparse_index_base_b.numbered_sgpr, 14
	.set _ZN9rocsparseL18bsrxmvn_4x4_kernelILj128ELj64EillaaiEEvT3_20rocsparse_direction_NS_24const_host_device_scalarIT1_EES1_PKS1_PKT2_SA_S7_PKT4_PKT5_S5_PT6_21rocsparse_index_base_b.num_named_barrier, 0
	.set _ZN9rocsparseL18bsrxmvn_4x4_kernelILj128ELj64EillaaiEEvT3_20rocsparse_direction_NS_24const_host_device_scalarIT1_EES1_PKS1_PKT2_SA_S7_PKT4_PKT5_S5_PT6_21rocsparse_index_base_b.private_seg_size, 0
	.set _ZN9rocsparseL18bsrxmvn_4x4_kernelILj128ELj64EillaaiEEvT3_20rocsparse_direction_NS_24const_host_device_scalarIT1_EES1_PKS1_PKT2_SA_S7_PKT4_PKT5_S5_PT6_21rocsparse_index_base_b.uses_vcc, 1
	.set _ZN9rocsparseL18bsrxmvn_4x4_kernelILj128ELj64EillaaiEEvT3_20rocsparse_direction_NS_24const_host_device_scalarIT1_EES1_PKS1_PKT2_SA_S7_PKT4_PKT5_S5_PT6_21rocsparse_index_base_b.uses_flat_scratch, 0
	.set _ZN9rocsparseL18bsrxmvn_4x4_kernelILj128ELj64EillaaiEEvT3_20rocsparse_direction_NS_24const_host_device_scalarIT1_EES1_PKS1_PKT2_SA_S7_PKT4_PKT5_S5_PT6_21rocsparse_index_base_b.has_dyn_sized_stack, 0
	.set _ZN9rocsparseL18bsrxmvn_4x4_kernelILj128ELj64EillaaiEEvT3_20rocsparse_direction_NS_24const_host_device_scalarIT1_EES1_PKS1_PKT2_SA_S7_PKT4_PKT5_S5_PT6_21rocsparse_index_base_b.has_recursion, 0
	.set _ZN9rocsparseL18bsrxmvn_4x4_kernelILj128ELj64EillaaiEEvT3_20rocsparse_direction_NS_24const_host_device_scalarIT1_EES1_PKS1_PKT2_SA_S7_PKT4_PKT5_S5_PT6_21rocsparse_index_base_b.has_indirect_call, 0
	.section	.AMDGPU.csdata,"",@progbits
; Kernel info:
; codeLenInByte = 4360
; TotalNumSgprs: 16
; NumVgprs: 65
; ScratchSize: 0
; MemoryBound: 0
; FloatMode: 240
; IeeeMode: 1
; LDSByteSize: 0 bytes/workgroup (compile time only)
; SGPRBlocks: 0
; VGPRBlocks: 4
; NumSGPRsForWavesPerEU: 16
; NumVGPRsForWavesPerEU: 65
; NamedBarCnt: 0
; Occupancy: 12
; WaveLimiterHint : 1
; COMPUTE_PGM_RSRC2:SCRATCH_EN: 0
; COMPUTE_PGM_RSRC2:USER_SGPR: 2
; COMPUTE_PGM_RSRC2:TRAP_HANDLER: 0
; COMPUTE_PGM_RSRC2:TGID_X_EN: 1
; COMPUTE_PGM_RSRC2:TGID_Y_EN: 0
; COMPUTE_PGM_RSRC2:TGID_Z_EN: 0
; COMPUTE_PGM_RSRC2:TIDIG_COMP_CNT: 0
	.section	.text._ZN9rocsparseL18bsrxmvn_4x4_kernelILj128ELj4EfiiaafEEvT3_20rocsparse_direction_NS_24const_host_device_scalarIT1_EES1_PKS1_PKT2_SA_S7_PKT4_PKT5_S5_PT6_21rocsparse_index_base_b,"axG",@progbits,_ZN9rocsparseL18bsrxmvn_4x4_kernelILj128ELj4EfiiaafEEvT3_20rocsparse_direction_NS_24const_host_device_scalarIT1_EES1_PKS1_PKT2_SA_S7_PKT4_PKT5_S5_PT6_21rocsparse_index_base_b,comdat
	.globl	_ZN9rocsparseL18bsrxmvn_4x4_kernelILj128ELj4EfiiaafEEvT3_20rocsparse_direction_NS_24const_host_device_scalarIT1_EES1_PKS1_PKT2_SA_S7_PKT4_PKT5_S5_PT6_21rocsparse_index_base_b ; -- Begin function _ZN9rocsparseL18bsrxmvn_4x4_kernelILj128ELj4EfiiaafEEvT3_20rocsparse_direction_NS_24const_host_device_scalarIT1_EES1_PKS1_PKT2_SA_S7_PKT4_PKT5_S5_PT6_21rocsparse_index_base_b
	.p2align	8
	.type	_ZN9rocsparseL18bsrxmvn_4x4_kernelILj128ELj4EfiiaafEEvT3_20rocsparse_direction_NS_24const_host_device_scalarIT1_EES1_PKS1_PKT2_SA_S7_PKT4_PKT5_S5_PT6_21rocsparse_index_base_b,@function
_ZN9rocsparseL18bsrxmvn_4x4_kernelILj128ELj4EfiiaafEEvT3_20rocsparse_direction_NS_24const_host_device_scalarIT1_EES1_PKS1_PKT2_SA_S7_PKT4_PKT5_S5_PT6_21rocsparse_index_base_b: ; @_ZN9rocsparseL18bsrxmvn_4x4_kernelILj128ELj4EfiiaafEEvT3_20rocsparse_direction_NS_24const_host_device_scalarIT1_EES1_PKS1_PKT2_SA_S7_PKT4_PKT5_S5_PT6_21rocsparse_index_base_b
; %bb.0:
	s_clause 0x2
	s_load_b64 s[16:17], s[0:1], 0x58
	s_load_b64 s[12:13], s[0:1], 0x8
	;; [unrolled: 1-line block ×3, first 2 shown]
	s_wait_kmcnt 0x0
	s_bitcmp1_b32 s17, 0
	s_cselect_b32 s2, -1, 0
	s_delay_alu instid0(SALU_CYCLE_1)
	s_and_b32 vcc_lo, exec_lo, s2
	s_xor_b32 s2, s2, -1
	s_cbranch_vccnz .LBB75_2
; %bb.1:
	s_load_b32 s12, s[12:13], 0x0
.LBB75_2:
	s_and_not1_b32 vcc_lo, exec_lo, s2
	s_cbranch_vccnz .LBB75_4
; %bb.3:
	s_load_b32 s14, s[14:15], 0x0
.LBB75_4:
	s_wait_kmcnt 0x0
	s_cmp_neq_f32 s12, 0
	s_mov_b32 s6, 0
	s_cselect_b32 s2, -1, 0
	s_cmp_neq_f32 s14, 1.0
	s_cselect_b32 s3, -1, 0
	s_delay_alu instid0(SALU_CYCLE_1) | instskip(NEXT) | instid1(SALU_CYCLE_1)
	s_or_b32 s2, s2, s3
	s_and_not1_b32 vcc_lo, exec_lo, s2
	s_cbranch_vccnz .LBB75_10
; %bb.5:
	s_clause 0x1
	s_load_b64 s[4:5], s[0:1], 0x18
	s_load_b64 s[2:3], s[0:1], 0x0
	s_bfe_u32 s7, ttmp6, 0x4000c
	s_and_b32 s8, ttmp6, 15
	s_add_co_i32 s7, s7, 1
	s_getreg_b32 s9, hwreg(HW_REG_IB_STS2, 6, 4)
	s_mul_i32 s7, ttmp9, s7
	v_lshrrev_b32_e32 v1, 2, v0
	s_add_co_i32 s8, s8, s7
	s_cmp_eq_u32 s9, 0
	s_cselect_b32 s7, ttmp9, s8
	s_delay_alu instid0(VALU_DEP_1) | instid1(SALU_CYCLE_1)
	v_lshl_or_b32 v2, s7, 5, v1
	s_wait_kmcnt 0x0
	s_cmp_lg_u64 s[4:5], 0
	s_cbranch_scc0 .LBB75_11
; %bb.6:
	s_load_b32 s6, s[0:1], 0x10
	s_mov_b32 s7, 0
                                        ; implicit-def: $vgpr1
	s_wait_kmcnt 0x0
	v_cmp_gt_i32_e32 vcc_lo, s6, v2
	s_mov_b32 s6, 0
	s_and_saveexec_b32 s8, vcc_lo
	s_delay_alu instid0(SALU_CYCLE_1)
	s_xor_b32 s8, exec_lo, s8
	s_cbranch_execz .LBB75_8
; %bb.7:
	global_load_b32 v1, v2, s[4:5] scale_offset
	s_mov_b32 s6, exec_lo
	s_wait_loadcnt 0x0
	v_subrev_nc_u32_e32 v1, s16, v1
.LBB75_8:
	s_or_b32 exec_lo, exec_lo, s8
	s_delay_alu instid0(SALU_CYCLE_1)
	s_and_b32 vcc_lo, exec_lo, s7
	s_cbranch_vccz .LBB75_12
.LBB75_9:
	v_cmp_gt_i32_e32 vcc_lo, s2, v2
	s_and_not1_b32 s2, s6, exec_lo
	s_and_b32 s4, vcc_lo, exec_lo
	s_delay_alu instid0(SALU_CYCLE_1) | instskip(NEXT) | instid1(SALU_CYCLE_1)
	s_or_b32 s6, s2, s4
	s_and_saveexec_b32 s2, s6
	s_cbranch_execnz .LBB75_13
.LBB75_10:
	s_sendmsg sendmsg(MSG_DEALLOC_VGPRS)
	s_endpgm
.LBB75_11:
                                        ; implicit-def: $vgpr1
	s_cbranch_execnz .LBB75_9
.LBB75_12:
	s_delay_alu instid0(VALU_DEP_1)
	v_mov_b32_e32 v2, v1
	s_and_saveexec_b32 s2, s6
	s_cbranch_execz .LBB75_10
.LBB75_13:
	s_load_b256 s[4:11], s[0:1], 0x20
	s_wait_kmcnt 0x0
	s_cmp_eq_u64 s[6:7], 0
	global_load_b32 v13, v2, s[4:5] scale_offset
	s_cselect_b32 vcc_lo, -1, 0
	v_ashrrev_i32_e32 v3, 31, v2
	s_cmp_eq_u32 s3, 1
	s_delay_alu instid0(VALU_DEP_1) | instskip(SKIP_1) | instid1(VALU_DEP_2)
	v_lshlrev_b64_e32 v[4:5], 2, v[2:3]
	v_and_b32_e32 v3, 3, v0
	v_add_nc_u64_e32 v[6:7], s[4:5], v[4:5]
	v_add_nc_u64_e32 v[4:5], s[6:7], v[4:5]
	s_wait_xcnt 0x0
	s_load_b64 s[4:5], s[0:1], 0x40
	s_delay_alu instid0(VALU_DEP_2) | instskip(NEXT) | instid1(VALU_DEP_1)
	v_add_nc_u64_e32 v[6:7], 4, v[6:7]
	v_dual_cndmask_b32 v5, v5, v7 :: v_dual_cndmask_b32 v4, v4, v6
	global_load_b32 v4, v[4:5], off
	s_wait_loadcnt 0x1
	v_subrev_nc_u32_e32 v0, s16, v13
	s_delay_alu instid0(VALU_DEP_1) | instskip(NEXT) | instid1(VALU_DEP_1)
	v_add_nc_u32_e32 v0, v0, v3
	v_ashrrev_i32_e32 v1, 31, v0
	s_wait_loadcnt 0x0
	v_subrev_nc_u32_e32 v12, s16, v4
	s_delay_alu instid0(VALU_DEP_2) | instskip(NEXT) | instid1(VALU_DEP_2)
	v_lshl_add_u64 v[4:5], v[0:1], 4, s[10:11]
	v_cmp_lt_i32_e64 s2, v0, v12
	s_cbranch_scc1 .LBB75_25
; %bb.14:
	v_dual_mov_b32 v7, 0 :: v_dual_mov_b32 v6, 0
	v_dual_mov_b32 v9, 0 :: v_dual_mov_b32 v8, 0
	s_and_saveexec_b32 s3, s2
	s_cbranch_execz .LBB75_24
; %bb.15:
	v_add_nc_u32_e32 v1, v13, v3
	v_not_b32_e32 v6, v13
	v_mov_b64_e32 v[8:9], 0
	s_delay_alu instid0(VALU_DEP_3) | instskip(NEXT) | instid1(VALU_DEP_1)
	v_subrev_nc_u32_e32 v1, s16, v1
	v_add_max_i32_e64 v1, v1, 4, v12
	s_delay_alu instid0(VALU_DEP_1) | instskip(SKIP_1) | instid1(VALU_DEP_2)
	v_add3_u32 v1, s16, v1, v6
	v_mov_b64_e32 v[6:7], 0
	v_dual_mov_b32 v1, v0 :: v_dual_sub_nc_u32 v14, v1, v3
	s_delay_alu instid0(VALU_DEP_1) | instskip(NEXT) | instid1(VALU_DEP_1)
	v_and_b32_e32 v10, 12, v14
	v_cmp_ne_u32_e32 vcc_lo, 12, v10
	v_mov_b64_e32 v[10:11], v[4:5]
	s_and_saveexec_b32 s6, vcc_lo
	s_cbranch_execz .LBB75_19
; %bb.16:
	v_dual_mov_b32 v8, 0 :: v_dual_lshrrev_b32 v1, 2, v14
	v_mov_b64_e32 v[10:11], v[4:5]
	s_mov_b32 s7, 0
	s_delay_alu instid0(VALU_DEP_2) | instskip(NEXT) | instid1(VALU_DEP_1)
	v_dual_add_nc_u32 v1, 1, v1 :: v_dual_mov_b32 v9, v8
	v_dual_mov_b32 v1, v0 :: v_dual_bitop2_b32 v7, 3, v1 bitop3:0x40
	s_delay_alu instid0(VALU_DEP_1)
	v_dual_mov_b32 v6, v8 :: v_dual_sub_nc_u32 v15, 0, v7
	v_mov_b32_e32 v7, v8
.LBB75_17:                              ; =>This Inner Loop Header: Depth=1
	global_load_b32 v16, v1, s[8:9] scale_offset
	v_add_co_u32 v15, s10, v15, 1
	s_or_b32 s7, s10, s7
	s_wait_xcnt 0x0
	v_add_nc_u32_e32 v1, 4, v1
	s_wait_loadcnt 0x0
	v_subrev_nc_u32_e32 v20, s16, v16
	global_load_b128 v[16:19], v[10:11], off
	s_wait_kmcnt 0x0
	global_load_b32 v31, v20, s[4:5] scale_offset
	s_wait_xcnt 0x1
	v_add_nc_u64_e32 v[10:11], 64, v[10:11]
	s_wait_loadcnt 0x1
	s_wait_xcnt 0x0
	v_bfe_i32 v20, v17, 0, 8
	v_bfe_i32 v25, v16, 16, 8
	;; [unrolled: 1-line block ×6, first 2 shown]
	v_dual_ashrrev_i32 v26, 24, v17 :: v_dual_ashrrev_i32 v27, 24, v16
	v_bfe_i32 v29, v18, 0, 8
	v_bfe_i32 v30, v19, 8, 8
	;; [unrolled: 1-line block ×3, first 2 shown]
	v_cvt_f32_i32_e32 v17, v20
	v_cvt_f32_i32_e32 v20, v25
	;; [unrolled: 1-line block ×3, first 2 shown]
	s_wait_loadcnt 0x0
	v_bfe_i32 v28, v31, 0, 8
	v_bfe_i32 v23, v16, 8, 8
	;; [unrolled: 1-line block ×3, first 2 shown]
	v_dual_ashrrev_i32 v35, 24, v19 :: v_dual_ashrrev_i32 v36, 24, v18
	v_cvt_f32_i32_e32 v16, v21
	v_cvt_f32_i32_e32 v19, v22
	;; [unrolled: 1-line block ×6, first 2 shown]
	v_bfe_i32 v30, v31, 8, 8
	v_cvt_f32_i32_e32 v28, v28
	v_cvt_f32_i32_e32 v29, v33
	v_bfe_i32 v34, v18, 16, 8
	v_cvt_f32_i32_e32 v18, v23
	v_cvt_f32_i32_e32 v23, v26
	;; [unrolled: 1-line block ×3, first 2 shown]
	v_bfe_i32 v32, v31, 16, 8
	v_cvt_f32_i32_e32 v30, v30
	v_pk_fma_f32 v[8:9], v[16:17], v[28:29], v[8:9] op_sel_hi:[1,0,1]
	v_pk_fma_f32 v[6:7], v[24:25], v[28:29], v[6:7] op_sel_hi:[1,0,1]
	v_cvt_f32_i32_e32 v28, v34
	v_ashrrev_i32_e32 v17, 24, v31
	v_cvt_f32_i32_e32 v16, v32
	v_pk_fma_f32 v[8:9], v[18:19], v[30:31], v[8:9] op_sel_hi:[1,0,1]
	v_pk_fma_f32 v[6:7], v[26:27], v[30:31], v[6:7] op_sel_hi:[1,0,1]
	v_cvt_f32_i32_e32 v19, v35
	v_cvt_f32_i32_e32 v18, v36
	;; [unrolled: 1-line block ×3, first 2 shown]
	v_pk_fma_f32 v[8:9], v[20:21], v[16:17], v[8:9] op_sel_hi:[1,0,1]
	v_pk_fma_f32 v[6:7], v[28:29], v[16:17], v[6:7] op_sel_hi:[1,0,1]
	s_delay_alu instid0(VALU_DEP_2) | instskip(NEXT) | instid1(VALU_DEP_2)
	v_pk_fma_f32 v[8:9], v[22:23], v[24:25], v[8:9] op_sel_hi:[1,0,1]
	v_pk_fma_f32 v[6:7], v[18:19], v[24:25], v[6:7] op_sel_hi:[1,0,1]
	s_and_not1_b32 exec_lo, exec_lo, s7
	s_cbranch_execnz .LBB75_17
; %bb.18:
	s_or_b32 exec_lo, exec_lo, s7
.LBB75_19:
	s_delay_alu instid0(SALU_CYCLE_1) | instskip(NEXT) | instid1(SALU_CYCLE_1)
	s_or_b32 exec_lo, exec_lo, s6
	s_mov_b32 s6, exec_lo
	v_cmpx_lt_u32_e32 11, v14
	s_cbranch_execz .LBB75_23
; %bb.20:
	s_mov_b32 s7, 0
.LBB75_21:                              ; =>This Inner Loop Header: Depth=1
	s_clause 0x3
	global_load_b32 v26, v1, s[8:9] scale_offset
	global_load_b32 v27, v1, s[8:9] offset:16 scale_offset
	global_load_b32 v28, v1, s[8:9] offset:32 scale_offset
	;; [unrolled: 1-line block ×3, first 2 shown]
	s_clause 0x2
	global_load_b128 v[14:17], v[10:11], off
	global_load_b128 v[18:21], v[10:11], off offset:64
	global_load_b128 v[22:25], v[10:11], off offset:128
	s_wait_xcnt 0x3
	v_add_nc_u32_e32 v1, 16, v1
	s_delay_alu instid0(VALU_DEP_1)
	v_cmp_ge_i32_e32 vcc_lo, v1, v12
	s_or_b32 s7, vcc_lo, s7
	s_wait_loadcnt 0x6
	v_subrev_nc_u32_e32 v30, s16, v26
	s_wait_loadcnt 0x5
	v_subrev_nc_u32_e32 v31, s16, v27
	;; [unrolled: 2-line block ×4, first 2 shown]
	s_wait_kmcnt 0x0
	s_clause 0x2
	global_load_b32 v34, v30, s[4:5] scale_offset
	global_load_b32 v50, v31, s[4:5] scale_offset
	;; [unrolled: 1-line block ×3, first 2 shown]
	global_load_b128 v[26:29], v[10:11], off offset:192
	global_load_b32 v52, v33, s[4:5] scale_offset
	s_wait_loadcnt 0x7
	s_wait_xcnt 0x4
	v_bfe_i32 v30, v15, 0, 8
	s_wait_xcnt 0x3
	v_bfe_i32 v31, v14, 0, 8
	v_bfe_i32 v39, v17, 0, 8
	;; [unrolled: 1-line block ×7, first 2 shown]
	v_dual_ashrrev_i32 v17, 24, v17 :: v_dual_ashrrev_i32 v45, 24, v16
	s_wait_xcnt 0x2
	v_bfe_i32 v32, v15, 8, 8
	s_wait_xcnt 0x0
	v_bfe_i32 v33, v14, 8, 8
	v_bfe_i32 v35, v15, 16, 8
	;; [unrolled: 1-line block ×3, first 2 shown]
	v_dual_ashrrev_i32 v37, 24, v15 :: v_dual_ashrrev_i32 v38, 24, v14
	v_cvt_f32_i32_e32 v15, v30
	v_cvt_f32_i32_e32 v14, v31
	s_wait_loadcnt 0x6
	v_bfe_i32 v46, v19, 0, 8
	v_bfe_i32 v47, v18, 0, 8
	;; [unrolled: 1-line block ×6, first 2 shown]
	v_dual_ashrrev_i32 v55, 24, v19 :: v_dual_ashrrev_i32 v56, 24, v18
	v_bfe_i32 v18, v21, 0, 8
	v_bfe_i32 v19, v20, 0, 8
	;; [unrolled: 1-line block ×6, first 2 shown]
	v_dual_ashrrev_i32 v61, 24, v21 :: v_dual_ashrrev_i32 v62, 24, v20
	s_wait_loadcnt 0x5
	v_bfe_i32 v63, v23, 0, 8
	v_bfe_i32 v65, v23, 8, 8
	;; [unrolled: 1-line block ×3, first 2 shown]
	v_ashrrev_i32_e32 v69, 24, v23
	v_cvt_f32_i32_e32 v21, v57
	v_cvt_f32_i32_e32 v20, v58
	;; [unrolled: 1-line block ×3, first 2 shown]
	v_bfe_i32 v64, v22, 0, 8
	v_bfe_i32 v66, v22, 8, 8
	;; [unrolled: 1-line block ×8, first 2 shown]
	v_dual_ashrrev_i32 v75, 24, v25 :: v_dual_ashrrev_i32 v76, 24, v24
	v_cvt_f32_i32_e32 v24, v56
	v_cvt_f32_i32_e32 v31, v63
	;; [unrolled: 1-line block ×3, first 2 shown]
	v_add_nc_u64_e32 v[10:11], 0x100, v[10:11]
	s_wait_loadcnt 0x4
	v_bfe_i32 v16, v34, 0, 8
	s_wait_loadcnt 0x3
	v_bfe_i32 v53, v50, 16, 8
	s_wait_loadcnt 0x1
	v_ashrrev_i32_e32 v83, 24, v27
	v_bfe_i32 v77, v27, 0, 8
	v_cvt_f32_i32_e32 v16, v16
	v_bfe_i32 v78, v26, 0, 8
	v_bfe_i32 v79, v27, 8, 8
	;; [unrolled: 1-line block ×4, first 2 shown]
	v_pk_fma_f32 v[8:9], v[14:15], v[16:17], v[8:9] op_sel_hi:[1,0,1]
	v_cvt_f32_i32_e32 v15, v39
	v_cvt_f32_i32_e32 v14, v40
	v_ashrrev_i32_e32 v39, 24, v22
	v_bfe_i32 v82, v26, 16, 8
	v_dual_ashrrev_i32 v84, 24, v26 :: v_dual_ashrrev_i32 v91, 24, v29
	s_delay_alu instid0(VALU_DEP_4)
	v_pk_fma_f32 v[6:7], v[14:15], v[16:17], v[6:7] op_sel_hi:[1,0,1]
	v_bfe_i32 v16, v34, 8, 8
	v_cvt_f32_i32_e32 v15, v32
	v_cvt_f32_i32_e32 v14, v33
	;; [unrolled: 1-line block ×6, first 2 shown]
	v_ashrrev_i32_e32 v54, 24, v50
	v_bfe_i32 v40, v25, 0, 8
	v_bfe_i32 v85, v29, 0, 8
	v_pk_fma_f32 v[8:9], v[14:15], v[16:17], v[8:9] op_sel_hi:[1,0,1]
	v_cvt_f32_i32_e32 v15, v41
	v_cvt_f32_i32_e32 v14, v42
	v_bfe_i32 v86, v28, 0, 8
	v_bfe_i32 v87, v29, 8, 8
	;; [unrolled: 1-line block ×4, first 2 shown]
	v_pk_fma_f32 v[6:7], v[14:15], v[16:17], v[6:7] op_sel_hi:[1,0,1]
	v_bfe_i32 v16, v34, 16, 8
	v_cvt_f32_i32_e32 v15, v35
	v_cvt_f32_i32_e32 v14, v36
	v_bfe_i32 v90, v28, 16, 8
	v_ashrrev_i32_e32 v92, 24, v28
	v_cvt_f32_i32_e32 v16, v16
	v_cvt_f32_i32_e32 v25, v55
	;; [unrolled: 1-line block ×5, first 2 shown]
	v_pk_fma_f32 v[8:9], v[14:15], v[16:17], v[8:9] op_sel_hi:[1,0,1]
	v_cvt_f32_i32_e32 v15, v43
	v_cvt_f32_i32_e32 v14, v44
	;; [unrolled: 1-line block ×6, first 2 shown]
	v_pk_fma_f32 v[6:7], v[14:15], v[16:17], v[6:7] op_sel_hi:[1,0,1]
	v_ashrrev_i32_e32 v16, 24, v34
	v_cvt_f32_i32_e32 v15, v37
	v_cvt_f32_i32_e32 v14, v38
	v_cvt_f32_i32_e32 v38, v70
	v_cvt_f32_i32_e32 v40, v72
	v_cvt_f32_i32_e32 v16, v16
	v_cvt_f32_i32_e32 v35, v67
	v_cvt_f32_i32_e32 v34, v68
	v_cvt_f32_i32_e32 v43, v73
	v_cvt_f32_i32_e32 v42, v74
	v_pk_fma_f32 v[8:9], v[14:15], v[16:17], v[8:9] op_sel_hi:[1,0,1]
	v_cvt_f32_i32_e32 v15, v17
	v_cvt_f32_i32_e32 v14, v45
	v_cvt_f32_i32_e32 v37, v69
	v_cvt_f32_i32_e32 v45, v75
	v_cvt_f32_i32_e32 v44, v76
	s_delay_alu instid0(VALU_DEP_4)
	v_pk_fma_f32 v[6:7], v[14:15], v[16:17], v[6:7] op_sel_hi:[1,0,1]
	v_bfe_i32 v16, v50, 0, 8
	v_cvt_f32_i32_e32 v15, v46
	v_cvt_f32_i32_e32 v14, v47
	;; [unrolled: 1-line block ×5, first 2 shown]
	s_delay_alu instid0(VALU_DEP_1)
	v_pk_fma_f32 v[8:9], v[14:15], v[16:17], v[8:9] op_sel_hi:[1,0,1]
	v_cvt_f32_i32_e32 v15, v18
	v_cvt_f32_i32_e32 v14, v19
	v_bfe_i32 v17, v50, 8, 8
	v_cvt_f32_i32_e32 v19, v48
	v_cvt_f32_i32_e32 v18, v49
	;; [unrolled: 1-line block ×4, first 2 shown]
	v_pk_fma_f32 v[6:7], v[14:15], v[16:17], v[6:7] op_sel_hi:[1,0,1]
	v_cvt_f32_i32_e32 v16, v17
	v_cvt_f32_i32_e32 v48, v80
	;; [unrolled: 1-line block ×4, first 2 shown]
	s_delay_alu instid0(VALU_DEP_4)
	v_pk_fma_f32 v[8:9], v[18:19], v[16:17], v[8:9] op_sel_hi:[1,0,1]
	v_pk_fma_f32 v[6:7], v[20:21], v[16:17], v[6:7] op_sel_hi:[1,0,1]
	v_bfe_i32 v19, v51, 0, 8
	v_cvt_f32_i32_e32 v18, v54
	v_bfe_i32 v21, v51, 8, 8
	v_pk_fma_f32 v[8:9], v[22:23], v[50:51], v[8:9] op_sel_hi:[1,0,1]
	v_pk_fma_f32 v[6:7], v[26:27], v[50:51], v[6:7] op_sel_hi:[1,0,1]
	v_cvt_f32_i32_e32 v20, v19
	v_bfe_i32 v23, v51, 16, 8
	v_cvt_f32_i32_e32 v22, v21
	v_pk_fma_f32 v[8:9], v[24:25], v[18:19], v[8:9] op_sel_hi:[1,0,1]
	v_pk_fma_f32 v[6:7], v[28:29], v[18:19], v[6:7] op_sel_hi:[1,0,1]
	v_ashrrev_i32_e32 v24, 24, v51
	v_cvt_f32_i32_e32 v19, v85
	v_cvt_f32_i32_e32 v18, v86
	v_pk_fma_f32 v[8:9], v[30:31], v[20:21], v[8:9] op_sel_hi:[1,0,1]
	v_pk_fma_f32 v[6:7], v[38:39], v[20:21], v[6:7] op_sel_hi:[1,0,1]
	v_cvt_f32_i32_e32 v20, v23
	v_cvt_f32_i32_e32 v21, v87
	s_wait_loadcnt 0x0
	v_bfe_i32 v25, v52, 8, 8
	v_pk_fma_f32 v[8:9], v[32:33], v[22:23], v[8:9] op_sel_hi:[1,0,1]
	v_pk_fma_f32 v[6:7], v[40:41], v[22:23], v[6:7] op_sel_hi:[1,0,1]
	v_bfe_i32 v23, v52, 0, 8
	v_cvt_f32_i32_e32 v22, v24
	v_bfe_i32 v27, v52, 16, 8
	v_pk_fma_f32 v[8:9], v[34:35], v[20:21], v[8:9] op_sel_hi:[1,0,1]
	v_pk_fma_f32 v[6:7], v[42:43], v[20:21], v[6:7] op_sel_hi:[1,0,1]
	v_cvt_f32_i32_e32 v24, v23
	v_cvt_f32_i32_e32 v20, v88
	;; [unrolled: 1-line block ×3, first 2 shown]
	v_pk_fma_f32 v[8:9], v[36:37], v[22:23], v[8:9] op_sel_hi:[1,0,1]
	v_pk_fma_f32 v[6:7], v[44:45], v[22:23], v[6:7] op_sel_hi:[1,0,1]
	v_cvt_f32_i32_e32 v23, v89
	v_cvt_f32_i32_e32 v22, v90
	;; [unrolled: 1-line block ×3, first 2 shown]
	v_pk_fma_f32 v[8:9], v[46:47], v[24:25], v[8:9] op_sel_hi:[1,0,1]
	v_pk_fma_f32 v[6:7], v[18:19], v[24:25], v[6:7] op_sel_hi:[1,0,1]
	v_ashrrev_i32_e32 v19, 24, v52
	v_cvt_f32_i32_e32 v18, v27
	v_cvt_f32_i32_e32 v16, v84
	v_pk_fma_f32 v[8:9], v[48:49], v[26:27], v[8:9] op_sel_hi:[1,0,1]
	v_pk_fma_f32 v[6:7], v[20:21], v[26:27], v[6:7] op_sel_hi:[1,0,1]
	v_cvt_f32_i32_e32 v21, v91
	v_cvt_f32_i32_e32 v20, v92
	;; [unrolled: 1-line block ×3, first 2 shown]
	v_pk_fma_f32 v[8:9], v[14:15], v[18:19], v[8:9] op_sel_hi:[1,0,1]
	v_pk_fma_f32 v[6:7], v[22:23], v[18:19], v[6:7] op_sel_hi:[1,0,1]
	s_delay_alu instid0(VALU_DEP_2) | instskip(NEXT) | instid1(VALU_DEP_2)
	v_pk_fma_f32 v[8:9], v[16:17], v[24:25], v[8:9] op_sel_hi:[1,0,1]
	v_pk_fma_f32 v[6:7], v[20:21], v[24:25], v[6:7] op_sel_hi:[1,0,1]
	s_and_not1_b32 exec_lo, exec_lo, s7
	s_cbranch_execnz .LBB75_21
; %bb.22:
	s_or_b32 exec_lo, exec_lo, s7
.LBB75_23:
	s_delay_alu instid0(SALU_CYCLE_1)
	s_or_b32 exec_lo, exec_lo, s6
.LBB75_24:
	s_delay_alu instid0(SALU_CYCLE_1)
	s_or_b32 exec_lo, exec_lo, s3
	s_cbranch_execz .LBB75_26
	s_branch .LBB75_37
.LBB75_25:
                                        ; implicit-def: $vgpr7
                                        ; implicit-def: $vgpr9
.LBB75_26:
	v_dual_mov_b32 v7, 0 :: v_dual_mov_b32 v6, 0
	v_dual_mov_b32 v9, 0 :: v_dual_mov_b32 v8, 0
	s_and_saveexec_b32 s3, s2
	s_cbranch_execz .LBB75_36
; %bb.27:
	v_add_nc_u32_e32 v1, v13, v3
	v_not_b32_e32 v6, v13
	v_mov_b64_e32 v[8:9], 0
	s_mov_b32 s2, exec_lo
	s_delay_alu instid0(VALU_DEP_3) | instskip(NEXT) | instid1(VALU_DEP_1)
	v_subrev_nc_u32_e32 v1, s16, v1
	v_add_max_i32_e64 v1, v1, 4, v12
	s_delay_alu instid0(VALU_DEP_1) | instskip(SKIP_1) | instid1(VALU_DEP_2)
	v_add3_u32 v1, s16, v1, v6
	v_mov_b64_e32 v[6:7], 0
	v_sub_nc_u32_e32 v1, v1, v3
	s_delay_alu instid0(VALU_DEP_1) | instskip(NEXT) | instid1(VALU_DEP_1)
	v_and_b32_e32 v10, 12, v1
	v_cmpx_ne_u32_e32 12, v10
	s_cbranch_execz .LBB75_31
; %bb.28:
	v_dual_lshrrev_b32 v6, 2, v1 :: v_dual_mov_b32 v8, 0
	s_mov_b32 s6, 0
	s_delay_alu instid0(VALU_DEP_1) | instskip(NEXT) | instid1(VALU_DEP_1)
	v_dual_mov_b32 v9, v8 :: v_dual_add_nc_u32 v6, 1, v6
	v_dual_mov_b32 v6, v8 :: v_dual_bitop2_b32 v7, 3, v6 bitop3:0x40
	s_delay_alu instid0(VALU_DEP_1)
	v_dual_mov_b32 v7, v8 :: v_dual_sub_nc_u32 v10, 0, v7
.LBB75_29:                              ; =>This Inner Loop Header: Depth=1
	global_load_b32 v11, v0, s[8:9] scale_offset
	v_add_co_u32 v10, s7, v10, 1
	s_or_b32 s6, s7, s6
	s_wait_xcnt 0x0
	v_add_nc_u32_e32 v0, 4, v0
	s_wait_loadcnt 0x0
	v_subrev_nc_u32_e32 v11, s16, v11
	global_load_b128 v[14:17], v[4:5], off
	s_wait_kmcnt 0x0
	global_load_b32 v13, v11, s[4:5] scale_offset
	s_wait_xcnt 0x1
	v_add_nc_u64_e32 v[4:5], 64, v[4:5]
	s_wait_loadcnt 0x1
	s_wait_xcnt 0x0
	v_bfe_i32 v11, v14, 8, 8
	v_bfe_i32 v18, v14, 0, 8
	;; [unrolled: 1-line block ×8, first 2 shown]
	v_dual_ashrrev_i32 v25, 24, v14 :: v_dual_ashrrev_i32 v27, 24, v15
	v_bfe_i32 v26, v14, 16, 8
	v_bfe_i32 v28, v15, 16, 8
	v_dual_ashrrev_i32 v29, 24, v16 :: v_dual_ashrrev_i32 v31, 24, v17
	v_cvt_f32_i32_e32 v15, v11
	s_wait_loadcnt 0x0
	v_bfe_i32 v11, v13, 0, 8
	v_bfe_i32 v30, v16, 16, 8
	;; [unrolled: 1-line block ×3, first 2 shown]
	v_cvt_f32_i32_e32 v14, v18
	v_cvt_f32_i32_e32 v17, v19
	;; [unrolled: 1-line block ×11, first 2 shown]
	v_bfe_i32 v28, v13, 8, 8
	v_cvt_f32_i32_e32 v26, v11
	v_cvt_f32_i32_e32 v27, v29
	v_bfe_i32 v11, v13, 16, 8
	v_ashrrev_i32_e32 v13, 24, v13
	v_cvt_f32_i32_e32 v28, v28
	s_delay_alu instid0(VALU_DEP_4)
	v_pk_fma_f32 v[8:9], v[14:15], v[26:27], v[8:9] op_sel_hi:[1,0,1]
	v_pk_fma_f32 v[6:7], v[22:23], v[26:27], v[6:7] op_sel_hi:[1,0,1]
	v_cvt_f32_i32_e32 v26, v30
	v_cvt_f32_i32_e32 v14, v11
	;; [unrolled: 1-line block ×3, first 2 shown]
	v_pk_fma_f32 v[8:9], v[16:17], v[28:29], v[8:9] op_sel_hi:[1,0,1]
	v_pk_fma_f32 v[6:7], v[24:25], v[28:29], v[6:7] op_sel_hi:[1,0,1]
	v_cvt_f32_i32_e32 v17, v31
	v_cvt_f32_i32_e32 v16, v32
	s_delay_alu instid0(VALU_DEP_4) | instskip(NEXT) | instid1(VALU_DEP_4)
	v_pk_fma_f32 v[8:9], v[18:19], v[14:15], v[8:9] op_sel_hi:[1,0,1]
	v_pk_fma_f32 v[6:7], v[26:27], v[14:15], v[6:7] op_sel_hi:[1,0,1]
	s_delay_alu instid0(VALU_DEP_2) | instskip(NEXT) | instid1(VALU_DEP_2)
	v_pk_fma_f32 v[8:9], v[20:21], v[22:23], v[8:9] op_sel_hi:[1,0,1]
	v_pk_fma_f32 v[6:7], v[16:17], v[22:23], v[6:7] op_sel_hi:[1,0,1]
	s_and_not1_b32 exec_lo, exec_lo, s6
	s_cbranch_execnz .LBB75_29
; %bb.30:
	s_or_b32 exec_lo, exec_lo, s6
.LBB75_31:
	s_delay_alu instid0(SALU_CYCLE_1) | instskip(NEXT) | instid1(SALU_CYCLE_1)
	s_or_b32 exec_lo, exec_lo, s2
	s_mov_b32 s2, exec_lo
	v_cmpx_lt_u32_e32 11, v1
	s_cbranch_execz .LBB75_35
; %bb.32:
	s_mov_b32 s6, 0
.LBB75_33:                              ; =>This Inner Loop Header: Depth=1
	s_clause 0x3
	global_load_b32 v1, v0, s[8:9] scale_offset
	global_load_b32 v10, v0, s[8:9] offset:16 scale_offset
	global_load_b32 v11, v0, s[8:9] offset:32 scale_offset
	;; [unrolled: 1-line block ×3, first 2 shown]
	s_clause 0x2
	global_load_b128 v[14:17], v[4:5], off
	global_load_b128 v[18:21], v[4:5], off offset:64
	global_load_b128 v[22:25], v[4:5], off offset:128
	s_wait_xcnt 0x3
	v_add_nc_u32_e32 v0, 16, v0
	s_delay_alu instid0(VALU_DEP_1)
	v_cmp_ge_i32_e32 vcc_lo, v0, v12
	s_or_b32 s6, vcc_lo, s6
	s_wait_loadcnt 0x6
	v_subrev_nc_u32_e32 v1, s16, v1
	s_wait_loadcnt 0x5
	v_subrev_nc_u32_e32 v10, s16, v10
	;; [unrolled: 2-line block ×4, first 2 shown]
	s_wait_kmcnt 0x0
	s_clause 0x2
	global_load_b32 v30, v1, s[4:5] scale_offset
	global_load_b32 v47, v10, s[4:5] scale_offset
	;; [unrolled: 1-line block ×3, first 2 shown]
	global_load_b128 v[26:29], v[4:5], off offset:192
	global_load_b32 v50, v13, s[4:5] scale_offset
	s_wait_loadcnt 0x7
	s_wait_xcnt 0x4
	v_bfe_i32 v1, v14, 8, 8
	s_wait_xcnt 0x3
	v_bfe_i32 v10, v14, 0, 8
	;; [unrolled: 2-line block ×3, first 2 shown]
	v_bfe_i32 v31, v15, 0, 8
	v_dual_ashrrev_i32 v36, 24, v14 :: v_dual_ashrrev_i32 v38, 24, v15
	v_cvt_f32_i32_e32 v11, v1
	v_bfe_i32 v37, v14, 16, 8
	v_bfe_i32 v15, v15, 16, 8
	v_cvt_f32_i32_e32 v10, v10
	s_wait_loadcnt 0x5
	v_ashrrev_i32_e32 v65, 24, v22
	v_bfe_i32 v32, v16, 8, 8
	v_bfe_i32 v33, v16, 0, 8
	v_dual_ashrrev_i32 v39, 24, v16 :: v_dual_ashrrev_i32 v40, 24, v17
	v_bfe_i32 v16, v16, 16, 8
	v_bfe_i32 v34, v17, 8, 8
	;; [unrolled: 1-line block ×6, first 2 shown]
	v_dual_ashrrev_i32 v52, 24, v18 :: v_dual_ashrrev_i32 v54, 24, v19
	v_bfe_i32 v53, v18, 16, 8
	v_bfe_i32 v43, v19, 8, 8
	;; [unrolled: 1-line block ×8, first 2 shown]
	v_dual_ashrrev_i32 v56, 24, v20 :: v_dual_ashrrev_i32 v58, 24, v21
	v_bfe_i32 v57, v20, 16, 8
	v_bfe_i32 v59, v21, 16, 8
	v_cvt_f32_i32_e32 v21, v52
	v_cvt_f32_i32_e32 v20, v53
	v_bfe_i32 v60, v22, 8, 8
	v_bfe_i32 v61, v22, 0, 8
	;; [unrolled: 1-line block ×5, first 2 shown]
	v_dual_ashrrev_i32 v66, 24, v24 :: v_dual_ashrrev_i32 v68, 24, v25
	v_bfe_i32 v67, v24, 16, 8
	v_bfe_i32 v69, v25, 16, 8
	v_cvt_f32_i32_e32 v19, v48
	v_cvt_f32_i32_e32 v18, v51
	v_add_nc_u64_e32 v[4:5], 0x100, v[4:5]
	s_wait_loadcnt 0x4
	v_bfe_i32 v1, v30, 0, 8
	s_wait_loadcnt 0x1
	v_bfe_i32 v70, v26, 8, 8
	v_bfe_i32 v71, v26, 0, 8
	s_delay_alu instid0(VALU_DEP_3)
	v_cvt_f32_i32_e32 v14, v1
	v_bfe_i32 v1, v24, 0, 8
	v_cvt_f32_i32_e32 v24, v57
	v_bfe_i32 v72, v27, 8, 8
	v_bfe_i32 v73, v27, 0, 8
	v_pk_fma_f32 v[8:9], v[10:11], v[14:15], v[8:9] op_sel_hi:[1,0,1]
	v_cvt_f32_i32_e32 v11, v36
	v_cvt_f32_i32_e32 v10, v37
	v_bfe_i32 v36, v25, 8, 8
	v_bfe_i32 v37, v25, 0, 8
	v_cvt_f32_i32_e32 v25, v56
	v_dual_ashrrev_i32 v78, 24, v26 :: v_dual_ashrrev_i32 v82, 24, v28
	v_pk_fma_f32 v[6:7], v[10:11], v[14:15], v[6:7] op_sel_hi:[1,0,1]
	v_cvt_f32_i32_e32 v11, v13
	v_bfe_i32 v13, v30, 8, 8
	v_cvt_f32_i32_e32 v10, v31
	v_bfe_i32 v79, v26, 16, 8
	v_bfe_i32 v81, v27, 16, 8
	v_cvt_f32_i32_e32 v26, v59
	v_cvt_f32_i32_e32 v14, v13
	v_bfe_i32 v13, v22, 16, 8
	v_cvt_f32_i32_e32 v22, v55
	v_bfe_i32 v74, v28, 8, 8
	v_bfe_i32 v75, v28, 0, 8
	v_pk_fma_f32 v[8:9], v[10:11], v[14:15], v[8:9] op_sel_hi:[1,0,1]
	v_cvt_f32_i32_e32 v11, v38
	v_cvt_f32_i32_e32 v10, v15
	v_ashrrev_i32_e32 v15, 24, v23
	v_bfe_i32 v38, v23, 16, 8
	v_cvt_f32_i32_e32 v23, v54
	v_bfe_i32 v76, v29, 8, 8
	v_bfe_i32 v77, v29, 0, 8
	v_pk_fma_f32 v[6:7], v[10:11], v[14:15], v[6:7] op_sel_hi:[1,0,1]
	v_bfe_i32 v14, v30, 16, 8
	v_cvt_f32_i32_e32 v11, v32
	v_cvt_f32_i32_e32 v10, v33
	v_cvt_f32_i32_e32 v32, v1
	v_bfe_i32 v1, v47, 8, 8
	v_cvt_f32_i32_e32 v14, v14
	v_ashrrev_i32_e32 v80, 24, v27
	v_cvt_f32_i32_e32 v27, v58
	v_bfe_i32 v83, v28, 16, 8
	v_ashrrev_i32_e32 v84, 24, v29
	v_pk_fma_f32 v[8:9], v[10:11], v[14:15], v[8:9] op_sel_hi:[1,0,1]
	v_cvt_f32_i32_e32 v11, v39
	v_cvt_f32_i32_e32 v10, v16
	;; [unrolled: 1-line block ×4, first 2 shown]
	v_ashrrev_i32_e32 v1, 24, v47
	v_bfe_i32 v85, v29, 16, 8
	v_pk_fma_f32 v[6:7], v[10:11], v[14:15], v[6:7] op_sel_hi:[1,0,1]
	v_ashrrev_i32_e32 v14, 24, v30
	v_cvt_f32_i32_e32 v11, v34
	v_cvt_f32_i32_e32 v10, v35
	;; [unrolled: 1-line block ×5, first 2 shown]
	v_bfe_i32 v13, v47, 16, 8
	v_cvt_f32_i32_e32 v29, v60
	v_cvt_f32_i32_e32 v28, v61
	;; [unrolled: 1-line block ×3, first 2 shown]
	v_pk_fma_f32 v[8:9], v[10:11], v[14:15], v[8:9] op_sel_hi:[1,0,1]
	v_cvt_f32_i32_e32 v11, v40
	v_cvt_f32_i32_e32 v10, v17
	;; [unrolled: 1-line block ×4, first 2 shown]
	v_bfe_i32 v13, v49, 0, 8
	v_cvt_f32_i32_e32 v37, v65
	v_pk_fma_f32 v[6:7], v[10:11], v[14:15], v[6:7] op_sel_hi:[1,0,1]
	v_bfe_i32 v14, v47, 0, 8
	v_cvt_f32_i32_e32 v11, v41
	v_cvt_f32_i32_e32 v10, v42
	;; [unrolled: 1-line block ×9, first 2 shown]
	v_pk_fma_f32 v[8:9], v[10:11], v[14:15], v[8:9] op_sel_hi:[1,0,1]
	v_cvt_f32_i32_e32 v11, v43
	v_cvt_f32_i32_e32 v10, v44
	v_pk_fma_f32 v[6:7], v[20:21], v[14:15], v[6:7] op_sel_hi:[1,0,1]
	v_cvt_f32_i32_e32 v40, v67
	v_cvt_f32_i32_e32 v43, v68
	;; [unrolled: 1-line block ×3, first 2 shown]
	v_pk_fma_f32 v[8:9], v[10:11], v[46:47], v[8:9] op_sel_hi:[1,0,1]
	v_pk_fma_f32 v[6:7], v[22:23], v[46:47], v[6:7] op_sel_hi:[1,0,1]
	v_cvt_f32_i32_e32 v22, v1
	v_bfe_i32 v1, v49, 8, 8
	v_cvt_f32_i32_e32 v45, v70
	v_pk_fma_f32 v[8:9], v[16:17], v[48:49], v[8:9] op_sel_hi:[1,0,1]
	v_pk_fma_f32 v[6:7], v[24:25], v[48:49], v[6:7] op_sel_hi:[1,0,1]
	v_cvt_f32_i32_e32 v16, v13
	v_cvt_f32_i32_e32 v17, v78
	v_bfe_i32 v13, v49, 16, 8
	v_pk_fma_f32 v[8:9], v[18:19], v[22:23], v[8:9] op_sel_hi:[1,0,1]
	v_pk_fma_f32 v[6:7], v[26:27], v[22:23], v[6:7] op_sel_hi:[1,0,1]
	v_cvt_f32_i32_e32 v18, v1
	v_ashrrev_i32_e32 v1, 24, v49
	v_cvt_f32_i32_e32 v22, v13
	v_pk_fma_f32 v[8:9], v[28:29], v[16:17], v[8:9] op_sel_hi:[1,0,1]
	v_pk_fma_f32 v[6:7], v[36:37], v[16:17], v[6:7] op_sel_hi:[1,0,1]
	s_wait_loadcnt 0x0
	v_bfe_i32 v13, v50, 0, 8
	v_cvt_f32_i32_e32 v24, v1
	v_cvt_f32_i32_e32 v44, v71
	v_pk_fma_f32 v[8:9], v[30:31], v[18:19], v[8:9] op_sel_hi:[1,0,1]
	v_pk_fma_f32 v[6:7], v[38:39], v[18:19], v[6:7] op_sel_hi:[1,0,1]
	v_cvt_f32_i32_e32 v16, v79
	v_bfe_i32 v1, v50, 8, 8
	v_cvt_f32_i32_e32 v15, v72
	v_pk_fma_f32 v[8:9], v[32:33], v[22:23], v[8:9] op_sel_hi:[1,0,1]
	v_pk_fma_f32 v[6:7], v[40:41], v[22:23], v[6:7] op_sel_hi:[1,0,1]
	v_cvt_f32_i32_e32 v22, v13
	v_cvt_f32_i32_e32 v23, v82
	;; [unrolled: 1-line block ×3, first 2 shown]
	v_pk_fma_f32 v[8:9], v[34:35], v[24:25], v[8:9] op_sel_hi:[1,0,1]
	v_pk_fma_f32 v[6:7], v[42:43], v[24:25], v[6:7] op_sel_hi:[1,0,1]
	v_cvt_f32_i32_e32 v19, v80
	v_cvt_f32_i32_e32 v18, v81
	v_bfe_i32 v13, v50, 16, 8
	v_cvt_f32_i32_e32 v24, v1
	v_pk_fma_f32 v[8:9], v[44:45], v[22:23], v[8:9] op_sel_hi:[1,0,1]
	v_pk_fma_f32 v[6:7], v[16:17], v[22:23], v[6:7] op_sel_hi:[1,0,1]
	v_cvt_f32_i32_e32 v21, v74
	v_cvt_f32_i32_e32 v20, v75
	v_cvt_f32_i32_e32 v22, v83
	v_ashrrev_i32_e32 v1, 24, v50
	v_cvt_f32_i32_e32 v16, v13
	v_pk_fma_f32 v[8:9], v[14:15], v[24:25], v[8:9] op_sel_hi:[1,0,1]
	v_pk_fma_f32 v[6:7], v[18:19], v[24:25], v[6:7] op_sel_hi:[1,0,1]
	v_cvt_f32_i32_e32 v11, v76
	v_cvt_f32_i32_e32 v10, v77
	;; [unrolled: 1-line block ×5, first 2 shown]
	v_pk_fma_f32 v[8:9], v[20:21], v[16:17], v[8:9] op_sel_hi:[1,0,1]
	v_pk_fma_f32 v[6:7], v[22:23], v[16:17], v[6:7] op_sel_hi:[1,0,1]
	s_delay_alu instid0(VALU_DEP_2) | instskip(NEXT) | instid1(VALU_DEP_2)
	v_pk_fma_f32 v[8:9], v[10:11], v[18:19], v[8:9] op_sel_hi:[1,0,1]
	v_pk_fma_f32 v[6:7], v[14:15], v[18:19], v[6:7] op_sel_hi:[1,0,1]
	s_and_not1_b32 exec_lo, exec_lo, s6
	s_cbranch_execnz .LBB75_33
; %bb.34:
	s_or_b32 exec_lo, exec_lo, s6
.LBB75_35:
	s_delay_alu instid0(SALU_CYCLE_1)
	s_or_b32 exec_lo, exec_lo, s2
.LBB75_36:
	s_delay_alu instid0(SALU_CYCLE_1)
	s_or_b32 exec_lo, exec_lo, s3
.LBB75_37:
	v_mbcnt_lo_u32_b32 v10, -1, 0
	s_mov_b32 s2, -1
	s_delay_alu instid0(VALU_DEP_1) | instskip(SKIP_1) | instid1(VALU_DEP_1)
	v_xor_b32_e32 v11, 1, v10
	v_xor_b32_e32 v0, 2, v10
	v_cmp_gt_i32_e32 vcc_lo, 32, v0
	v_cndmask_b32_e32 v0, v10, v0, vcc_lo
	s_delay_alu instid0(VALU_DEP_4) | instskip(SKIP_2) | instid1(VALU_DEP_2)
	v_cmp_gt_i32_e32 vcc_lo, 32, v11
	v_cndmask_b32_e32 v10, v10, v11, vcc_lo
	v_cmp_eq_u32_e32 vcc_lo, 3, v3
	v_dual_lshlrev_b32 v10, 2, v10 :: v_dual_lshlrev_b32 v5, 2, v0
	ds_bpermute_b32 v0, v5, v8
	ds_bpermute_b32 v1, v5, v9
	;; [unrolled: 1-line block ×4, first 2 shown]
	s_wait_dscnt 0x2
	v_pk_add_f32 v[0:1], v[8:9], v[0:1]
	s_wait_dscnt 0x0
	v_pk_add_f32 v[6:7], v[6:7], v[4:5]
	ds_bpermute_b32 v4, v10, v0
	ds_bpermute_b32 v5, v10, v1
	;; [unrolled: 1-line block ×4, first 2 shown]
	s_and_b32 exec_lo, exec_lo, vcc_lo
	s_cbranch_execz .LBB75_10
; %bb.38:
	s_load_b64 s[0:1], s[0:1], 0x50
	s_wait_dscnt 0x2
	v_pk_add_f32 v[4:5], v[0:1], v[4:5]
	s_wait_dscnt 0x0
	v_pk_add_f32 v[0:1], v[6:7], v[8:9]
	v_lshlrev_b32_e32 v2, 2, v2
	s_cmp_eq_f32 s14, 0
	s_cbranch_scc0 .LBB75_40
; %bb.39:
	s_delay_alu instid0(VALU_DEP_1)
	v_ashrrev_i32_e32 v3, 31, v2
	v_pk_mul_f32 v[6:7], s[12:13], v[4:5] op_sel_hi:[0,1]
	v_pk_mul_f32 v[8:9], s[12:13], v[0:1] op_sel_hi:[0,1]
	s_mov_b32 s2, 0
	s_wait_kmcnt 0x0
	v_lshl_add_u64 v[10:11], v[2:3], 2, s[0:1]
	global_store_b128 v[10:11], v[6:9], off
.LBB75_40:
	s_and_not1_b32 vcc_lo, exec_lo, s2
	s_cbranch_vccnz .LBB75_10
; %bb.41:
	v_ashrrev_i32_e32 v3, 31, v2
	s_wait_kmcnt 0x0
	s_delay_alu instid0(VALU_DEP_1)
	v_lshl_add_u64 v[10:11], v[2:3], 2, s[0:1]
	v_pk_mul_f32 v[2:3], s[12:13], v[4:5] op_sel_hi:[0,1]
	v_pk_mul_f32 v[4:5], s[12:13], v[0:1] op_sel_hi:[0,1]
	global_load_b128 v[6:9], v[10:11], off
	s_wait_loadcnt 0x0
	v_pk_fma_f32 v[0:1], s[14:15], v[6:7], v[2:3] op_sel_hi:[0,1,1]
	v_pk_fma_f32 v[2:3], s[14:15], v[8:9], v[4:5] op_sel_hi:[0,1,1]
	global_store_b128 v[10:11], v[0:3], off
	s_sendmsg sendmsg(MSG_DEALLOC_VGPRS)
	s_endpgm
	.section	.rodata,"a",@progbits
	.p2align	6, 0x0
	.amdhsa_kernel _ZN9rocsparseL18bsrxmvn_4x4_kernelILj128ELj4EfiiaafEEvT3_20rocsparse_direction_NS_24const_host_device_scalarIT1_EES1_PKS1_PKT2_SA_S7_PKT4_PKT5_S5_PT6_21rocsparse_index_base_b
		.amdhsa_group_segment_fixed_size 0
		.amdhsa_private_segment_fixed_size 0
		.amdhsa_kernarg_size 96
		.amdhsa_user_sgpr_count 2
		.amdhsa_user_sgpr_dispatch_ptr 0
		.amdhsa_user_sgpr_queue_ptr 0
		.amdhsa_user_sgpr_kernarg_segment_ptr 1
		.amdhsa_user_sgpr_dispatch_id 0
		.amdhsa_user_sgpr_kernarg_preload_length 0
		.amdhsa_user_sgpr_kernarg_preload_offset 0
		.amdhsa_user_sgpr_private_segment_size 0
		.amdhsa_wavefront_size32 1
		.amdhsa_uses_dynamic_stack 0
		.amdhsa_enable_private_segment 0
		.amdhsa_system_sgpr_workgroup_id_x 1
		.amdhsa_system_sgpr_workgroup_id_y 0
		.amdhsa_system_sgpr_workgroup_id_z 0
		.amdhsa_system_sgpr_workgroup_info 0
		.amdhsa_system_vgpr_workitem_id 0
		.amdhsa_next_free_vgpr 93
		.amdhsa_next_free_sgpr 18
		.amdhsa_named_barrier_count 0
		.amdhsa_reserve_vcc 1
		.amdhsa_float_round_mode_32 0
		.amdhsa_float_round_mode_16_64 0
		.amdhsa_float_denorm_mode_32 3
		.amdhsa_float_denorm_mode_16_64 3
		.amdhsa_fp16_overflow 0
		.amdhsa_memory_ordered 1
		.amdhsa_forward_progress 1
		.amdhsa_inst_pref_size 39
		.amdhsa_round_robin_scheduling 0
		.amdhsa_exception_fp_ieee_invalid_op 0
		.amdhsa_exception_fp_denorm_src 0
		.amdhsa_exception_fp_ieee_div_zero 0
		.amdhsa_exception_fp_ieee_overflow 0
		.amdhsa_exception_fp_ieee_underflow 0
		.amdhsa_exception_fp_ieee_inexact 0
		.amdhsa_exception_int_div_zero 0
	.end_amdhsa_kernel
	.section	.text._ZN9rocsparseL18bsrxmvn_4x4_kernelILj128ELj4EfiiaafEEvT3_20rocsparse_direction_NS_24const_host_device_scalarIT1_EES1_PKS1_PKT2_SA_S7_PKT4_PKT5_S5_PT6_21rocsparse_index_base_b,"axG",@progbits,_ZN9rocsparseL18bsrxmvn_4x4_kernelILj128ELj4EfiiaafEEvT3_20rocsparse_direction_NS_24const_host_device_scalarIT1_EES1_PKS1_PKT2_SA_S7_PKT4_PKT5_S5_PT6_21rocsparse_index_base_b,comdat
.Lfunc_end75:
	.size	_ZN9rocsparseL18bsrxmvn_4x4_kernelILj128ELj4EfiiaafEEvT3_20rocsparse_direction_NS_24const_host_device_scalarIT1_EES1_PKS1_PKT2_SA_S7_PKT4_PKT5_S5_PT6_21rocsparse_index_base_b, .Lfunc_end75-_ZN9rocsparseL18bsrxmvn_4x4_kernelILj128ELj4EfiiaafEEvT3_20rocsparse_direction_NS_24const_host_device_scalarIT1_EES1_PKS1_PKT2_SA_S7_PKT4_PKT5_S5_PT6_21rocsparse_index_base_b
                                        ; -- End function
	.set _ZN9rocsparseL18bsrxmvn_4x4_kernelILj128ELj4EfiiaafEEvT3_20rocsparse_direction_NS_24const_host_device_scalarIT1_EES1_PKS1_PKT2_SA_S7_PKT4_PKT5_S5_PT6_21rocsparse_index_base_b.num_vgpr, 93
	.set _ZN9rocsparseL18bsrxmvn_4x4_kernelILj128ELj4EfiiaafEEvT3_20rocsparse_direction_NS_24const_host_device_scalarIT1_EES1_PKS1_PKT2_SA_S7_PKT4_PKT5_S5_PT6_21rocsparse_index_base_b.num_agpr, 0
	.set _ZN9rocsparseL18bsrxmvn_4x4_kernelILj128ELj4EfiiaafEEvT3_20rocsparse_direction_NS_24const_host_device_scalarIT1_EES1_PKS1_PKT2_SA_S7_PKT4_PKT5_S5_PT6_21rocsparse_index_base_b.numbered_sgpr, 18
	.set _ZN9rocsparseL18bsrxmvn_4x4_kernelILj128ELj4EfiiaafEEvT3_20rocsparse_direction_NS_24const_host_device_scalarIT1_EES1_PKS1_PKT2_SA_S7_PKT4_PKT5_S5_PT6_21rocsparse_index_base_b.num_named_barrier, 0
	.set _ZN9rocsparseL18bsrxmvn_4x4_kernelILj128ELj4EfiiaafEEvT3_20rocsparse_direction_NS_24const_host_device_scalarIT1_EES1_PKS1_PKT2_SA_S7_PKT4_PKT5_S5_PT6_21rocsparse_index_base_b.private_seg_size, 0
	.set _ZN9rocsparseL18bsrxmvn_4x4_kernelILj128ELj4EfiiaafEEvT3_20rocsparse_direction_NS_24const_host_device_scalarIT1_EES1_PKS1_PKT2_SA_S7_PKT4_PKT5_S5_PT6_21rocsparse_index_base_b.uses_vcc, 1
	.set _ZN9rocsparseL18bsrxmvn_4x4_kernelILj128ELj4EfiiaafEEvT3_20rocsparse_direction_NS_24const_host_device_scalarIT1_EES1_PKS1_PKT2_SA_S7_PKT4_PKT5_S5_PT6_21rocsparse_index_base_b.uses_flat_scratch, 0
	.set _ZN9rocsparseL18bsrxmvn_4x4_kernelILj128ELj4EfiiaafEEvT3_20rocsparse_direction_NS_24const_host_device_scalarIT1_EES1_PKS1_PKT2_SA_S7_PKT4_PKT5_S5_PT6_21rocsparse_index_base_b.has_dyn_sized_stack, 0
	.set _ZN9rocsparseL18bsrxmvn_4x4_kernelILj128ELj4EfiiaafEEvT3_20rocsparse_direction_NS_24const_host_device_scalarIT1_EES1_PKS1_PKT2_SA_S7_PKT4_PKT5_S5_PT6_21rocsparse_index_base_b.has_recursion, 0
	.set _ZN9rocsparseL18bsrxmvn_4x4_kernelILj128ELj4EfiiaafEEvT3_20rocsparse_direction_NS_24const_host_device_scalarIT1_EES1_PKS1_PKT2_SA_S7_PKT4_PKT5_S5_PT6_21rocsparse_index_base_b.has_indirect_call, 0
	.section	.AMDGPU.csdata,"",@progbits
; Kernel info:
; codeLenInByte = 4920
; TotalNumSgprs: 20
; NumVgprs: 93
; ScratchSize: 0
; MemoryBound: 0
; FloatMode: 240
; IeeeMode: 1
; LDSByteSize: 0 bytes/workgroup (compile time only)
; SGPRBlocks: 0
; VGPRBlocks: 5
; NumSGPRsForWavesPerEU: 20
; NumVGPRsForWavesPerEU: 93
; NamedBarCnt: 0
; Occupancy: 10
; WaveLimiterHint : 1
; COMPUTE_PGM_RSRC2:SCRATCH_EN: 0
; COMPUTE_PGM_RSRC2:USER_SGPR: 2
; COMPUTE_PGM_RSRC2:TRAP_HANDLER: 0
; COMPUTE_PGM_RSRC2:TGID_X_EN: 1
; COMPUTE_PGM_RSRC2:TGID_Y_EN: 0
; COMPUTE_PGM_RSRC2:TGID_Z_EN: 0
; COMPUTE_PGM_RSRC2:TIDIG_COMP_CNT: 0
	.section	.text._ZN9rocsparseL18bsrxmvn_4x4_kernelILj128ELj8EfiiaafEEvT3_20rocsparse_direction_NS_24const_host_device_scalarIT1_EES1_PKS1_PKT2_SA_S7_PKT4_PKT5_S5_PT6_21rocsparse_index_base_b,"axG",@progbits,_ZN9rocsparseL18bsrxmvn_4x4_kernelILj128ELj8EfiiaafEEvT3_20rocsparse_direction_NS_24const_host_device_scalarIT1_EES1_PKS1_PKT2_SA_S7_PKT4_PKT5_S5_PT6_21rocsparse_index_base_b,comdat
	.globl	_ZN9rocsparseL18bsrxmvn_4x4_kernelILj128ELj8EfiiaafEEvT3_20rocsparse_direction_NS_24const_host_device_scalarIT1_EES1_PKS1_PKT2_SA_S7_PKT4_PKT5_S5_PT6_21rocsparse_index_base_b ; -- Begin function _ZN9rocsparseL18bsrxmvn_4x4_kernelILj128ELj8EfiiaafEEvT3_20rocsparse_direction_NS_24const_host_device_scalarIT1_EES1_PKS1_PKT2_SA_S7_PKT4_PKT5_S5_PT6_21rocsparse_index_base_b
	.p2align	8
	.type	_ZN9rocsparseL18bsrxmvn_4x4_kernelILj128ELj8EfiiaafEEvT3_20rocsparse_direction_NS_24const_host_device_scalarIT1_EES1_PKS1_PKT2_SA_S7_PKT4_PKT5_S5_PT6_21rocsparse_index_base_b,@function
_ZN9rocsparseL18bsrxmvn_4x4_kernelILj128ELj8EfiiaafEEvT3_20rocsparse_direction_NS_24const_host_device_scalarIT1_EES1_PKS1_PKT2_SA_S7_PKT4_PKT5_S5_PT6_21rocsparse_index_base_b: ; @_ZN9rocsparseL18bsrxmvn_4x4_kernelILj128ELj8EfiiaafEEvT3_20rocsparse_direction_NS_24const_host_device_scalarIT1_EES1_PKS1_PKT2_SA_S7_PKT4_PKT5_S5_PT6_21rocsparse_index_base_b
; %bb.0:
	s_clause 0x2
	s_load_b64 s[16:17], s[0:1], 0x58
	s_load_b64 s[12:13], s[0:1], 0x8
	;; [unrolled: 1-line block ×3, first 2 shown]
	s_wait_kmcnt 0x0
	s_bitcmp1_b32 s17, 0
	s_cselect_b32 s2, -1, 0
	s_delay_alu instid0(SALU_CYCLE_1)
	s_and_b32 vcc_lo, exec_lo, s2
	s_xor_b32 s2, s2, -1
	s_cbranch_vccnz .LBB76_2
; %bb.1:
	s_load_b32 s12, s[12:13], 0x0
.LBB76_2:
	s_and_not1_b32 vcc_lo, exec_lo, s2
	s_cbranch_vccnz .LBB76_4
; %bb.3:
	s_load_b32 s14, s[14:15], 0x0
.LBB76_4:
	s_wait_kmcnt 0x0
	s_cmp_neq_f32 s12, 0
	s_mov_b32 s6, 0
	s_cselect_b32 s2, -1, 0
	s_cmp_neq_f32 s14, 1.0
	s_cselect_b32 s3, -1, 0
	s_delay_alu instid0(SALU_CYCLE_1) | instskip(NEXT) | instid1(SALU_CYCLE_1)
	s_or_b32 s2, s2, s3
	s_and_not1_b32 vcc_lo, exec_lo, s2
	s_cbranch_vccnz .LBB76_10
; %bb.5:
	s_clause 0x1
	s_load_b64 s[4:5], s[0:1], 0x18
	s_load_b64 s[2:3], s[0:1], 0x0
	s_bfe_u32 s7, ttmp6, 0x4000c
	s_and_b32 s8, ttmp6, 15
	s_add_co_i32 s7, s7, 1
	s_getreg_b32 s9, hwreg(HW_REG_IB_STS2, 6, 4)
	s_mul_i32 s7, ttmp9, s7
	v_lshrrev_b32_e32 v1, 3, v0
	s_add_co_i32 s8, s8, s7
	s_cmp_eq_u32 s9, 0
	s_cselect_b32 s7, ttmp9, s8
	s_delay_alu instid0(VALU_DEP_1) | instid1(SALU_CYCLE_1)
	v_lshl_or_b32 v2, s7, 4, v1
	s_wait_kmcnt 0x0
	s_cmp_lg_u64 s[4:5], 0
	s_cbranch_scc0 .LBB76_11
; %bb.6:
	s_load_b32 s6, s[0:1], 0x10
	s_mov_b32 s7, 0
                                        ; implicit-def: $vgpr1
	s_wait_kmcnt 0x0
	v_cmp_gt_i32_e32 vcc_lo, s6, v2
	s_mov_b32 s6, 0
	s_and_saveexec_b32 s8, vcc_lo
	s_delay_alu instid0(SALU_CYCLE_1)
	s_xor_b32 s8, exec_lo, s8
	s_cbranch_execz .LBB76_8
; %bb.7:
	global_load_b32 v1, v2, s[4:5] scale_offset
	s_mov_b32 s6, exec_lo
	s_wait_loadcnt 0x0
	v_subrev_nc_u32_e32 v1, s16, v1
.LBB76_8:
	s_or_b32 exec_lo, exec_lo, s8
	s_delay_alu instid0(SALU_CYCLE_1)
	s_and_b32 vcc_lo, exec_lo, s7
	s_cbranch_vccz .LBB76_12
.LBB76_9:
	v_cmp_gt_i32_e32 vcc_lo, s2, v2
	s_and_not1_b32 s2, s6, exec_lo
	s_and_b32 s4, vcc_lo, exec_lo
	s_delay_alu instid0(SALU_CYCLE_1) | instskip(NEXT) | instid1(SALU_CYCLE_1)
	s_or_b32 s6, s2, s4
	s_and_saveexec_b32 s2, s6
	s_cbranch_execnz .LBB76_13
.LBB76_10:
	s_sendmsg sendmsg(MSG_DEALLOC_VGPRS)
	s_endpgm
.LBB76_11:
                                        ; implicit-def: $vgpr1
	s_cbranch_execnz .LBB76_9
.LBB76_12:
	s_delay_alu instid0(VALU_DEP_1)
	v_mov_b32_e32 v2, v1
	s_and_saveexec_b32 s2, s6
	s_cbranch_execz .LBB76_10
.LBB76_13:
	s_load_b256 s[4:11], s[0:1], 0x20
	s_wait_kmcnt 0x0
	s_cmp_eq_u64 s[6:7], 0
	global_load_b32 v13, v2, s[4:5] scale_offset
	s_cselect_b32 vcc_lo, -1, 0
	v_ashrrev_i32_e32 v3, 31, v2
	s_cmp_eq_u32 s3, 1
	s_delay_alu instid0(VALU_DEP_1) | instskip(SKIP_1) | instid1(VALU_DEP_2)
	v_lshlrev_b64_e32 v[4:5], 2, v[2:3]
	v_and_b32_e32 v3, 7, v0
	v_add_nc_u64_e32 v[6:7], s[4:5], v[4:5]
	v_add_nc_u64_e32 v[4:5], s[6:7], v[4:5]
	s_wait_xcnt 0x0
	s_load_b64 s[4:5], s[0:1], 0x40
	s_delay_alu instid0(VALU_DEP_2) | instskip(NEXT) | instid1(VALU_DEP_1)
	v_add_nc_u64_e32 v[6:7], 4, v[6:7]
	v_dual_cndmask_b32 v5, v5, v7 :: v_dual_cndmask_b32 v4, v4, v6
	global_load_b32 v4, v[4:5], off
	s_wait_loadcnt 0x1
	v_subrev_nc_u32_e32 v0, s16, v13
	s_delay_alu instid0(VALU_DEP_1) | instskip(NEXT) | instid1(VALU_DEP_1)
	v_add_nc_u32_e32 v0, v0, v3
	v_ashrrev_i32_e32 v1, 31, v0
	s_wait_loadcnt 0x0
	v_subrev_nc_u32_e32 v12, s16, v4
	s_delay_alu instid0(VALU_DEP_2) | instskip(NEXT) | instid1(VALU_DEP_2)
	v_lshl_add_u64 v[4:5], v[0:1], 4, s[10:11]
	v_cmp_lt_i32_e64 s2, v0, v12
	s_cbranch_scc1 .LBB76_25
; %bb.14:
	v_dual_mov_b32 v7, 0 :: v_dual_mov_b32 v6, 0
	v_dual_mov_b32 v9, 0 :: v_dual_mov_b32 v8, 0
	s_and_saveexec_b32 s3, s2
	s_cbranch_execz .LBB76_24
; %bb.15:
	v_add_nc_u32_e32 v1, v13, v3
	v_not_b32_e32 v6, v13
	v_mov_b64_e32 v[8:9], 0
	s_delay_alu instid0(VALU_DEP_3) | instskip(NEXT) | instid1(VALU_DEP_1)
	v_subrev_nc_u32_e32 v1, s16, v1
	v_add_max_i32_e64 v1, v1, 8, v12
	s_delay_alu instid0(VALU_DEP_1) | instskip(SKIP_1) | instid1(VALU_DEP_2)
	v_add3_u32 v1, s16, v1, v6
	v_mov_b64_e32 v[6:7], 0
	v_dual_mov_b32 v1, v0 :: v_dual_sub_nc_u32 v14, v1, v3
	s_delay_alu instid0(VALU_DEP_1) | instskip(NEXT) | instid1(VALU_DEP_1)
	v_and_b32_e32 v10, 24, v14
	v_cmp_ne_u32_e32 vcc_lo, 24, v10
	v_mov_b64_e32 v[10:11], v[4:5]
	s_and_saveexec_b32 s6, vcc_lo
	s_cbranch_execz .LBB76_19
; %bb.16:
	v_dual_mov_b32 v8, 0 :: v_dual_lshrrev_b32 v1, 3, v14
	v_mov_b64_e32 v[10:11], v[4:5]
	s_mov_b32 s7, 0
	s_delay_alu instid0(VALU_DEP_2) | instskip(NEXT) | instid1(VALU_DEP_1)
	v_dual_add_nc_u32 v1, 1, v1 :: v_dual_mov_b32 v9, v8
	v_dual_mov_b32 v1, v0 :: v_dual_bitop2_b32 v7, 3, v1 bitop3:0x40
	s_delay_alu instid0(VALU_DEP_1)
	v_dual_mov_b32 v6, v8 :: v_dual_sub_nc_u32 v15, 0, v7
	v_mov_b32_e32 v7, v8
.LBB76_17:                              ; =>This Inner Loop Header: Depth=1
	global_load_b32 v16, v1, s[8:9] scale_offset
	v_add_co_u32 v15, s10, v15, 1
	s_or_b32 s7, s10, s7
	s_wait_xcnt 0x0
	v_add_nc_u32_e32 v1, 8, v1
	s_wait_loadcnt 0x0
	v_subrev_nc_u32_e32 v20, s16, v16
	global_load_b128 v[16:19], v[10:11], off
	s_wait_kmcnt 0x0
	global_load_b32 v31, v20, s[4:5] scale_offset
	s_wait_xcnt 0x1
	v_add_nc_u64_e32 v[10:11], 0x80, v[10:11]
	s_wait_loadcnt 0x1
	s_wait_xcnt 0x0
	v_bfe_i32 v20, v17, 0, 8
	v_bfe_i32 v25, v16, 16, 8
	v_bfe_i32 v28, v19, 0, 8
	v_bfe_i32 v21, v16, 0, 8
	v_bfe_i32 v22, v17, 8, 8
	v_bfe_i32 v24, v17, 16, 8
	v_dual_ashrrev_i32 v26, 24, v17 :: v_dual_ashrrev_i32 v27, 24, v16
	v_bfe_i32 v29, v18, 0, 8
	v_bfe_i32 v30, v19, 8, 8
	;; [unrolled: 1-line block ×3, first 2 shown]
	v_cvt_f32_i32_e32 v17, v20
	v_cvt_f32_i32_e32 v20, v25
	;; [unrolled: 1-line block ×3, first 2 shown]
	s_wait_loadcnt 0x0
	v_bfe_i32 v28, v31, 0, 8
	v_bfe_i32 v23, v16, 8, 8
	;; [unrolled: 1-line block ×3, first 2 shown]
	v_dual_ashrrev_i32 v35, 24, v19 :: v_dual_ashrrev_i32 v36, 24, v18
	v_cvt_f32_i32_e32 v16, v21
	v_cvt_f32_i32_e32 v19, v22
	;; [unrolled: 1-line block ×6, first 2 shown]
	v_bfe_i32 v30, v31, 8, 8
	v_cvt_f32_i32_e32 v28, v28
	v_cvt_f32_i32_e32 v29, v33
	v_bfe_i32 v34, v18, 16, 8
	v_cvt_f32_i32_e32 v18, v23
	v_cvt_f32_i32_e32 v23, v26
	v_cvt_f32_i32_e32 v26, v32
	v_bfe_i32 v32, v31, 16, 8
	v_cvt_f32_i32_e32 v30, v30
	v_pk_fma_f32 v[8:9], v[16:17], v[28:29], v[8:9] op_sel_hi:[1,0,1]
	v_pk_fma_f32 v[6:7], v[24:25], v[28:29], v[6:7] op_sel_hi:[1,0,1]
	v_cvt_f32_i32_e32 v28, v34
	v_ashrrev_i32_e32 v17, 24, v31
	v_cvt_f32_i32_e32 v16, v32
	v_pk_fma_f32 v[8:9], v[18:19], v[30:31], v[8:9] op_sel_hi:[1,0,1]
	v_pk_fma_f32 v[6:7], v[26:27], v[30:31], v[6:7] op_sel_hi:[1,0,1]
	v_cvt_f32_i32_e32 v19, v35
	v_cvt_f32_i32_e32 v18, v36
	;; [unrolled: 1-line block ×3, first 2 shown]
	v_pk_fma_f32 v[8:9], v[20:21], v[16:17], v[8:9] op_sel_hi:[1,0,1]
	v_pk_fma_f32 v[6:7], v[28:29], v[16:17], v[6:7] op_sel_hi:[1,0,1]
	s_delay_alu instid0(VALU_DEP_2) | instskip(NEXT) | instid1(VALU_DEP_2)
	v_pk_fma_f32 v[8:9], v[22:23], v[24:25], v[8:9] op_sel_hi:[1,0,1]
	v_pk_fma_f32 v[6:7], v[18:19], v[24:25], v[6:7] op_sel_hi:[1,0,1]
	s_and_not1_b32 exec_lo, exec_lo, s7
	s_cbranch_execnz .LBB76_17
; %bb.18:
	s_or_b32 exec_lo, exec_lo, s7
.LBB76_19:
	s_delay_alu instid0(SALU_CYCLE_1) | instskip(NEXT) | instid1(SALU_CYCLE_1)
	s_or_b32 exec_lo, exec_lo, s6
	s_mov_b32 s6, exec_lo
	v_cmpx_lt_u32_e32 23, v14
	s_cbranch_execz .LBB76_23
; %bb.20:
	s_mov_b32 s7, 0
.LBB76_21:                              ; =>This Inner Loop Header: Depth=1
	s_clause 0x3
	global_load_b32 v26, v1, s[8:9] scale_offset
	global_load_b32 v27, v1, s[8:9] offset:32 scale_offset
	global_load_b32 v28, v1, s[8:9] offset:64 scale_offset
	;; [unrolled: 1-line block ×3, first 2 shown]
	s_clause 0x2
	global_load_b128 v[14:17], v[10:11], off
	global_load_b128 v[18:21], v[10:11], off offset:128
	global_load_b128 v[22:25], v[10:11], off offset:256
	s_wait_xcnt 0x3
	v_add_nc_u32_e32 v1, 32, v1
	s_delay_alu instid0(VALU_DEP_1)
	v_cmp_ge_i32_e32 vcc_lo, v1, v12
	s_or_b32 s7, vcc_lo, s7
	s_wait_loadcnt 0x6
	v_subrev_nc_u32_e32 v30, s16, v26
	s_wait_loadcnt 0x5
	v_subrev_nc_u32_e32 v31, s16, v27
	;; [unrolled: 2-line block ×4, first 2 shown]
	s_wait_kmcnt 0x0
	s_clause 0x2
	global_load_b32 v34, v30, s[4:5] scale_offset
	global_load_b32 v50, v31, s[4:5] scale_offset
	;; [unrolled: 1-line block ×3, first 2 shown]
	global_load_b128 v[26:29], v[10:11], off offset:384
	global_load_b32 v52, v33, s[4:5] scale_offset
	s_wait_loadcnt 0x7
	s_wait_xcnt 0x4
	v_bfe_i32 v30, v15, 0, 8
	s_wait_xcnt 0x3
	v_bfe_i32 v31, v14, 0, 8
	v_bfe_i32 v39, v17, 0, 8
	;; [unrolled: 1-line block ×7, first 2 shown]
	v_dual_ashrrev_i32 v17, 24, v17 :: v_dual_ashrrev_i32 v45, 24, v16
	s_wait_xcnt 0x2
	v_bfe_i32 v32, v15, 8, 8
	s_wait_xcnt 0x0
	v_bfe_i32 v33, v14, 8, 8
	v_bfe_i32 v35, v15, 16, 8
	;; [unrolled: 1-line block ×3, first 2 shown]
	v_dual_ashrrev_i32 v37, 24, v15 :: v_dual_ashrrev_i32 v38, 24, v14
	v_cvt_f32_i32_e32 v15, v30
	v_cvt_f32_i32_e32 v14, v31
	s_wait_loadcnt 0x6
	v_bfe_i32 v46, v19, 0, 8
	v_bfe_i32 v47, v18, 0, 8
	;; [unrolled: 1-line block ×6, first 2 shown]
	v_dual_ashrrev_i32 v55, 24, v19 :: v_dual_ashrrev_i32 v56, 24, v18
	v_bfe_i32 v18, v21, 0, 8
	v_bfe_i32 v19, v20, 0, 8
	;; [unrolled: 1-line block ×6, first 2 shown]
	v_dual_ashrrev_i32 v61, 24, v21 :: v_dual_ashrrev_i32 v62, 24, v20
	s_wait_loadcnt 0x5
	v_bfe_i32 v63, v23, 0, 8
	v_bfe_i32 v65, v23, 8, 8
	;; [unrolled: 1-line block ×3, first 2 shown]
	v_ashrrev_i32_e32 v69, 24, v23
	v_cvt_f32_i32_e32 v21, v57
	v_cvt_f32_i32_e32 v20, v58
	;; [unrolled: 1-line block ×3, first 2 shown]
	v_bfe_i32 v64, v22, 0, 8
	v_bfe_i32 v66, v22, 8, 8
	;; [unrolled: 1-line block ×8, first 2 shown]
	v_dual_ashrrev_i32 v75, 24, v25 :: v_dual_ashrrev_i32 v76, 24, v24
	v_cvt_f32_i32_e32 v24, v56
	v_cvt_f32_i32_e32 v31, v63
	;; [unrolled: 1-line block ×3, first 2 shown]
	v_add_nc_u64_e32 v[10:11], 0x200, v[10:11]
	s_wait_loadcnt 0x4
	v_bfe_i32 v16, v34, 0, 8
	s_wait_loadcnt 0x3
	v_bfe_i32 v53, v50, 16, 8
	s_wait_loadcnt 0x1
	v_ashrrev_i32_e32 v83, 24, v27
	v_bfe_i32 v77, v27, 0, 8
	v_cvt_f32_i32_e32 v16, v16
	v_bfe_i32 v78, v26, 0, 8
	v_bfe_i32 v79, v27, 8, 8
	;; [unrolled: 1-line block ×4, first 2 shown]
	v_pk_fma_f32 v[8:9], v[14:15], v[16:17], v[8:9] op_sel_hi:[1,0,1]
	v_cvt_f32_i32_e32 v15, v39
	v_cvt_f32_i32_e32 v14, v40
	v_ashrrev_i32_e32 v39, 24, v22
	v_bfe_i32 v82, v26, 16, 8
	v_dual_ashrrev_i32 v84, 24, v26 :: v_dual_ashrrev_i32 v91, 24, v29
	s_delay_alu instid0(VALU_DEP_4)
	v_pk_fma_f32 v[6:7], v[14:15], v[16:17], v[6:7] op_sel_hi:[1,0,1]
	v_bfe_i32 v16, v34, 8, 8
	v_cvt_f32_i32_e32 v15, v32
	v_cvt_f32_i32_e32 v14, v33
	;; [unrolled: 1-line block ×6, first 2 shown]
	v_ashrrev_i32_e32 v54, 24, v50
	v_bfe_i32 v40, v25, 0, 8
	v_bfe_i32 v85, v29, 0, 8
	v_pk_fma_f32 v[8:9], v[14:15], v[16:17], v[8:9] op_sel_hi:[1,0,1]
	v_cvt_f32_i32_e32 v15, v41
	v_cvt_f32_i32_e32 v14, v42
	v_bfe_i32 v86, v28, 0, 8
	v_bfe_i32 v87, v29, 8, 8
	;; [unrolled: 1-line block ×4, first 2 shown]
	v_pk_fma_f32 v[6:7], v[14:15], v[16:17], v[6:7] op_sel_hi:[1,0,1]
	v_bfe_i32 v16, v34, 16, 8
	v_cvt_f32_i32_e32 v15, v35
	v_cvt_f32_i32_e32 v14, v36
	v_bfe_i32 v90, v28, 16, 8
	v_ashrrev_i32_e32 v92, 24, v28
	v_cvt_f32_i32_e32 v16, v16
	v_cvt_f32_i32_e32 v25, v55
	;; [unrolled: 1-line block ×5, first 2 shown]
	v_pk_fma_f32 v[8:9], v[14:15], v[16:17], v[8:9] op_sel_hi:[1,0,1]
	v_cvt_f32_i32_e32 v15, v43
	v_cvt_f32_i32_e32 v14, v44
	;; [unrolled: 1-line block ×6, first 2 shown]
	v_pk_fma_f32 v[6:7], v[14:15], v[16:17], v[6:7] op_sel_hi:[1,0,1]
	v_ashrrev_i32_e32 v16, 24, v34
	v_cvt_f32_i32_e32 v15, v37
	v_cvt_f32_i32_e32 v14, v38
	;; [unrolled: 1-line block ×9, first 2 shown]
	v_pk_fma_f32 v[8:9], v[14:15], v[16:17], v[8:9] op_sel_hi:[1,0,1]
	v_cvt_f32_i32_e32 v15, v17
	v_cvt_f32_i32_e32 v14, v45
	;; [unrolled: 1-line block ×5, first 2 shown]
	s_delay_alu instid0(VALU_DEP_4)
	v_pk_fma_f32 v[6:7], v[14:15], v[16:17], v[6:7] op_sel_hi:[1,0,1]
	v_bfe_i32 v16, v50, 0, 8
	v_cvt_f32_i32_e32 v15, v46
	v_cvt_f32_i32_e32 v14, v47
	;; [unrolled: 1-line block ×5, first 2 shown]
	s_delay_alu instid0(VALU_DEP_1)
	v_pk_fma_f32 v[8:9], v[14:15], v[16:17], v[8:9] op_sel_hi:[1,0,1]
	v_cvt_f32_i32_e32 v15, v18
	v_cvt_f32_i32_e32 v14, v19
	v_bfe_i32 v17, v50, 8, 8
	v_cvt_f32_i32_e32 v19, v48
	v_cvt_f32_i32_e32 v18, v49
	;; [unrolled: 1-line block ×4, first 2 shown]
	v_pk_fma_f32 v[6:7], v[14:15], v[16:17], v[6:7] op_sel_hi:[1,0,1]
	v_cvt_f32_i32_e32 v16, v17
	v_cvt_f32_i32_e32 v48, v80
	v_cvt_f32_i32_e32 v15, v81
	v_cvt_f32_i32_e32 v14, v82
	s_delay_alu instid0(VALU_DEP_4)
	v_pk_fma_f32 v[8:9], v[18:19], v[16:17], v[8:9] op_sel_hi:[1,0,1]
	v_pk_fma_f32 v[6:7], v[20:21], v[16:17], v[6:7] op_sel_hi:[1,0,1]
	v_bfe_i32 v19, v51, 0, 8
	v_cvt_f32_i32_e32 v18, v54
	v_bfe_i32 v21, v51, 8, 8
	v_pk_fma_f32 v[8:9], v[22:23], v[50:51], v[8:9] op_sel_hi:[1,0,1]
	v_pk_fma_f32 v[6:7], v[26:27], v[50:51], v[6:7] op_sel_hi:[1,0,1]
	v_cvt_f32_i32_e32 v20, v19
	v_bfe_i32 v23, v51, 16, 8
	v_cvt_f32_i32_e32 v22, v21
	v_pk_fma_f32 v[8:9], v[24:25], v[18:19], v[8:9] op_sel_hi:[1,0,1]
	v_pk_fma_f32 v[6:7], v[28:29], v[18:19], v[6:7] op_sel_hi:[1,0,1]
	v_ashrrev_i32_e32 v24, 24, v51
	v_cvt_f32_i32_e32 v19, v85
	v_cvt_f32_i32_e32 v18, v86
	v_pk_fma_f32 v[8:9], v[30:31], v[20:21], v[8:9] op_sel_hi:[1,0,1]
	v_pk_fma_f32 v[6:7], v[38:39], v[20:21], v[6:7] op_sel_hi:[1,0,1]
	v_cvt_f32_i32_e32 v20, v23
	v_cvt_f32_i32_e32 v21, v87
	s_wait_loadcnt 0x0
	v_bfe_i32 v25, v52, 8, 8
	v_pk_fma_f32 v[8:9], v[32:33], v[22:23], v[8:9] op_sel_hi:[1,0,1]
	v_pk_fma_f32 v[6:7], v[40:41], v[22:23], v[6:7] op_sel_hi:[1,0,1]
	v_bfe_i32 v23, v52, 0, 8
	v_cvt_f32_i32_e32 v22, v24
	v_bfe_i32 v27, v52, 16, 8
	v_pk_fma_f32 v[8:9], v[34:35], v[20:21], v[8:9] op_sel_hi:[1,0,1]
	v_pk_fma_f32 v[6:7], v[42:43], v[20:21], v[6:7] op_sel_hi:[1,0,1]
	v_cvt_f32_i32_e32 v24, v23
	v_cvt_f32_i32_e32 v20, v88
	;; [unrolled: 1-line block ×3, first 2 shown]
	v_pk_fma_f32 v[8:9], v[36:37], v[22:23], v[8:9] op_sel_hi:[1,0,1]
	v_pk_fma_f32 v[6:7], v[44:45], v[22:23], v[6:7] op_sel_hi:[1,0,1]
	v_cvt_f32_i32_e32 v23, v89
	v_cvt_f32_i32_e32 v22, v90
	;; [unrolled: 1-line block ×3, first 2 shown]
	v_pk_fma_f32 v[8:9], v[46:47], v[24:25], v[8:9] op_sel_hi:[1,0,1]
	v_pk_fma_f32 v[6:7], v[18:19], v[24:25], v[6:7] op_sel_hi:[1,0,1]
	v_ashrrev_i32_e32 v19, 24, v52
	v_cvt_f32_i32_e32 v18, v27
	v_cvt_f32_i32_e32 v16, v84
	v_pk_fma_f32 v[8:9], v[48:49], v[26:27], v[8:9] op_sel_hi:[1,0,1]
	v_pk_fma_f32 v[6:7], v[20:21], v[26:27], v[6:7] op_sel_hi:[1,0,1]
	v_cvt_f32_i32_e32 v21, v91
	v_cvt_f32_i32_e32 v20, v92
	;; [unrolled: 1-line block ×3, first 2 shown]
	v_pk_fma_f32 v[8:9], v[14:15], v[18:19], v[8:9] op_sel_hi:[1,0,1]
	v_pk_fma_f32 v[6:7], v[22:23], v[18:19], v[6:7] op_sel_hi:[1,0,1]
	s_delay_alu instid0(VALU_DEP_2) | instskip(NEXT) | instid1(VALU_DEP_2)
	v_pk_fma_f32 v[8:9], v[16:17], v[24:25], v[8:9] op_sel_hi:[1,0,1]
	v_pk_fma_f32 v[6:7], v[20:21], v[24:25], v[6:7] op_sel_hi:[1,0,1]
	s_and_not1_b32 exec_lo, exec_lo, s7
	s_cbranch_execnz .LBB76_21
; %bb.22:
	s_or_b32 exec_lo, exec_lo, s7
.LBB76_23:
	s_delay_alu instid0(SALU_CYCLE_1)
	s_or_b32 exec_lo, exec_lo, s6
.LBB76_24:
	s_delay_alu instid0(SALU_CYCLE_1)
	s_or_b32 exec_lo, exec_lo, s3
	s_cbranch_execz .LBB76_26
	s_branch .LBB76_37
.LBB76_25:
                                        ; implicit-def: $vgpr7
                                        ; implicit-def: $vgpr9
.LBB76_26:
	v_dual_mov_b32 v7, 0 :: v_dual_mov_b32 v6, 0
	v_dual_mov_b32 v9, 0 :: v_dual_mov_b32 v8, 0
	s_and_saveexec_b32 s3, s2
	s_cbranch_execz .LBB76_36
; %bb.27:
	v_add_nc_u32_e32 v1, v13, v3
	v_not_b32_e32 v6, v13
	v_mov_b64_e32 v[8:9], 0
	s_mov_b32 s2, exec_lo
	s_delay_alu instid0(VALU_DEP_3) | instskip(NEXT) | instid1(VALU_DEP_1)
	v_subrev_nc_u32_e32 v1, s16, v1
	v_add_max_i32_e64 v1, v1, 8, v12
	s_delay_alu instid0(VALU_DEP_1) | instskip(SKIP_1) | instid1(VALU_DEP_2)
	v_add3_u32 v1, s16, v1, v6
	v_mov_b64_e32 v[6:7], 0
	v_sub_nc_u32_e32 v1, v1, v3
	s_delay_alu instid0(VALU_DEP_1) | instskip(NEXT) | instid1(VALU_DEP_1)
	v_and_b32_e32 v10, 24, v1
	v_cmpx_ne_u32_e32 24, v10
	s_cbranch_execz .LBB76_31
; %bb.28:
	v_dual_lshrrev_b32 v6, 3, v1 :: v_dual_mov_b32 v8, 0
	s_mov_b32 s6, 0
	s_delay_alu instid0(VALU_DEP_1) | instskip(NEXT) | instid1(VALU_DEP_1)
	v_dual_mov_b32 v9, v8 :: v_dual_add_nc_u32 v6, 1, v6
	v_dual_mov_b32 v6, v8 :: v_dual_bitop2_b32 v7, 3, v6 bitop3:0x40
	s_delay_alu instid0(VALU_DEP_1)
	v_dual_mov_b32 v7, v8 :: v_dual_sub_nc_u32 v10, 0, v7
.LBB76_29:                              ; =>This Inner Loop Header: Depth=1
	global_load_b32 v11, v0, s[8:9] scale_offset
	v_add_co_u32 v10, s7, v10, 1
	s_or_b32 s6, s7, s6
	s_wait_xcnt 0x0
	v_add_nc_u32_e32 v0, 8, v0
	s_wait_loadcnt 0x0
	v_subrev_nc_u32_e32 v11, s16, v11
	global_load_b128 v[14:17], v[4:5], off
	s_wait_kmcnt 0x0
	global_load_b32 v13, v11, s[4:5] scale_offset
	s_wait_xcnt 0x1
	v_add_nc_u64_e32 v[4:5], 0x80, v[4:5]
	s_wait_loadcnt 0x1
	s_wait_xcnt 0x0
	v_bfe_i32 v11, v14, 8, 8
	v_bfe_i32 v18, v14, 0, 8
	;; [unrolled: 1-line block ×8, first 2 shown]
	v_dual_ashrrev_i32 v25, 24, v14 :: v_dual_ashrrev_i32 v27, 24, v15
	v_bfe_i32 v26, v14, 16, 8
	v_bfe_i32 v28, v15, 16, 8
	v_dual_ashrrev_i32 v29, 24, v16 :: v_dual_ashrrev_i32 v31, 24, v17
	v_cvt_f32_i32_e32 v15, v11
	s_wait_loadcnt 0x0
	v_bfe_i32 v11, v13, 0, 8
	v_bfe_i32 v30, v16, 16, 8
	;; [unrolled: 1-line block ×3, first 2 shown]
	v_cvt_f32_i32_e32 v14, v18
	v_cvt_f32_i32_e32 v17, v19
	;; [unrolled: 1-line block ×11, first 2 shown]
	v_bfe_i32 v28, v13, 8, 8
	v_cvt_f32_i32_e32 v26, v11
	v_cvt_f32_i32_e32 v27, v29
	v_bfe_i32 v11, v13, 16, 8
	v_ashrrev_i32_e32 v13, 24, v13
	v_cvt_f32_i32_e32 v28, v28
	s_delay_alu instid0(VALU_DEP_4)
	v_pk_fma_f32 v[8:9], v[14:15], v[26:27], v[8:9] op_sel_hi:[1,0,1]
	v_pk_fma_f32 v[6:7], v[22:23], v[26:27], v[6:7] op_sel_hi:[1,0,1]
	v_cvt_f32_i32_e32 v26, v30
	v_cvt_f32_i32_e32 v14, v11
	;; [unrolled: 1-line block ×3, first 2 shown]
	v_pk_fma_f32 v[8:9], v[16:17], v[28:29], v[8:9] op_sel_hi:[1,0,1]
	v_pk_fma_f32 v[6:7], v[24:25], v[28:29], v[6:7] op_sel_hi:[1,0,1]
	v_cvt_f32_i32_e32 v17, v31
	v_cvt_f32_i32_e32 v16, v32
	s_delay_alu instid0(VALU_DEP_4) | instskip(NEXT) | instid1(VALU_DEP_4)
	v_pk_fma_f32 v[8:9], v[18:19], v[14:15], v[8:9] op_sel_hi:[1,0,1]
	v_pk_fma_f32 v[6:7], v[26:27], v[14:15], v[6:7] op_sel_hi:[1,0,1]
	s_delay_alu instid0(VALU_DEP_2) | instskip(NEXT) | instid1(VALU_DEP_2)
	v_pk_fma_f32 v[8:9], v[20:21], v[22:23], v[8:9] op_sel_hi:[1,0,1]
	v_pk_fma_f32 v[6:7], v[16:17], v[22:23], v[6:7] op_sel_hi:[1,0,1]
	s_and_not1_b32 exec_lo, exec_lo, s6
	s_cbranch_execnz .LBB76_29
; %bb.30:
	s_or_b32 exec_lo, exec_lo, s6
.LBB76_31:
	s_delay_alu instid0(SALU_CYCLE_1) | instskip(NEXT) | instid1(SALU_CYCLE_1)
	s_or_b32 exec_lo, exec_lo, s2
	s_mov_b32 s2, exec_lo
	v_cmpx_lt_u32_e32 23, v1
	s_cbranch_execz .LBB76_35
; %bb.32:
	s_mov_b32 s6, 0
.LBB76_33:                              ; =>This Inner Loop Header: Depth=1
	s_clause 0x3
	global_load_b32 v1, v0, s[8:9] scale_offset
	global_load_b32 v10, v0, s[8:9] offset:32 scale_offset
	global_load_b32 v11, v0, s[8:9] offset:64 scale_offset
	;; [unrolled: 1-line block ×3, first 2 shown]
	s_clause 0x2
	global_load_b128 v[14:17], v[4:5], off
	global_load_b128 v[18:21], v[4:5], off offset:128
	global_load_b128 v[22:25], v[4:5], off offset:256
	s_wait_xcnt 0x3
	v_add_nc_u32_e32 v0, 32, v0
	s_delay_alu instid0(VALU_DEP_1)
	v_cmp_ge_i32_e32 vcc_lo, v0, v12
	s_or_b32 s6, vcc_lo, s6
	s_wait_loadcnt 0x6
	v_subrev_nc_u32_e32 v1, s16, v1
	s_wait_loadcnt 0x5
	v_subrev_nc_u32_e32 v10, s16, v10
	s_wait_loadcnt 0x4
	v_subrev_nc_u32_e32 v11, s16, v11
	s_wait_loadcnt 0x3
	v_subrev_nc_u32_e32 v13, s16, v13
	s_wait_kmcnt 0x0
	s_clause 0x2
	global_load_b32 v30, v1, s[4:5] scale_offset
	global_load_b32 v47, v10, s[4:5] scale_offset
	;; [unrolled: 1-line block ×3, first 2 shown]
	global_load_b128 v[26:29], v[4:5], off offset:384
	global_load_b32 v50, v13, s[4:5] scale_offset
	s_wait_loadcnt 0x7
	s_wait_xcnt 0x4
	v_bfe_i32 v1, v14, 8, 8
	s_wait_xcnt 0x3
	v_bfe_i32 v10, v14, 0, 8
	;; [unrolled: 2-line block ×3, first 2 shown]
	v_bfe_i32 v31, v15, 0, 8
	v_dual_ashrrev_i32 v36, 24, v14 :: v_dual_ashrrev_i32 v38, 24, v15
	v_cvt_f32_i32_e32 v11, v1
	v_bfe_i32 v37, v14, 16, 8
	v_bfe_i32 v15, v15, 16, 8
	v_cvt_f32_i32_e32 v10, v10
	s_wait_loadcnt 0x5
	v_ashrrev_i32_e32 v65, 24, v22
	v_bfe_i32 v32, v16, 8, 8
	v_bfe_i32 v33, v16, 0, 8
	v_dual_ashrrev_i32 v39, 24, v16 :: v_dual_ashrrev_i32 v40, 24, v17
	v_bfe_i32 v16, v16, 16, 8
	v_bfe_i32 v34, v17, 8, 8
	;; [unrolled: 1-line block ×6, first 2 shown]
	v_dual_ashrrev_i32 v52, 24, v18 :: v_dual_ashrrev_i32 v54, 24, v19
	v_bfe_i32 v53, v18, 16, 8
	v_bfe_i32 v43, v19, 8, 8
	;; [unrolled: 1-line block ×8, first 2 shown]
	v_dual_ashrrev_i32 v56, 24, v20 :: v_dual_ashrrev_i32 v58, 24, v21
	v_bfe_i32 v57, v20, 16, 8
	v_bfe_i32 v59, v21, 16, 8
	v_cvt_f32_i32_e32 v21, v52
	v_cvt_f32_i32_e32 v20, v53
	v_bfe_i32 v60, v22, 8, 8
	v_bfe_i32 v61, v22, 0, 8
	;; [unrolled: 1-line block ×5, first 2 shown]
	v_dual_ashrrev_i32 v66, 24, v24 :: v_dual_ashrrev_i32 v68, 24, v25
	v_bfe_i32 v67, v24, 16, 8
	v_bfe_i32 v69, v25, 16, 8
	v_cvt_f32_i32_e32 v19, v48
	v_cvt_f32_i32_e32 v18, v51
	v_add_nc_u64_e32 v[4:5], 0x200, v[4:5]
	s_wait_loadcnt 0x4
	v_bfe_i32 v1, v30, 0, 8
	s_wait_loadcnt 0x1
	v_bfe_i32 v70, v26, 8, 8
	v_bfe_i32 v71, v26, 0, 8
	s_delay_alu instid0(VALU_DEP_3)
	v_cvt_f32_i32_e32 v14, v1
	v_bfe_i32 v1, v24, 0, 8
	v_cvt_f32_i32_e32 v24, v57
	v_bfe_i32 v72, v27, 8, 8
	v_bfe_i32 v73, v27, 0, 8
	v_pk_fma_f32 v[8:9], v[10:11], v[14:15], v[8:9] op_sel_hi:[1,0,1]
	v_cvt_f32_i32_e32 v11, v36
	v_cvt_f32_i32_e32 v10, v37
	v_bfe_i32 v36, v25, 8, 8
	v_bfe_i32 v37, v25, 0, 8
	v_cvt_f32_i32_e32 v25, v56
	v_dual_ashrrev_i32 v78, 24, v26 :: v_dual_ashrrev_i32 v82, 24, v28
	v_pk_fma_f32 v[6:7], v[10:11], v[14:15], v[6:7] op_sel_hi:[1,0,1]
	v_cvt_f32_i32_e32 v11, v13
	v_bfe_i32 v13, v30, 8, 8
	v_cvt_f32_i32_e32 v10, v31
	v_bfe_i32 v79, v26, 16, 8
	v_bfe_i32 v81, v27, 16, 8
	v_cvt_f32_i32_e32 v26, v59
	v_cvt_f32_i32_e32 v14, v13
	v_bfe_i32 v13, v22, 16, 8
	v_cvt_f32_i32_e32 v22, v55
	v_bfe_i32 v74, v28, 8, 8
	v_bfe_i32 v75, v28, 0, 8
	v_pk_fma_f32 v[8:9], v[10:11], v[14:15], v[8:9] op_sel_hi:[1,0,1]
	v_cvt_f32_i32_e32 v11, v38
	v_cvt_f32_i32_e32 v10, v15
	v_ashrrev_i32_e32 v15, 24, v23
	v_bfe_i32 v38, v23, 16, 8
	v_cvt_f32_i32_e32 v23, v54
	v_bfe_i32 v76, v29, 8, 8
	v_bfe_i32 v77, v29, 0, 8
	v_pk_fma_f32 v[6:7], v[10:11], v[14:15], v[6:7] op_sel_hi:[1,0,1]
	v_bfe_i32 v14, v30, 16, 8
	v_cvt_f32_i32_e32 v11, v32
	v_cvt_f32_i32_e32 v10, v33
	;; [unrolled: 1-line block ×3, first 2 shown]
	v_bfe_i32 v1, v47, 8, 8
	v_cvt_f32_i32_e32 v14, v14
	v_ashrrev_i32_e32 v80, 24, v27
	v_cvt_f32_i32_e32 v27, v58
	v_bfe_i32 v83, v28, 16, 8
	v_ashrrev_i32_e32 v84, 24, v29
	v_pk_fma_f32 v[8:9], v[10:11], v[14:15], v[8:9] op_sel_hi:[1,0,1]
	v_cvt_f32_i32_e32 v11, v39
	v_cvt_f32_i32_e32 v10, v16
	;; [unrolled: 1-line block ×4, first 2 shown]
	v_ashrrev_i32_e32 v1, 24, v47
	v_bfe_i32 v85, v29, 16, 8
	v_pk_fma_f32 v[6:7], v[10:11], v[14:15], v[6:7] op_sel_hi:[1,0,1]
	v_ashrrev_i32_e32 v14, 24, v30
	v_cvt_f32_i32_e32 v11, v34
	v_cvt_f32_i32_e32 v10, v35
	;; [unrolled: 1-line block ×5, first 2 shown]
	v_bfe_i32 v13, v47, 16, 8
	v_cvt_f32_i32_e32 v29, v60
	v_cvt_f32_i32_e32 v28, v61
	;; [unrolled: 1-line block ×3, first 2 shown]
	v_pk_fma_f32 v[8:9], v[10:11], v[14:15], v[8:9] op_sel_hi:[1,0,1]
	v_cvt_f32_i32_e32 v11, v40
	v_cvt_f32_i32_e32 v10, v17
	;; [unrolled: 1-line block ×4, first 2 shown]
	v_bfe_i32 v13, v49, 0, 8
	v_cvt_f32_i32_e32 v37, v65
	v_pk_fma_f32 v[6:7], v[10:11], v[14:15], v[6:7] op_sel_hi:[1,0,1]
	v_bfe_i32 v14, v47, 0, 8
	v_cvt_f32_i32_e32 v11, v41
	v_cvt_f32_i32_e32 v10, v42
	;; [unrolled: 1-line block ×9, first 2 shown]
	v_pk_fma_f32 v[8:9], v[10:11], v[14:15], v[8:9] op_sel_hi:[1,0,1]
	v_cvt_f32_i32_e32 v11, v43
	v_cvt_f32_i32_e32 v10, v44
	v_pk_fma_f32 v[6:7], v[20:21], v[14:15], v[6:7] op_sel_hi:[1,0,1]
	v_cvt_f32_i32_e32 v40, v67
	v_cvt_f32_i32_e32 v43, v68
	;; [unrolled: 1-line block ×3, first 2 shown]
	v_pk_fma_f32 v[8:9], v[10:11], v[46:47], v[8:9] op_sel_hi:[1,0,1]
	v_pk_fma_f32 v[6:7], v[22:23], v[46:47], v[6:7] op_sel_hi:[1,0,1]
	v_cvt_f32_i32_e32 v22, v1
	v_bfe_i32 v1, v49, 8, 8
	v_cvt_f32_i32_e32 v45, v70
	v_pk_fma_f32 v[8:9], v[16:17], v[48:49], v[8:9] op_sel_hi:[1,0,1]
	v_pk_fma_f32 v[6:7], v[24:25], v[48:49], v[6:7] op_sel_hi:[1,0,1]
	v_cvt_f32_i32_e32 v16, v13
	v_cvt_f32_i32_e32 v17, v78
	v_bfe_i32 v13, v49, 16, 8
	v_pk_fma_f32 v[8:9], v[18:19], v[22:23], v[8:9] op_sel_hi:[1,0,1]
	v_pk_fma_f32 v[6:7], v[26:27], v[22:23], v[6:7] op_sel_hi:[1,0,1]
	v_cvt_f32_i32_e32 v18, v1
	v_ashrrev_i32_e32 v1, 24, v49
	v_cvt_f32_i32_e32 v22, v13
	v_pk_fma_f32 v[8:9], v[28:29], v[16:17], v[8:9] op_sel_hi:[1,0,1]
	v_pk_fma_f32 v[6:7], v[36:37], v[16:17], v[6:7] op_sel_hi:[1,0,1]
	s_wait_loadcnt 0x0
	v_bfe_i32 v13, v50, 0, 8
	v_cvt_f32_i32_e32 v24, v1
	v_cvt_f32_i32_e32 v44, v71
	v_pk_fma_f32 v[8:9], v[30:31], v[18:19], v[8:9] op_sel_hi:[1,0,1]
	v_pk_fma_f32 v[6:7], v[38:39], v[18:19], v[6:7] op_sel_hi:[1,0,1]
	v_cvt_f32_i32_e32 v16, v79
	v_bfe_i32 v1, v50, 8, 8
	v_cvt_f32_i32_e32 v15, v72
	v_pk_fma_f32 v[8:9], v[32:33], v[22:23], v[8:9] op_sel_hi:[1,0,1]
	v_pk_fma_f32 v[6:7], v[40:41], v[22:23], v[6:7] op_sel_hi:[1,0,1]
	v_cvt_f32_i32_e32 v22, v13
	v_cvt_f32_i32_e32 v23, v82
	;; [unrolled: 1-line block ×3, first 2 shown]
	v_pk_fma_f32 v[8:9], v[34:35], v[24:25], v[8:9] op_sel_hi:[1,0,1]
	v_pk_fma_f32 v[6:7], v[42:43], v[24:25], v[6:7] op_sel_hi:[1,0,1]
	v_cvt_f32_i32_e32 v19, v80
	v_cvt_f32_i32_e32 v18, v81
	v_bfe_i32 v13, v50, 16, 8
	v_cvt_f32_i32_e32 v24, v1
	v_pk_fma_f32 v[8:9], v[44:45], v[22:23], v[8:9] op_sel_hi:[1,0,1]
	v_pk_fma_f32 v[6:7], v[16:17], v[22:23], v[6:7] op_sel_hi:[1,0,1]
	v_cvt_f32_i32_e32 v21, v74
	v_cvt_f32_i32_e32 v20, v75
	;; [unrolled: 1-line block ×3, first 2 shown]
	v_ashrrev_i32_e32 v1, 24, v50
	v_cvt_f32_i32_e32 v16, v13
	v_pk_fma_f32 v[8:9], v[14:15], v[24:25], v[8:9] op_sel_hi:[1,0,1]
	v_pk_fma_f32 v[6:7], v[18:19], v[24:25], v[6:7] op_sel_hi:[1,0,1]
	v_cvt_f32_i32_e32 v11, v76
	v_cvt_f32_i32_e32 v10, v77
	;; [unrolled: 1-line block ×5, first 2 shown]
	v_pk_fma_f32 v[8:9], v[20:21], v[16:17], v[8:9] op_sel_hi:[1,0,1]
	v_pk_fma_f32 v[6:7], v[22:23], v[16:17], v[6:7] op_sel_hi:[1,0,1]
	s_delay_alu instid0(VALU_DEP_2) | instskip(NEXT) | instid1(VALU_DEP_2)
	v_pk_fma_f32 v[8:9], v[10:11], v[18:19], v[8:9] op_sel_hi:[1,0,1]
	v_pk_fma_f32 v[6:7], v[14:15], v[18:19], v[6:7] op_sel_hi:[1,0,1]
	s_and_not1_b32 exec_lo, exec_lo, s6
	s_cbranch_execnz .LBB76_33
; %bb.34:
	s_or_b32 exec_lo, exec_lo, s6
.LBB76_35:
	s_delay_alu instid0(SALU_CYCLE_1)
	s_or_b32 exec_lo, exec_lo, s2
.LBB76_36:
	s_delay_alu instid0(SALU_CYCLE_1)
	s_or_b32 exec_lo, exec_lo, s3
.LBB76_37:
	v_mbcnt_lo_u32_b32 v10, -1, 0
	s_mov_b32 s2, -1
	s_delay_alu instid0(VALU_DEP_1) | instskip(SKIP_1) | instid1(VALU_DEP_1)
	v_xor_b32_e32 v11, 2, v10
	v_xor_b32_e32 v0, 4, v10
	v_cmp_gt_i32_e32 vcc_lo, 32, v0
	v_cndmask_b32_e32 v0, v10, v0, vcc_lo
	s_delay_alu instid0(VALU_DEP_4) | instskip(SKIP_1) | instid1(VALU_DEP_1)
	v_cmp_gt_i32_e32 vcc_lo, 32, v11
	v_cndmask_b32_e32 v11, v10, v11, vcc_lo
	v_dual_lshlrev_b32 v11, 2, v11 :: v_dual_lshlrev_b32 v5, 2, v0
	ds_bpermute_b32 v0, v5, v8
	ds_bpermute_b32 v1, v5, v9
	;; [unrolled: 1-line block ×4, first 2 shown]
	s_wait_dscnt 0x2
	v_pk_add_f32 v[0:1], v[8:9], v[0:1]
	s_wait_dscnt 0x0
	v_pk_add_f32 v[4:5], v[6:7], v[4:5]
	ds_bpermute_b32 v6, v11, v0
	ds_bpermute_b32 v7, v11, v1
	;; [unrolled: 1-line block ×4, first 2 shown]
	v_xor_b32_e32 v11, 1, v10
	s_delay_alu instid0(VALU_DEP_1) | instskip(SKIP_2) | instid1(VALU_DEP_2)
	v_cmp_gt_i32_e32 vcc_lo, 32, v11
	v_cndmask_b32_e32 v10, v10, v11, vcc_lo
	v_cmp_eq_u32_e32 vcc_lo, 7, v3
	v_lshlrev_b32_e32 v10, 2, v10
	s_wait_dscnt 0x2
	v_pk_add_f32 v[0:1], v[0:1], v[6:7]
	s_wait_dscnt 0x0
	v_pk_add_f32 v[6:7], v[4:5], v[8:9]
	ds_bpermute_b32 v4, v10, v0
	ds_bpermute_b32 v5, v10, v1
	;; [unrolled: 1-line block ×4, first 2 shown]
	s_and_b32 exec_lo, exec_lo, vcc_lo
	s_cbranch_execz .LBB76_10
; %bb.38:
	s_load_b64 s[0:1], s[0:1], 0x50
	s_wait_dscnt 0x2
	v_pk_add_f32 v[4:5], v[0:1], v[4:5]
	s_wait_dscnt 0x0
	v_pk_add_f32 v[0:1], v[6:7], v[8:9]
	v_lshlrev_b32_e32 v2, 2, v2
	s_cmp_eq_f32 s14, 0
	s_cbranch_scc0 .LBB76_40
; %bb.39:
	s_delay_alu instid0(VALU_DEP_1)
	v_ashrrev_i32_e32 v3, 31, v2
	v_pk_mul_f32 v[6:7], s[12:13], v[4:5] op_sel_hi:[0,1]
	v_pk_mul_f32 v[8:9], s[12:13], v[0:1] op_sel_hi:[0,1]
	s_mov_b32 s2, 0
	s_wait_kmcnt 0x0
	v_lshl_add_u64 v[10:11], v[2:3], 2, s[0:1]
	global_store_b128 v[10:11], v[6:9], off
.LBB76_40:
	s_and_not1_b32 vcc_lo, exec_lo, s2
	s_cbranch_vccnz .LBB76_10
; %bb.41:
	v_ashrrev_i32_e32 v3, 31, v2
	s_wait_kmcnt 0x0
	s_delay_alu instid0(VALU_DEP_1)
	v_lshl_add_u64 v[10:11], v[2:3], 2, s[0:1]
	v_pk_mul_f32 v[2:3], s[12:13], v[4:5] op_sel_hi:[0,1]
	v_pk_mul_f32 v[4:5], s[12:13], v[0:1] op_sel_hi:[0,1]
	global_load_b128 v[6:9], v[10:11], off
	s_wait_loadcnt 0x0
	v_pk_fma_f32 v[0:1], s[14:15], v[6:7], v[2:3] op_sel_hi:[0,1,1]
	v_pk_fma_f32 v[2:3], s[14:15], v[8:9], v[4:5] op_sel_hi:[0,1,1]
	global_store_b128 v[10:11], v[0:3], off
	s_sendmsg sendmsg(MSG_DEALLOC_VGPRS)
	s_endpgm
	.section	.rodata,"a",@progbits
	.p2align	6, 0x0
	.amdhsa_kernel _ZN9rocsparseL18bsrxmvn_4x4_kernelILj128ELj8EfiiaafEEvT3_20rocsparse_direction_NS_24const_host_device_scalarIT1_EES1_PKS1_PKT2_SA_S7_PKT4_PKT5_S5_PT6_21rocsparse_index_base_b
		.amdhsa_group_segment_fixed_size 0
		.amdhsa_private_segment_fixed_size 0
		.amdhsa_kernarg_size 96
		.amdhsa_user_sgpr_count 2
		.amdhsa_user_sgpr_dispatch_ptr 0
		.amdhsa_user_sgpr_queue_ptr 0
		.amdhsa_user_sgpr_kernarg_segment_ptr 1
		.amdhsa_user_sgpr_dispatch_id 0
		.amdhsa_user_sgpr_kernarg_preload_length 0
		.amdhsa_user_sgpr_kernarg_preload_offset 0
		.amdhsa_user_sgpr_private_segment_size 0
		.amdhsa_wavefront_size32 1
		.amdhsa_uses_dynamic_stack 0
		.amdhsa_enable_private_segment 0
		.amdhsa_system_sgpr_workgroup_id_x 1
		.amdhsa_system_sgpr_workgroup_id_y 0
		.amdhsa_system_sgpr_workgroup_id_z 0
		.amdhsa_system_sgpr_workgroup_info 0
		.amdhsa_system_vgpr_workitem_id 0
		.amdhsa_next_free_vgpr 93
		.amdhsa_next_free_sgpr 18
		.amdhsa_named_barrier_count 0
		.amdhsa_reserve_vcc 1
		.amdhsa_float_round_mode_32 0
		.amdhsa_float_round_mode_16_64 0
		.amdhsa_float_denorm_mode_32 3
		.amdhsa_float_denorm_mode_16_64 3
		.amdhsa_fp16_overflow 0
		.amdhsa_memory_ordered 1
		.amdhsa_forward_progress 1
		.amdhsa_inst_pref_size 40
		.amdhsa_round_robin_scheduling 0
		.amdhsa_exception_fp_ieee_invalid_op 0
		.amdhsa_exception_fp_denorm_src 0
		.amdhsa_exception_fp_ieee_div_zero 0
		.amdhsa_exception_fp_ieee_overflow 0
		.amdhsa_exception_fp_ieee_underflow 0
		.amdhsa_exception_fp_ieee_inexact 0
		.amdhsa_exception_int_div_zero 0
	.end_amdhsa_kernel
	.section	.text._ZN9rocsparseL18bsrxmvn_4x4_kernelILj128ELj8EfiiaafEEvT3_20rocsparse_direction_NS_24const_host_device_scalarIT1_EES1_PKS1_PKT2_SA_S7_PKT4_PKT5_S5_PT6_21rocsparse_index_base_b,"axG",@progbits,_ZN9rocsparseL18bsrxmvn_4x4_kernelILj128ELj8EfiiaafEEvT3_20rocsparse_direction_NS_24const_host_device_scalarIT1_EES1_PKS1_PKT2_SA_S7_PKT4_PKT5_S5_PT6_21rocsparse_index_base_b,comdat
.Lfunc_end76:
	.size	_ZN9rocsparseL18bsrxmvn_4x4_kernelILj128ELj8EfiiaafEEvT3_20rocsparse_direction_NS_24const_host_device_scalarIT1_EES1_PKS1_PKT2_SA_S7_PKT4_PKT5_S5_PT6_21rocsparse_index_base_b, .Lfunc_end76-_ZN9rocsparseL18bsrxmvn_4x4_kernelILj128ELj8EfiiaafEEvT3_20rocsparse_direction_NS_24const_host_device_scalarIT1_EES1_PKS1_PKT2_SA_S7_PKT4_PKT5_S5_PT6_21rocsparse_index_base_b
                                        ; -- End function
	.set _ZN9rocsparseL18bsrxmvn_4x4_kernelILj128ELj8EfiiaafEEvT3_20rocsparse_direction_NS_24const_host_device_scalarIT1_EES1_PKS1_PKT2_SA_S7_PKT4_PKT5_S5_PT6_21rocsparse_index_base_b.num_vgpr, 93
	.set _ZN9rocsparseL18bsrxmvn_4x4_kernelILj128ELj8EfiiaafEEvT3_20rocsparse_direction_NS_24const_host_device_scalarIT1_EES1_PKS1_PKT2_SA_S7_PKT4_PKT5_S5_PT6_21rocsparse_index_base_b.num_agpr, 0
	.set _ZN9rocsparseL18bsrxmvn_4x4_kernelILj128ELj8EfiiaafEEvT3_20rocsparse_direction_NS_24const_host_device_scalarIT1_EES1_PKS1_PKT2_SA_S7_PKT4_PKT5_S5_PT6_21rocsparse_index_base_b.numbered_sgpr, 18
	.set _ZN9rocsparseL18bsrxmvn_4x4_kernelILj128ELj8EfiiaafEEvT3_20rocsparse_direction_NS_24const_host_device_scalarIT1_EES1_PKS1_PKT2_SA_S7_PKT4_PKT5_S5_PT6_21rocsparse_index_base_b.num_named_barrier, 0
	.set _ZN9rocsparseL18bsrxmvn_4x4_kernelILj128ELj8EfiiaafEEvT3_20rocsparse_direction_NS_24const_host_device_scalarIT1_EES1_PKS1_PKT2_SA_S7_PKT4_PKT5_S5_PT6_21rocsparse_index_base_b.private_seg_size, 0
	.set _ZN9rocsparseL18bsrxmvn_4x4_kernelILj128ELj8EfiiaafEEvT3_20rocsparse_direction_NS_24const_host_device_scalarIT1_EES1_PKS1_PKT2_SA_S7_PKT4_PKT5_S5_PT6_21rocsparse_index_base_b.uses_vcc, 1
	.set _ZN9rocsparseL18bsrxmvn_4x4_kernelILj128ELj8EfiiaafEEvT3_20rocsparse_direction_NS_24const_host_device_scalarIT1_EES1_PKS1_PKT2_SA_S7_PKT4_PKT5_S5_PT6_21rocsparse_index_base_b.uses_flat_scratch, 0
	.set _ZN9rocsparseL18bsrxmvn_4x4_kernelILj128ELj8EfiiaafEEvT3_20rocsparse_direction_NS_24const_host_device_scalarIT1_EES1_PKS1_PKT2_SA_S7_PKT4_PKT5_S5_PT6_21rocsparse_index_base_b.has_dyn_sized_stack, 0
	.set _ZN9rocsparseL18bsrxmvn_4x4_kernelILj128ELj8EfiiaafEEvT3_20rocsparse_direction_NS_24const_host_device_scalarIT1_EES1_PKS1_PKT2_SA_S7_PKT4_PKT5_S5_PT6_21rocsparse_index_base_b.has_recursion, 0
	.set _ZN9rocsparseL18bsrxmvn_4x4_kernelILj128ELj8EfiiaafEEvT3_20rocsparse_direction_NS_24const_host_device_scalarIT1_EES1_PKS1_PKT2_SA_S7_PKT4_PKT5_S5_PT6_21rocsparse_index_base_b.has_indirect_call, 0
	.section	.AMDGPU.csdata,"",@progbits
; Kernel info:
; codeLenInByte = 5004
; TotalNumSgprs: 20
; NumVgprs: 93
; ScratchSize: 0
; MemoryBound: 0
; FloatMode: 240
; IeeeMode: 1
; LDSByteSize: 0 bytes/workgroup (compile time only)
; SGPRBlocks: 0
; VGPRBlocks: 5
; NumSGPRsForWavesPerEU: 20
; NumVGPRsForWavesPerEU: 93
; NamedBarCnt: 0
; Occupancy: 10
; WaveLimiterHint : 1
; COMPUTE_PGM_RSRC2:SCRATCH_EN: 0
; COMPUTE_PGM_RSRC2:USER_SGPR: 2
; COMPUTE_PGM_RSRC2:TRAP_HANDLER: 0
; COMPUTE_PGM_RSRC2:TGID_X_EN: 1
; COMPUTE_PGM_RSRC2:TGID_Y_EN: 0
; COMPUTE_PGM_RSRC2:TGID_Z_EN: 0
; COMPUTE_PGM_RSRC2:TIDIG_COMP_CNT: 0
	.section	.text._ZN9rocsparseL18bsrxmvn_4x4_kernelILj128ELj16EfiiaafEEvT3_20rocsparse_direction_NS_24const_host_device_scalarIT1_EES1_PKS1_PKT2_SA_S7_PKT4_PKT5_S5_PT6_21rocsparse_index_base_b,"axG",@progbits,_ZN9rocsparseL18bsrxmvn_4x4_kernelILj128ELj16EfiiaafEEvT3_20rocsparse_direction_NS_24const_host_device_scalarIT1_EES1_PKS1_PKT2_SA_S7_PKT4_PKT5_S5_PT6_21rocsparse_index_base_b,comdat
	.globl	_ZN9rocsparseL18bsrxmvn_4x4_kernelILj128ELj16EfiiaafEEvT3_20rocsparse_direction_NS_24const_host_device_scalarIT1_EES1_PKS1_PKT2_SA_S7_PKT4_PKT5_S5_PT6_21rocsparse_index_base_b ; -- Begin function _ZN9rocsparseL18bsrxmvn_4x4_kernelILj128ELj16EfiiaafEEvT3_20rocsparse_direction_NS_24const_host_device_scalarIT1_EES1_PKS1_PKT2_SA_S7_PKT4_PKT5_S5_PT6_21rocsparse_index_base_b
	.p2align	8
	.type	_ZN9rocsparseL18bsrxmvn_4x4_kernelILj128ELj16EfiiaafEEvT3_20rocsparse_direction_NS_24const_host_device_scalarIT1_EES1_PKS1_PKT2_SA_S7_PKT4_PKT5_S5_PT6_21rocsparse_index_base_b,@function
_ZN9rocsparseL18bsrxmvn_4x4_kernelILj128ELj16EfiiaafEEvT3_20rocsparse_direction_NS_24const_host_device_scalarIT1_EES1_PKS1_PKT2_SA_S7_PKT4_PKT5_S5_PT6_21rocsparse_index_base_b: ; @_ZN9rocsparseL18bsrxmvn_4x4_kernelILj128ELj16EfiiaafEEvT3_20rocsparse_direction_NS_24const_host_device_scalarIT1_EES1_PKS1_PKT2_SA_S7_PKT4_PKT5_S5_PT6_21rocsparse_index_base_b
; %bb.0:
	s_clause 0x2
	s_load_b64 s[16:17], s[0:1], 0x58
	s_load_b64 s[12:13], s[0:1], 0x8
	;; [unrolled: 1-line block ×3, first 2 shown]
	s_wait_kmcnt 0x0
	s_bitcmp1_b32 s17, 0
	s_cselect_b32 s2, -1, 0
	s_delay_alu instid0(SALU_CYCLE_1)
	s_and_b32 vcc_lo, exec_lo, s2
	s_xor_b32 s2, s2, -1
	s_cbranch_vccnz .LBB77_2
; %bb.1:
	s_load_b32 s12, s[12:13], 0x0
.LBB77_2:
	s_and_not1_b32 vcc_lo, exec_lo, s2
	s_cbranch_vccnz .LBB77_4
; %bb.3:
	s_load_b32 s14, s[14:15], 0x0
.LBB77_4:
	s_wait_kmcnt 0x0
	s_cmp_neq_f32 s12, 0
	s_mov_b32 s6, 0
	s_cselect_b32 s2, -1, 0
	s_cmp_neq_f32 s14, 1.0
	s_cselect_b32 s3, -1, 0
	s_delay_alu instid0(SALU_CYCLE_1) | instskip(NEXT) | instid1(SALU_CYCLE_1)
	s_or_b32 s2, s2, s3
	s_and_not1_b32 vcc_lo, exec_lo, s2
	s_cbranch_vccnz .LBB77_10
; %bb.5:
	s_clause 0x1
	s_load_b64 s[4:5], s[0:1], 0x18
	s_load_b64 s[2:3], s[0:1], 0x0
	s_bfe_u32 s7, ttmp6, 0x4000c
	s_and_b32 s8, ttmp6, 15
	s_add_co_i32 s7, s7, 1
	s_getreg_b32 s9, hwreg(HW_REG_IB_STS2, 6, 4)
	s_mul_i32 s7, ttmp9, s7
	v_lshrrev_b32_e32 v1, 4, v0
	s_add_co_i32 s8, s8, s7
	s_cmp_eq_u32 s9, 0
	s_cselect_b32 s7, ttmp9, s8
	s_delay_alu instid0(VALU_DEP_1) | instid1(SALU_CYCLE_1)
	v_lshl_or_b32 v2, s7, 3, v1
	s_wait_kmcnt 0x0
	s_cmp_lg_u64 s[4:5], 0
	s_cbranch_scc0 .LBB77_11
; %bb.6:
	s_load_b32 s6, s[0:1], 0x10
	s_mov_b32 s7, 0
                                        ; implicit-def: $vgpr1
	s_wait_kmcnt 0x0
	v_cmp_gt_i32_e32 vcc_lo, s6, v2
	s_mov_b32 s6, 0
	s_and_saveexec_b32 s8, vcc_lo
	s_delay_alu instid0(SALU_CYCLE_1)
	s_xor_b32 s8, exec_lo, s8
	s_cbranch_execz .LBB77_8
; %bb.7:
	global_load_b32 v1, v2, s[4:5] scale_offset
	s_mov_b32 s6, exec_lo
	s_wait_loadcnt 0x0
	v_subrev_nc_u32_e32 v1, s16, v1
.LBB77_8:
	s_or_b32 exec_lo, exec_lo, s8
	s_delay_alu instid0(SALU_CYCLE_1)
	s_and_b32 vcc_lo, exec_lo, s7
	s_cbranch_vccz .LBB77_12
.LBB77_9:
	v_cmp_gt_i32_e32 vcc_lo, s2, v2
	s_and_not1_b32 s2, s6, exec_lo
	s_and_b32 s4, vcc_lo, exec_lo
	s_delay_alu instid0(SALU_CYCLE_1) | instskip(NEXT) | instid1(SALU_CYCLE_1)
	s_or_b32 s6, s2, s4
	s_and_saveexec_b32 s2, s6
	s_cbranch_execnz .LBB77_13
.LBB77_10:
	s_sendmsg sendmsg(MSG_DEALLOC_VGPRS)
	s_endpgm
.LBB77_11:
                                        ; implicit-def: $vgpr1
	s_cbranch_execnz .LBB77_9
.LBB77_12:
	s_delay_alu instid0(VALU_DEP_1)
	v_mov_b32_e32 v2, v1
	s_and_saveexec_b32 s2, s6
	s_cbranch_execz .LBB77_10
.LBB77_13:
	s_load_b256 s[4:11], s[0:1], 0x20
	s_wait_kmcnt 0x0
	s_cmp_eq_u64 s[6:7], 0
	global_load_b32 v13, v2, s[4:5] scale_offset
	s_cselect_b32 vcc_lo, -1, 0
	v_ashrrev_i32_e32 v3, 31, v2
	s_cmp_eq_u32 s3, 1
	s_delay_alu instid0(VALU_DEP_1) | instskip(SKIP_1) | instid1(VALU_DEP_2)
	v_lshlrev_b64_e32 v[4:5], 2, v[2:3]
	v_and_b32_e32 v3, 15, v0
	v_add_nc_u64_e32 v[6:7], s[4:5], v[4:5]
	v_add_nc_u64_e32 v[4:5], s[6:7], v[4:5]
	s_wait_xcnt 0x0
	s_load_b64 s[4:5], s[0:1], 0x40
	s_delay_alu instid0(VALU_DEP_2) | instskip(NEXT) | instid1(VALU_DEP_1)
	v_add_nc_u64_e32 v[6:7], 4, v[6:7]
	v_dual_cndmask_b32 v5, v5, v7 :: v_dual_cndmask_b32 v4, v4, v6
	global_load_b32 v4, v[4:5], off
	s_wait_loadcnt 0x1
	v_subrev_nc_u32_e32 v0, s16, v13
	s_delay_alu instid0(VALU_DEP_1) | instskip(NEXT) | instid1(VALU_DEP_1)
	v_add_nc_u32_e32 v0, v0, v3
	v_ashrrev_i32_e32 v1, 31, v0
	s_wait_loadcnt 0x0
	v_subrev_nc_u32_e32 v12, s16, v4
	s_delay_alu instid0(VALU_DEP_2) | instskip(NEXT) | instid1(VALU_DEP_2)
	v_lshl_add_u64 v[4:5], v[0:1], 4, s[10:11]
	v_cmp_lt_i32_e64 s2, v0, v12
	s_cbranch_scc1 .LBB77_25
; %bb.14:
	v_dual_mov_b32 v7, 0 :: v_dual_mov_b32 v6, 0
	v_dual_mov_b32 v9, 0 :: v_dual_mov_b32 v8, 0
	s_and_saveexec_b32 s3, s2
	s_cbranch_execz .LBB77_24
; %bb.15:
	v_dual_mov_b32 v8, 0 :: v_dual_add_nc_u32 v1, v13, v3
	v_not_b32_e32 v6, v13
	s_delay_alu instid0(VALU_DEP_2) | instskip(NEXT) | instid1(VALU_DEP_3)
	v_subrev_nc_u32_e32 v1, s16, v1
	v_dual_mov_b32 v7, v8 :: v_dual_mov_b32 v9, v8
	s_delay_alu instid0(VALU_DEP_2) | instskip(NEXT) | instid1(VALU_DEP_1)
	v_add_max_i32_e64 v1, v1, 16, v12
	v_add3_u32 v1, s16, v1, v6
	s_delay_alu instid0(VALU_DEP_1) | instskip(NEXT) | instid1(VALU_DEP_1)
	v_dual_mov_b32 v6, v8 :: v_dual_sub_nc_u32 v14, v1, v3
	v_dual_mov_b32 v1, v0 :: v_dual_bitop2_b32 v10, 48, v14 bitop3:0x40
	s_delay_alu instid0(VALU_DEP_1)
	v_cmp_ne_u32_e32 vcc_lo, 48, v10
	v_mov_b64_e32 v[10:11], v[4:5]
	s_and_saveexec_b32 s6, vcc_lo
	s_cbranch_execz .LBB77_19
; %bb.16:
	v_dual_lshrrev_b32 v1, 4, v14 :: v_dual_mov_b32 v7, 0
	v_mov_b64_e32 v[10:11], v[4:5]
	s_mov_b32 s7, 0
	s_delay_alu instid0(VALU_DEP_2) | instskip(NEXT) | instid1(VALU_DEP_1)
	v_dual_mov_b32 v6, v7 :: v_dual_add_nc_u32 v1, 1, v1
	v_dual_mov_b32 v1, v0 :: v_dual_bitop2_b32 v8, 3, v1 bitop3:0x40
	s_delay_alu instid0(VALU_DEP_1)
	v_dual_mov_b32 v9, v7 :: v_dual_sub_nc_u32 v15, 0, v8
	v_mov_b32_e32 v8, v7
.LBB77_17:                              ; =>This Inner Loop Header: Depth=1
	global_load_b32 v16, v1, s[8:9] scale_offset
	v_add_co_u32 v15, s10, v15, 1
	s_or_b32 s7, s10, s7
	s_wait_xcnt 0x0
	v_add_nc_u32_e32 v1, 16, v1
	s_wait_loadcnt 0x0
	v_subrev_nc_u32_e32 v20, s16, v16
	global_load_b128 v[16:19], v[10:11], off
	s_wait_kmcnt 0x0
	global_load_b32 v31, v20, s[4:5] scale_offset
	s_wait_xcnt 0x1
	v_add_nc_u64_e32 v[10:11], 0x100, v[10:11]
	s_wait_loadcnt 0x1
	v_bfe_i32 v21, v17, 0, 8
	v_bfe_i32 v24, v17, 16, 8
	;; [unrolled: 1-line block ×3, first 2 shown]
	s_wait_xcnt 0x0
	v_bfe_i32 v20, v16, 0, 8
	v_bfe_i32 v22, v17, 8, 8
	v_bfe_i32 v25, v16, 16, 8
	v_dual_ashrrev_i32 v26, 24, v17 :: v_dual_ashrrev_i32 v27, 24, v16
	v_bfe_i32 v29, v19, 0, 8
	v_bfe_i32 v30, v19, 8, 8
	;; [unrolled: 1-line block ×3, first 2 shown]
	v_cvt_f32_i32_e32 v17, v21
	v_cvt_f32_i32_e32 v21, v24
	;; [unrolled: 1-line block ×3, first 2 shown]
	s_wait_loadcnt 0x0
	v_bfe_i32 v28, v31, 0, 8
	v_bfe_i32 v23, v16, 8, 8
	;; [unrolled: 1-line block ×3, first 2 shown]
	v_dual_ashrrev_i32 v35, 24, v19 :: v_dual_ashrrev_i32 v36, 24, v18
	v_cvt_f32_i32_e32 v16, v20
	v_cvt_f32_i32_e32 v19, v22
	;; [unrolled: 1-line block ×6, first 2 shown]
	v_bfe_i32 v30, v31, 8, 8
	v_cvt_f32_i32_e32 v28, v28
	v_cvt_f32_i32_e32 v29, v33
	v_bfe_i32 v34, v18, 16, 8
	v_cvt_f32_i32_e32 v18, v23
	v_cvt_f32_i32_e32 v23, v26
	;; [unrolled: 1-line block ×3, first 2 shown]
	v_bfe_i32 v32, v31, 16, 8
	v_cvt_f32_i32_e32 v30, v30
	v_pk_fma_f32 v[8:9], v[16:17], v[28:29], v[8:9] op_sel_hi:[1,0,1]
	v_pk_fma_f32 v[6:7], v[24:25], v[28:29], v[6:7] op_sel_hi:[1,0,1]
	v_cvt_f32_i32_e32 v28, v34
	v_ashrrev_i32_e32 v17, 24, v31
	v_cvt_f32_i32_e32 v16, v32
	v_pk_fma_f32 v[8:9], v[18:19], v[30:31], v[8:9] op_sel_hi:[1,0,1]
	v_pk_fma_f32 v[6:7], v[26:27], v[30:31], v[6:7] op_sel_hi:[1,0,1]
	v_cvt_f32_i32_e32 v19, v35
	v_cvt_f32_i32_e32 v18, v36
	;; [unrolled: 1-line block ×3, first 2 shown]
	v_pk_fma_f32 v[8:9], v[20:21], v[16:17], v[8:9] op_sel_hi:[1,0,1]
	v_pk_fma_f32 v[6:7], v[28:29], v[16:17], v[6:7] op_sel_hi:[1,0,1]
	s_delay_alu instid0(VALU_DEP_2) | instskip(NEXT) | instid1(VALU_DEP_2)
	v_pk_fma_f32 v[8:9], v[22:23], v[24:25], v[8:9] op_sel_hi:[1,0,1]
	v_pk_fma_f32 v[6:7], v[18:19], v[24:25], v[6:7] op_sel_hi:[1,0,1]
	s_and_not1_b32 exec_lo, exec_lo, s7
	s_cbranch_execnz .LBB77_17
; %bb.18:
	s_or_b32 exec_lo, exec_lo, s7
.LBB77_19:
	s_delay_alu instid0(SALU_CYCLE_1) | instskip(NEXT) | instid1(SALU_CYCLE_1)
	s_or_b32 exec_lo, exec_lo, s6
	s_mov_b32 s6, exec_lo
	v_cmpx_lt_u32_e32 47, v14
	s_cbranch_execz .LBB77_23
; %bb.20:
	s_mov_b32 s7, 0
.LBB77_21:                              ; =>This Inner Loop Header: Depth=1
	s_clause 0x3
	global_load_b32 v26, v1, s[8:9] scale_offset
	global_load_b32 v27, v1, s[8:9] offset:64 scale_offset
	global_load_b32 v28, v1, s[8:9] offset:128 scale_offset
	global_load_b32 v29, v1, s[8:9] offset:192 scale_offset
	s_clause 0x2
	global_load_b128 v[14:17], v[10:11], off
	global_load_b128 v[18:21], v[10:11], off offset:256
	global_load_b128 v[22:25], v[10:11], off offset:512
	s_wait_xcnt 0x3
	v_add_nc_u32_e32 v1, 64, v1
	s_delay_alu instid0(VALU_DEP_1)
	v_cmp_ge_i32_e32 vcc_lo, v1, v12
	s_or_b32 s7, vcc_lo, s7
	s_wait_loadcnt 0x6
	v_subrev_nc_u32_e32 v30, s16, v26
	s_wait_loadcnt 0x5
	v_subrev_nc_u32_e32 v31, s16, v27
	;; [unrolled: 2-line block ×4, first 2 shown]
	s_wait_kmcnt 0x0
	s_clause 0x2
	global_load_b32 v34, v30, s[4:5] scale_offset
	global_load_b32 v50, v31, s[4:5] scale_offset
	;; [unrolled: 1-line block ×3, first 2 shown]
	global_load_b128 v[26:29], v[10:11], off offset:768
	global_load_b32 v52, v33, s[4:5] scale_offset
	s_wait_loadcnt 0x7
	s_wait_xcnt 0x4
	v_bfe_i32 v30, v14, 0, 8
	s_wait_xcnt 0x3
	v_bfe_i32 v31, v15, 0, 8
	v_bfe_i32 v39, v16, 0, 8
	;; [unrolled: 1-line block ×7, first 2 shown]
	v_dual_ashrrev_i32 v17, 24, v17 :: v_dual_ashrrev_i32 v45, 24, v16
	s_wait_xcnt 0x2
	v_bfe_i32 v32, v15, 8, 8
	s_wait_xcnt 0x0
	v_bfe_i32 v33, v14, 8, 8
	v_bfe_i32 v35, v15, 16, 8
	;; [unrolled: 1-line block ×3, first 2 shown]
	v_dual_ashrrev_i32 v37, 24, v15 :: v_dual_ashrrev_i32 v38, 24, v14
	v_cvt_f32_i32_e32 v14, v30
	v_cvt_f32_i32_e32 v15, v31
	s_wait_loadcnt 0x6
	v_bfe_i32 v46, v18, 0, 8
	v_bfe_i32 v47, v19, 0, 8
	;; [unrolled: 1-line block ×6, first 2 shown]
	v_dual_ashrrev_i32 v55, 24, v19 :: v_dual_ashrrev_i32 v56, 24, v18
	v_bfe_i32 v18, v20, 0, 8
	v_bfe_i32 v19, v21, 0, 8
	v_bfe_i32 v57, v21, 8, 8
	v_bfe_i32 v58, v20, 8, 8
	v_bfe_i32 v59, v21, 16, 8
	v_bfe_i32 v60, v20, 16, 8
	v_dual_ashrrev_i32 v61, 24, v21 :: v_dual_ashrrev_i32 v62, 24, v20
	s_wait_loadcnt 0x5
	v_bfe_i32 v64, v23, 0, 8
	v_bfe_i32 v65, v23, 8, 8
	;; [unrolled: 1-line block ×3, first 2 shown]
	v_ashrrev_i32_e32 v69, 24, v23
	v_cvt_f32_i32_e32 v21, v57
	v_cvt_f32_i32_e32 v20, v58
	;; [unrolled: 1-line block ×3, first 2 shown]
	v_bfe_i32 v63, v22, 0, 8
	v_bfe_i32 v66, v22, 8, 8
	;; [unrolled: 1-line block ×8, first 2 shown]
	v_dual_ashrrev_i32 v75, 24, v25 :: v_dual_ashrrev_i32 v76, 24, v24
	v_cvt_f32_i32_e32 v25, v55
	v_cvt_f32_i32_e32 v30, v63
	;; [unrolled: 1-line block ×3, first 2 shown]
	v_add_nc_u64_e32 v[10:11], 0x400, v[10:11]
	s_wait_loadcnt 0x4
	v_bfe_i32 v16, v34, 0, 8
	s_wait_loadcnt 0x3
	v_bfe_i32 v53, v50, 16, 8
	s_wait_loadcnt 0x1
	v_ashrrev_i32_e32 v83, 24, v27
	v_bfe_i32 v77, v26, 0, 8
	v_cvt_f32_i32_e32 v16, v16
	v_bfe_i32 v78, v27, 0, 8
	v_bfe_i32 v79, v27, 8, 8
	;; [unrolled: 1-line block ×4, first 2 shown]
	v_pk_fma_f32 v[8:9], v[14:15], v[16:17], v[8:9] op_sel_hi:[1,0,1]
	v_cvt_f32_i32_e32 v14, v39
	v_cvt_f32_i32_e32 v15, v40
	v_ashrrev_i32_e32 v39, 24, v22
	v_bfe_i32 v82, v26, 16, 8
	v_dual_ashrrev_i32 v84, 24, v26 :: v_dual_ashrrev_i32 v91, 24, v29
	s_delay_alu instid0(VALU_DEP_4)
	v_pk_fma_f32 v[6:7], v[14:15], v[16:17], v[6:7] op_sel_hi:[1,0,1]
	v_bfe_i32 v16, v34, 8, 8
	v_cvt_f32_i32_e32 v15, v32
	v_cvt_f32_i32_e32 v14, v33
	;; [unrolled: 1-line block ×6, first 2 shown]
	v_ashrrev_i32_e32 v54, 24, v50
	v_bfe_i32 v40, v24, 0, 8
	v_bfe_i32 v85, v28, 0, 8
	v_pk_fma_f32 v[8:9], v[14:15], v[16:17], v[8:9] op_sel_hi:[1,0,1]
	v_cvt_f32_i32_e32 v15, v41
	v_cvt_f32_i32_e32 v14, v42
	v_bfe_i32 v86, v29, 0, 8
	v_bfe_i32 v87, v29, 8, 8
	;; [unrolled: 1-line block ×4, first 2 shown]
	v_pk_fma_f32 v[6:7], v[14:15], v[16:17], v[6:7] op_sel_hi:[1,0,1]
	v_bfe_i32 v16, v34, 16, 8
	v_cvt_f32_i32_e32 v15, v35
	v_cvt_f32_i32_e32 v14, v36
	v_bfe_i32 v90, v28, 16, 8
	v_ashrrev_i32_e32 v92, 24, v28
	v_cvt_f32_i32_e32 v16, v16
	v_cvt_f32_i32_e32 v24, v56
	;; [unrolled: 1-line block ×5, first 2 shown]
	v_pk_fma_f32 v[8:9], v[14:15], v[16:17], v[8:9] op_sel_hi:[1,0,1]
	v_cvt_f32_i32_e32 v15, v43
	v_cvt_f32_i32_e32 v14, v44
	;; [unrolled: 1-line block ×6, first 2 shown]
	v_pk_fma_f32 v[6:7], v[14:15], v[16:17], v[6:7] op_sel_hi:[1,0,1]
	v_ashrrev_i32_e32 v16, 24, v34
	v_cvt_f32_i32_e32 v15, v37
	v_cvt_f32_i32_e32 v14, v38
	;; [unrolled: 1-line block ×9, first 2 shown]
	v_pk_fma_f32 v[8:9], v[14:15], v[16:17], v[8:9] op_sel_hi:[1,0,1]
	v_cvt_f32_i32_e32 v15, v17
	v_cvt_f32_i32_e32 v14, v45
	;; [unrolled: 1-line block ×5, first 2 shown]
	s_delay_alu instid0(VALU_DEP_4)
	v_pk_fma_f32 v[6:7], v[14:15], v[16:17], v[6:7] op_sel_hi:[1,0,1]
	v_bfe_i32 v16, v50, 0, 8
	v_cvt_f32_i32_e32 v14, v46
	v_cvt_f32_i32_e32 v15, v47
	;; [unrolled: 1-line block ×5, first 2 shown]
	s_delay_alu instid0(VALU_DEP_1)
	v_pk_fma_f32 v[8:9], v[14:15], v[16:17], v[8:9] op_sel_hi:[1,0,1]
	v_cvt_f32_i32_e32 v14, v18
	v_cvt_f32_i32_e32 v15, v19
	v_bfe_i32 v17, v50, 8, 8
	v_cvt_f32_i32_e32 v19, v48
	v_cvt_f32_i32_e32 v18, v49
	;; [unrolled: 1-line block ×4, first 2 shown]
	v_pk_fma_f32 v[6:7], v[14:15], v[16:17], v[6:7] op_sel_hi:[1,0,1]
	v_cvt_f32_i32_e32 v16, v17
	v_cvt_f32_i32_e32 v48, v80
	;; [unrolled: 1-line block ×4, first 2 shown]
	s_delay_alu instid0(VALU_DEP_4)
	v_pk_fma_f32 v[8:9], v[18:19], v[16:17], v[8:9] op_sel_hi:[1,0,1]
	v_pk_fma_f32 v[6:7], v[20:21], v[16:17], v[6:7] op_sel_hi:[1,0,1]
	v_bfe_i32 v19, v51, 0, 8
	v_cvt_f32_i32_e32 v18, v54
	v_bfe_i32 v21, v51, 8, 8
	v_pk_fma_f32 v[8:9], v[22:23], v[50:51], v[8:9] op_sel_hi:[1,0,1]
	v_pk_fma_f32 v[6:7], v[26:27], v[50:51], v[6:7] op_sel_hi:[1,0,1]
	v_cvt_f32_i32_e32 v20, v19
	v_bfe_i32 v23, v51, 16, 8
	v_cvt_f32_i32_e32 v22, v21
	v_pk_fma_f32 v[8:9], v[24:25], v[18:19], v[8:9] op_sel_hi:[1,0,1]
	v_pk_fma_f32 v[6:7], v[28:29], v[18:19], v[6:7] op_sel_hi:[1,0,1]
	v_ashrrev_i32_e32 v24, 24, v51
	v_cvt_f32_i32_e32 v18, v85
	v_cvt_f32_i32_e32 v19, v86
	v_pk_fma_f32 v[8:9], v[30:31], v[20:21], v[8:9] op_sel_hi:[1,0,1]
	v_pk_fma_f32 v[6:7], v[38:39], v[20:21], v[6:7] op_sel_hi:[1,0,1]
	v_cvt_f32_i32_e32 v20, v23
	v_cvt_f32_i32_e32 v21, v87
	s_wait_loadcnt 0x0
	v_bfe_i32 v25, v52, 8, 8
	v_pk_fma_f32 v[8:9], v[32:33], v[22:23], v[8:9] op_sel_hi:[1,0,1]
	v_pk_fma_f32 v[6:7], v[40:41], v[22:23], v[6:7] op_sel_hi:[1,0,1]
	v_bfe_i32 v23, v52, 0, 8
	v_cvt_f32_i32_e32 v22, v24
	v_bfe_i32 v27, v52, 16, 8
	v_pk_fma_f32 v[8:9], v[34:35], v[20:21], v[8:9] op_sel_hi:[1,0,1]
	v_pk_fma_f32 v[6:7], v[42:43], v[20:21], v[6:7] op_sel_hi:[1,0,1]
	v_cvt_f32_i32_e32 v24, v23
	v_cvt_f32_i32_e32 v20, v88
	;; [unrolled: 1-line block ×3, first 2 shown]
	v_pk_fma_f32 v[8:9], v[36:37], v[22:23], v[8:9] op_sel_hi:[1,0,1]
	v_pk_fma_f32 v[6:7], v[44:45], v[22:23], v[6:7] op_sel_hi:[1,0,1]
	v_cvt_f32_i32_e32 v23, v89
	v_cvt_f32_i32_e32 v22, v90
	;; [unrolled: 1-line block ×3, first 2 shown]
	v_pk_fma_f32 v[8:9], v[46:47], v[24:25], v[8:9] op_sel_hi:[1,0,1]
	v_pk_fma_f32 v[6:7], v[18:19], v[24:25], v[6:7] op_sel_hi:[1,0,1]
	v_ashrrev_i32_e32 v19, 24, v52
	v_cvt_f32_i32_e32 v18, v27
	v_cvt_f32_i32_e32 v16, v84
	v_pk_fma_f32 v[8:9], v[48:49], v[26:27], v[8:9] op_sel_hi:[1,0,1]
	v_pk_fma_f32 v[6:7], v[20:21], v[26:27], v[6:7] op_sel_hi:[1,0,1]
	v_cvt_f32_i32_e32 v21, v91
	v_cvt_f32_i32_e32 v20, v92
	;; [unrolled: 1-line block ×3, first 2 shown]
	v_pk_fma_f32 v[8:9], v[14:15], v[18:19], v[8:9] op_sel_hi:[1,0,1]
	v_pk_fma_f32 v[6:7], v[22:23], v[18:19], v[6:7] op_sel_hi:[1,0,1]
	s_delay_alu instid0(VALU_DEP_2) | instskip(NEXT) | instid1(VALU_DEP_2)
	v_pk_fma_f32 v[8:9], v[16:17], v[24:25], v[8:9] op_sel_hi:[1,0,1]
	v_pk_fma_f32 v[6:7], v[20:21], v[24:25], v[6:7] op_sel_hi:[1,0,1]
	s_and_not1_b32 exec_lo, exec_lo, s7
	s_cbranch_execnz .LBB77_21
; %bb.22:
	s_or_b32 exec_lo, exec_lo, s7
.LBB77_23:
	s_delay_alu instid0(SALU_CYCLE_1)
	s_or_b32 exec_lo, exec_lo, s6
.LBB77_24:
	s_delay_alu instid0(SALU_CYCLE_1)
	s_or_b32 exec_lo, exec_lo, s3
	s_cbranch_execz .LBB77_26
	s_branch .LBB77_37
.LBB77_25:
                                        ; implicit-def: $vgpr7
                                        ; implicit-def: $vgpr9
.LBB77_26:
	v_dual_mov_b32 v7, 0 :: v_dual_mov_b32 v6, 0
	v_dual_mov_b32 v9, 0 :: v_dual_mov_b32 v8, 0
	s_and_saveexec_b32 s3, s2
	s_cbranch_execz .LBB77_36
; %bb.27:
	v_dual_mov_b32 v8, 0 :: v_dual_add_nc_u32 v1, v13, v3
	v_not_b32_e32 v6, v13
	s_delay_alu instid0(VALU_DEP_2) | instskip(NEXT) | instid1(VALU_DEP_3)
	v_subrev_nc_u32_e32 v1, s16, v1
	v_mov_b32_e32 v9, v8
	s_delay_alu instid0(VALU_DEP_2) | instskip(NEXT) | instid1(VALU_DEP_1)
	v_add_max_i32_e64 v1, v1, 16, v12
	v_add3_u32 v1, s16, v1, v6
	s_delay_alu instid0(VALU_DEP_1) | instskip(NEXT) | instid1(VALU_DEP_1)
	v_dual_mov_b32 v6, v8 :: v_dual_sub_nc_u32 v1, v1, v3
	v_and_b32_e32 v7, 48, v1
	s_delay_alu instid0(VALU_DEP_1)
	v_cmp_ne_u32_e32 vcc_lo, 48, v7
	v_mov_b32_e32 v7, v8
	s_and_saveexec_b32 s2, vcc_lo
	s_cbranch_execz .LBB77_31
; %bb.28:
	v_dual_mov_b32 v7, 0 :: v_dual_lshrrev_b32 v6, 4, v1
	s_mov_b32 s6, 0
	s_delay_alu instid0(VALU_DEP_1) | instskip(NEXT) | instid1(VALU_DEP_1)
	v_dual_mov_b32 v9, v7 :: v_dual_add_nc_u32 v6, 1, v6
	v_dual_mov_b32 v6, v7 :: v_dual_bitop2_b32 v8, 3, v6 bitop3:0x40
	s_delay_alu instid0(VALU_DEP_1)
	v_dual_sub_nc_u32 v10, 0, v8 :: v_dual_mov_b32 v8, v7
.LBB77_29:                              ; =>This Inner Loop Header: Depth=1
	global_load_b32 v11, v0, s[8:9] scale_offset
	v_add_co_u32 v10, s7, v10, 1
	s_or_b32 s6, s7, s6
	s_wait_xcnt 0x0
	v_add_nc_u32_e32 v0, 16, v0
	s_wait_loadcnt 0x0
	v_subrev_nc_u32_e32 v11, s16, v11
	global_load_b128 v[14:17], v[4:5], off
	s_wait_kmcnt 0x0
	global_load_b32 v13, v11, s[4:5] scale_offset
	s_wait_xcnt 0x1
	v_add_nc_u64_e32 v[4:5], 0x100, v[4:5]
	s_wait_loadcnt 0x1
	s_wait_xcnt 0x0
	v_bfe_i32 v11, v14, 8, 8
	v_bfe_i32 v18, v14, 0, 8
	v_dual_ashrrev_i32 v19, 24, v14 :: v_dual_ashrrev_i32 v27, 24, v15
	v_bfe_i32 v20, v14, 16, 8
	v_bfe_i32 v21, v15, 8, 8
	;; [unrolled: 1-line block ×8, first 2 shown]
	v_dual_ashrrev_i32 v29, 24, v16 :: v_dual_ashrrev_i32 v31, 24, v17
	v_cvt_f32_i32_e32 v15, v11
	s_wait_loadcnt 0x0
	v_bfe_i32 v11, v13, 0, 8
	v_bfe_i32 v30, v16, 16, 8
	;; [unrolled: 1-line block ×3, first 2 shown]
	v_cvt_f32_i32_e32 v14, v18
	v_cvt_f32_i32_e32 v17, v19
	;; [unrolled: 1-line block ×11, first 2 shown]
	v_bfe_i32 v28, v13, 8, 8
	v_cvt_f32_i32_e32 v26, v11
	v_cvt_f32_i32_e32 v27, v29
	v_bfe_i32 v11, v13, 16, 8
	v_ashrrev_i32_e32 v13, 24, v13
	v_cvt_f32_i32_e32 v28, v28
	s_delay_alu instid0(VALU_DEP_4)
	v_pk_fma_f32 v[8:9], v[14:15], v[26:27], v[8:9] op_sel_hi:[1,0,1]
	v_pk_fma_f32 v[6:7], v[16:17], v[26:27], v[6:7] op_sel_hi:[1,0,1]
	v_cvt_f32_i32_e32 v26, v30
	v_cvt_f32_i32_e32 v14, v11
	;; [unrolled: 1-line block ×3, first 2 shown]
	v_pk_fma_f32 v[8:9], v[18:19], v[28:29], v[8:9] op_sel_hi:[1,0,1]
	v_pk_fma_f32 v[6:7], v[24:25], v[28:29], v[6:7] op_sel_hi:[1,0,1]
	v_cvt_f32_i32_e32 v16, v32
	v_cvt_f32_i32_e32 v18, v13
	s_delay_alu instid0(VALU_DEP_4) | instskip(NEXT) | instid1(VALU_DEP_4)
	v_pk_fma_f32 v[8:9], v[20:21], v[14:15], v[8:9] op_sel_hi:[1,0,1]
	v_pk_fma_f32 v[6:7], v[26:27], v[14:15], v[6:7] op_sel_hi:[1,0,1]
	s_delay_alu instid0(VALU_DEP_2) | instskip(NEXT) | instid1(VALU_DEP_2)
	v_pk_fma_f32 v[8:9], v[22:23], v[18:19], v[8:9] op_sel_hi:[1,0,1]
	v_pk_fma_f32 v[6:7], v[16:17], v[18:19], v[6:7] op_sel_hi:[1,0,1]
	s_and_not1_b32 exec_lo, exec_lo, s6
	s_cbranch_execnz .LBB77_29
; %bb.30:
	s_or_b32 exec_lo, exec_lo, s6
.LBB77_31:
	s_delay_alu instid0(SALU_CYCLE_1) | instskip(NEXT) | instid1(SALU_CYCLE_1)
	s_or_b32 exec_lo, exec_lo, s2
	s_mov_b32 s2, exec_lo
	v_cmpx_lt_u32_e32 47, v1
	s_cbranch_execz .LBB77_35
; %bb.32:
	s_mov_b32 s6, 0
.LBB77_33:                              ; =>This Inner Loop Header: Depth=1
	s_clause 0x3
	global_load_b32 v1, v0, s[8:9] scale_offset
	global_load_b32 v10, v0, s[8:9] offset:64 scale_offset
	global_load_b32 v11, v0, s[8:9] offset:128 scale_offset
	;; [unrolled: 1-line block ×3, first 2 shown]
	s_clause 0x2
	global_load_b128 v[14:17], v[4:5], off
	global_load_b128 v[18:21], v[4:5], off offset:256
	global_load_b128 v[22:25], v[4:5], off offset:512
	s_wait_xcnt 0x3
	v_add_nc_u32_e32 v0, 64, v0
	s_delay_alu instid0(VALU_DEP_1)
	v_cmp_ge_i32_e32 vcc_lo, v0, v12
	s_or_b32 s6, vcc_lo, s6
	s_wait_loadcnt 0x6
	v_subrev_nc_u32_e32 v1, s16, v1
	s_wait_loadcnt 0x5
	v_subrev_nc_u32_e32 v10, s16, v10
	;; [unrolled: 2-line block ×4, first 2 shown]
	s_wait_kmcnt 0x0
	s_clause 0x2
	global_load_b32 v30, v1, s[4:5] scale_offset
	global_load_b32 v47, v10, s[4:5] scale_offset
	;; [unrolled: 1-line block ×3, first 2 shown]
	global_load_b128 v[26:29], v[4:5], off offset:768
	global_load_b32 v50, v13, s[4:5] scale_offset
	s_wait_loadcnt 0x7
	s_wait_xcnt 0x4
	v_bfe_i32 v1, v14, 8, 8
	s_wait_xcnt 0x3
	v_bfe_i32 v10, v14, 0, 8
	s_wait_xcnt 0x0
	v_dual_ashrrev_i32 v13, 24, v14 :: v_dual_ashrrev_i32 v38, 24, v15
	v_bfe_i32 v31, v14, 16, 8
	v_cvt_f32_i32_e32 v11, v1
	v_bfe_i32 v32, v15, 8, 8
	v_bfe_i32 v33, v15, 0, 8
	;; [unrolled: 1-line block ×3, first 2 shown]
	v_cvt_f32_i32_e32 v10, v10
	s_wait_loadcnt 0x5
	v_ashrrev_i32_e32 v61, 24, v22
	v_bfe_i32 v34, v16, 8, 8
	v_bfe_i32 v35, v16, 0, 8
	v_dual_ashrrev_i32 v39, 24, v16 :: v_dual_ashrrev_i32 v40, 24, v17
	v_bfe_i32 v16, v16, 16, 8
	v_bfe_i32 v36, v17, 8, 8
	v_bfe_i32 v37, v17, 0, 8
	v_bfe_i32 v17, v17, 16, 8
	v_bfe_i32 v41, v18, 8, 8
	v_bfe_i32 v42, v18, 0, 8
	v_dual_ashrrev_i32 v43, 24, v18 :: v_dual_ashrrev_i32 v53, 24, v19
	v_bfe_i32 v18, v18, 16, 8
	v_bfe_i32 v44, v19, 8, 8
	v_bfe_i32 v45, v19, 0, 8
	v_bfe_i32 v46, v20, 8, 8
	;; [unrolled: 7-line block ×3, first 2 shown]
	v_bfe_i32 v63, v23, 8, 8
	v_cvt_f32_i32_e32 v19, v46
	v_cvt_f32_i32_e32 v22, v54
	v_bfe_i32 v51, v21, 8, 8
	v_bfe_i32 v52, v21, 0, 8
	;; [unrolled: 1-line block ×6, first 2 shown]
	v_dual_ashrrev_i32 v67, 24, v24 :: v_dual_ashrrev_i32 v69, 24, v25
	v_bfe_i32 v68, v24, 16, 8
	v_bfe_i32 v70, v25, 16, 8
	v_cvt_f32_i32_e32 v25, v55
	v_cvt_f32_i32_e32 v21, v51
	;; [unrolled: 1-line block ×3, first 2 shown]
	v_add_nc_u64_e32 v[4:5], 0x400, v[4:5]
	s_wait_loadcnt 0x4
	v_bfe_i32 v1, v30, 0, 8
	s_wait_loadcnt 0x1
	v_bfe_i32 v71, v26, 8, 8
	v_bfe_i32 v72, v26, 0, 8
	s_delay_alu instid0(VALU_DEP_3) | instskip(SKIP_3) | instid1(VALU_DEP_4)
	v_cvt_f32_i32_e32 v14, v1
	v_bfe_i32 v1, v23, 0, 8
	v_dual_ashrrev_i32 v73, 24, v26 :: v_dual_ashrrev_i32 v81, 24, v27
	v_bfe_i32 v74, v26, 16, 8
	v_pk_fma_f32 v[8:9], v[10:11], v[14:15], v[8:9] op_sel_hi:[1,0,1]
	v_cvt_f32_i32_e32 v11, v13
	v_cvt_f32_i32_e32 v10, v31
	v_bfe_i32 v13, v24, 8, 8
	v_cvt_f32_i32_e32 v24, v56
	v_bfe_i32 v75, v27, 8, 8
	v_bfe_i32 v76, v27, 0, 8
	v_pk_fma_f32 v[6:7], v[10:11], v[14:15], v[6:7] op_sel_hi:[1,0,1]
	v_bfe_i32 v14, v30, 8, 8
	v_cvt_f32_i32_e32 v11, v32
	v_cvt_f32_i32_e32 v10, v33
	;; [unrolled: 1-line block ×3, first 2 shown]
	v_bfe_i32 v1, v47, 8, 8
	v_cvt_f32_i32_e32 v14, v14
	v_bfe_i32 v79, v29, 8, 8
	v_bfe_i32 v82, v27, 16, 8
	v_cvt_f32_i32_e32 v27, v57
	v_cvt_f32_i32_e32 v46, v1
	v_pk_fma_f32 v[8:9], v[10:11], v[14:15], v[8:9] op_sel_hi:[1,0,1]
	v_cvt_f32_i32_e32 v11, v38
	v_cvt_f32_i32_e32 v10, v15
	v_ashrrev_i32_e32 v15, 24, v23
	v_bfe_i32 v38, v23, 16, 8
	v_cvt_f32_i32_e32 v23, v53
	v_ashrrev_i32_e32 v1, 24, v47
	v_cvt_f32_i32_e32 v26, v58
	v_pk_fma_f32 v[6:7], v[10:11], v[14:15], v[6:7] op_sel_hi:[1,0,1]
	v_bfe_i32 v14, v30, 16, 8
	v_cvt_f32_i32_e32 v11, v34
	v_cvt_f32_i32_e32 v10, v35
	;; [unrolled: 1-line block ×3, first 2 shown]
	v_bfe_i32 v13, v47, 16, 8
	v_cvt_f32_i32_e32 v14, v14
	v_bfe_i32 v77, v28, 8, 8
	v_bfe_i32 v78, v28, 0, 8
	v_ashrrev_i32_e32 v83, 24, v28
	v_bfe_i32 v80, v29, 0, 8
	v_pk_fma_f32 v[8:9], v[10:11], v[14:15], v[8:9] op_sel_hi:[1,0,1]
	v_cvt_f32_i32_e32 v11, v39
	v_cvt_f32_i32_e32 v10, v16
	;; [unrolled: 1-line block ×3, first 2 shown]
	v_bfe_i32 v84, v28, 16, 8
	v_ashrrev_i32_e32 v85, 24, v29
	v_bfe_i32 v86, v29, 16, 8
	v_pk_fma_f32 v[6:7], v[10:11], v[14:15], v[6:7] op_sel_hi:[1,0,1]
	v_ashrrev_i32_e32 v14, 24, v30
	v_cvt_f32_i32_e32 v11, v36
	v_cvt_f32_i32_e32 v10, v37
	;; [unrolled: 1-line block ×9, first 2 shown]
	v_pk_fma_f32 v[8:9], v[10:11], v[14:15], v[8:9] op_sel_hi:[1,0,1]
	v_cvt_f32_i32_e32 v11, v40
	v_cvt_f32_i32_e32 v10, v17
	;; [unrolled: 1-line block ×6, first 2 shown]
	v_pk_fma_f32 v[6:7], v[10:11], v[14:15], v[6:7] op_sel_hi:[1,0,1]
	v_bfe_i32 v14, v47, 0, 8
	v_cvt_f32_i32_e32 v11, v41
	v_cvt_f32_i32_e32 v10, v42
	;; [unrolled: 1-line block ×9, first 2 shown]
	v_pk_fma_f32 v[8:9], v[10:11], v[14:15], v[8:9] op_sel_hi:[1,0,1]
	v_cvt_f32_i32_e32 v11, v43
	v_cvt_f32_i32_e32 v10, v18
	;; [unrolled: 1-line block ×4, first 2 shown]
	v_pk_fma_f32 v[8:9], v[16:17], v[46:47], v[8:9] op_sel_hi:[1,0,1]
	v_bfe_i32 v13, v49, 0, 8
	v_pk_fma_f32 v[6:7], v[10:11], v[14:15], v[6:7] op_sel_hi:[1,0,1]
	v_cvt_f32_i32_e32 v43, v69
	v_cvt_f32_i32_e32 v11, v73
	v_pk_fma_f32 v[8:9], v[18:19], v[48:49], v[8:9] op_sel_hi:[1,0,1]
	v_cvt_f32_i32_e32 v18, v13
	v_pk_fma_f32 v[6:7], v[22:23], v[46:47], v[6:7] op_sel_hi:[1,0,1]
	v_cvt_f32_i32_e32 v22, v1
	v_bfe_i32 v1, v49, 8, 8
	v_cvt_f32_i32_e32 v19, v79
	v_bfe_i32 v13, v49, 16, 8
	v_pk_fma_f32 v[6:7], v[24:25], v[48:49], v[6:7] op_sel_hi:[1,0,1]
	v_pk_fma_f32 v[8:9], v[20:21], v[22:23], v[8:9] op_sel_hi:[1,0,1]
	v_cvt_f32_i32_e32 v20, v1
	v_ashrrev_i32_e32 v1, 24, v49
	v_cvt_f32_i32_e32 v10, v74
	v_pk_fma_f32 v[6:7], v[26:27], v[22:23], v[6:7] op_sel_hi:[1,0,1]
	v_pk_fma_f32 v[8:9], v[28:29], v[18:19], v[8:9] op_sel_hi:[1,0,1]
	v_cvt_f32_i32_e32 v22, v13
	s_wait_loadcnt 0x0
	v_bfe_i32 v13, v50, 0, 8
	v_cvt_f32_i32_e32 v24, v1
	v_pk_fma_f32 v[6:7], v[30:31], v[18:19], v[6:7] op_sel_hi:[1,0,1]
	v_pk_fma_f32 v[8:9], v[32:33], v[20:21], v[8:9] op_sel_hi:[1,0,1]
	v_bfe_i32 v1, v50, 8, 8
	v_cvt_f32_i32_e32 v15, v75
	v_cvt_f32_i32_e32 v14, v76
	v_pk_fma_f32 v[6:7], v[38:39], v[20:21], v[6:7] op_sel_hi:[1,0,1]
	v_pk_fma_f32 v[8:9], v[34:35], v[22:23], v[8:9] op_sel_hi:[1,0,1]
	v_cvt_f32_i32_e32 v21, v81
	v_cvt_f32_i32_e32 v20, v82
	;; [unrolled: 1-line block ×3, first 2 shown]
	v_pk_fma_f32 v[6:7], v[40:41], v[22:23], v[6:7] op_sel_hi:[1,0,1]
	v_cvt_f32_i32_e32 v22, v13
	v_pk_fma_f32 v[8:9], v[36:37], v[24:25], v[8:9] op_sel_hi:[1,0,1]
	v_cvt_f32_i32_e32 v23, v83
	v_bfe_i32 v13, v50, 16, 8
	v_pk_fma_f32 v[6:7], v[42:43], v[24:25], v[6:7] op_sel_hi:[1,0,1]
	v_cvt_f32_i32_e32 v24, v1
	v_cvt_f32_i32_e32 v16, v78
	v_pk_fma_f32 v[8:9], v[44:45], v[22:23], v[8:9] op_sel_hi:[1,0,1]
	v_ashrrev_i32_e32 v1, 24, v50
	v_pk_fma_f32 v[6:7], v[10:11], v[22:23], v[6:7] op_sel_hi:[1,0,1]
	v_cvt_f32_i32_e32 v22, v84
	v_cvt_f32_i32_e32 v10, v13
	v_pk_fma_f32 v[8:9], v[14:15], v[24:25], v[8:9] op_sel_hi:[1,0,1]
	v_cvt_f32_i32_e32 v18, v80
	v_pk_fma_f32 v[6:7], v[20:21], v[24:25], v[6:7] op_sel_hi:[1,0,1]
	v_cvt_f32_i32_e32 v15, v85
	v_cvt_f32_i32_e32 v14, v86
	;; [unrolled: 1-line block ×3, first 2 shown]
	v_pk_fma_f32 v[8:9], v[16:17], v[10:11], v[8:9] op_sel_hi:[1,0,1]
	v_pk_fma_f32 v[6:7], v[22:23], v[10:11], v[6:7] op_sel_hi:[1,0,1]
	s_delay_alu instid0(VALU_DEP_2) | instskip(NEXT) | instid1(VALU_DEP_2)
	v_pk_fma_f32 v[8:9], v[18:19], v[20:21], v[8:9] op_sel_hi:[1,0,1]
	v_pk_fma_f32 v[6:7], v[14:15], v[20:21], v[6:7] op_sel_hi:[1,0,1]
	s_and_not1_b32 exec_lo, exec_lo, s6
	s_cbranch_execnz .LBB77_33
; %bb.34:
	s_or_b32 exec_lo, exec_lo, s6
.LBB77_35:
	s_delay_alu instid0(SALU_CYCLE_1)
	s_or_b32 exec_lo, exec_lo, s2
.LBB77_36:
	s_delay_alu instid0(SALU_CYCLE_1)
	s_or_b32 exec_lo, exec_lo, s3
.LBB77_37:
	v_mbcnt_lo_u32_b32 v10, -1, 0
	s_mov_b32 s2, -1
	s_delay_alu instid0(VALU_DEP_1) | instskip(SKIP_1) | instid1(VALU_DEP_1)
	v_xor_b32_e32 v11, 4, v10
	v_xor_b32_e32 v0, 8, v10
	v_cmp_gt_i32_e32 vcc_lo, 32, v0
	v_cndmask_b32_e32 v0, v10, v0, vcc_lo
	s_delay_alu instid0(VALU_DEP_4) | instskip(SKIP_1) | instid1(VALU_DEP_1)
	v_cmp_gt_i32_e32 vcc_lo, 32, v11
	v_cndmask_b32_e32 v11, v10, v11, vcc_lo
	v_dual_lshlrev_b32 v11, 2, v11 :: v_dual_lshlrev_b32 v5, 2, v0
	ds_bpermute_b32 v0, v5, v8
	ds_bpermute_b32 v1, v5, v9
	;; [unrolled: 1-line block ×4, first 2 shown]
	s_wait_dscnt 0x2
	v_pk_add_f32 v[0:1], v[8:9], v[0:1]
	s_wait_dscnt 0x0
	v_pk_add_f32 v[4:5], v[6:7], v[4:5]
	ds_bpermute_b32 v6, v11, v0
	ds_bpermute_b32 v7, v11, v1
	ds_bpermute_b32 v8, v11, v4
	ds_bpermute_b32 v9, v11, v5
	v_xor_b32_e32 v11, 2, v10
	s_delay_alu instid0(VALU_DEP_1) | instskip(SKIP_1) | instid1(VALU_DEP_1)
	v_cmp_gt_i32_e32 vcc_lo, 32, v11
	v_cndmask_b32_e32 v11, v10, v11, vcc_lo
	v_lshlrev_b32_e32 v11, 2, v11
	s_wait_dscnt 0x2
	v_pk_add_f32 v[0:1], v[0:1], v[6:7]
	s_wait_dscnt 0x0
	v_pk_add_f32 v[4:5], v[4:5], v[8:9]
	ds_bpermute_b32 v6, v11, v0
	ds_bpermute_b32 v7, v11, v1
	;; [unrolled: 1-line block ×4, first 2 shown]
	v_xor_b32_e32 v11, 1, v10
	s_delay_alu instid0(VALU_DEP_1) | instskip(SKIP_2) | instid1(VALU_DEP_2)
	v_cmp_gt_i32_e32 vcc_lo, 32, v11
	v_cndmask_b32_e32 v10, v10, v11, vcc_lo
	v_cmp_eq_u32_e32 vcc_lo, 15, v3
	v_lshlrev_b32_e32 v10, 2, v10
	s_wait_dscnt 0x2
	v_pk_add_f32 v[0:1], v[0:1], v[6:7]
	s_wait_dscnt 0x0
	v_pk_add_f32 v[6:7], v[4:5], v[8:9]
	ds_bpermute_b32 v4, v10, v0
	ds_bpermute_b32 v5, v10, v1
	;; [unrolled: 1-line block ×4, first 2 shown]
	s_and_b32 exec_lo, exec_lo, vcc_lo
	s_cbranch_execz .LBB77_10
; %bb.38:
	s_load_b64 s[0:1], s[0:1], 0x50
	s_wait_dscnt 0x2
	v_pk_add_f32 v[4:5], v[0:1], v[4:5]
	s_wait_dscnt 0x0
	v_pk_add_f32 v[0:1], v[6:7], v[8:9]
	v_lshlrev_b32_e32 v2, 2, v2
	s_cmp_eq_f32 s14, 0
	s_cbranch_scc0 .LBB77_40
; %bb.39:
	s_delay_alu instid0(VALU_DEP_1)
	v_ashrrev_i32_e32 v3, 31, v2
	v_pk_mul_f32 v[6:7], s[12:13], v[4:5] op_sel_hi:[0,1]
	v_pk_mul_f32 v[8:9], s[12:13], v[0:1] op_sel_hi:[0,1]
	s_mov_b32 s2, 0
	s_wait_kmcnt 0x0
	v_lshl_add_u64 v[10:11], v[2:3], 2, s[0:1]
	global_store_b128 v[10:11], v[6:9], off
.LBB77_40:
	s_and_not1_b32 vcc_lo, exec_lo, s2
	s_cbranch_vccnz .LBB77_10
; %bb.41:
	v_ashrrev_i32_e32 v3, 31, v2
	s_wait_kmcnt 0x0
	s_delay_alu instid0(VALU_DEP_1)
	v_lshl_add_u64 v[10:11], v[2:3], 2, s[0:1]
	v_pk_mul_f32 v[2:3], s[12:13], v[4:5] op_sel_hi:[0,1]
	v_pk_mul_f32 v[4:5], s[12:13], v[0:1] op_sel_hi:[0,1]
	global_load_b128 v[6:9], v[10:11], off
	s_wait_loadcnt 0x0
	v_pk_fma_f32 v[0:1], s[14:15], v[6:7], v[2:3] op_sel_hi:[0,1,1]
	v_pk_fma_f32 v[2:3], s[14:15], v[8:9], v[4:5] op_sel_hi:[0,1,1]
	global_store_b128 v[10:11], v[0:3], off
	s_sendmsg sendmsg(MSG_DEALLOC_VGPRS)
	s_endpgm
	.section	.rodata,"a",@progbits
	.p2align	6, 0x0
	.amdhsa_kernel _ZN9rocsparseL18bsrxmvn_4x4_kernelILj128ELj16EfiiaafEEvT3_20rocsparse_direction_NS_24const_host_device_scalarIT1_EES1_PKS1_PKT2_SA_S7_PKT4_PKT5_S5_PT6_21rocsparse_index_base_b
		.amdhsa_group_segment_fixed_size 0
		.amdhsa_private_segment_fixed_size 0
		.amdhsa_kernarg_size 96
		.amdhsa_user_sgpr_count 2
		.amdhsa_user_sgpr_dispatch_ptr 0
		.amdhsa_user_sgpr_queue_ptr 0
		.amdhsa_user_sgpr_kernarg_segment_ptr 1
		.amdhsa_user_sgpr_dispatch_id 0
		.amdhsa_user_sgpr_kernarg_preload_length 0
		.amdhsa_user_sgpr_kernarg_preload_offset 0
		.amdhsa_user_sgpr_private_segment_size 0
		.amdhsa_wavefront_size32 1
		.amdhsa_uses_dynamic_stack 0
		.amdhsa_enable_private_segment 0
		.amdhsa_system_sgpr_workgroup_id_x 1
		.amdhsa_system_sgpr_workgroup_id_y 0
		.amdhsa_system_sgpr_workgroup_id_z 0
		.amdhsa_system_sgpr_workgroup_info 0
		.amdhsa_system_vgpr_workitem_id 0
		.amdhsa_next_free_vgpr 93
		.amdhsa_next_free_sgpr 18
		.amdhsa_named_barrier_count 0
		.amdhsa_reserve_vcc 1
		.amdhsa_float_round_mode_32 0
		.amdhsa_float_round_mode_16_64 0
		.amdhsa_float_denorm_mode_32 3
		.amdhsa_float_denorm_mode_16_64 3
		.amdhsa_fp16_overflow 0
		.amdhsa_memory_ordered 1
		.amdhsa_forward_progress 1
		.amdhsa_inst_pref_size 40
		.amdhsa_round_robin_scheduling 0
		.amdhsa_exception_fp_ieee_invalid_op 0
		.amdhsa_exception_fp_denorm_src 0
		.amdhsa_exception_fp_ieee_div_zero 0
		.amdhsa_exception_fp_ieee_overflow 0
		.amdhsa_exception_fp_ieee_underflow 0
		.amdhsa_exception_fp_ieee_inexact 0
		.amdhsa_exception_int_div_zero 0
	.end_amdhsa_kernel
	.section	.text._ZN9rocsparseL18bsrxmvn_4x4_kernelILj128ELj16EfiiaafEEvT3_20rocsparse_direction_NS_24const_host_device_scalarIT1_EES1_PKS1_PKT2_SA_S7_PKT4_PKT5_S5_PT6_21rocsparse_index_base_b,"axG",@progbits,_ZN9rocsparseL18bsrxmvn_4x4_kernelILj128ELj16EfiiaafEEvT3_20rocsparse_direction_NS_24const_host_device_scalarIT1_EES1_PKS1_PKT2_SA_S7_PKT4_PKT5_S5_PT6_21rocsparse_index_base_b,comdat
.Lfunc_end77:
	.size	_ZN9rocsparseL18bsrxmvn_4x4_kernelILj128ELj16EfiiaafEEvT3_20rocsparse_direction_NS_24const_host_device_scalarIT1_EES1_PKS1_PKT2_SA_S7_PKT4_PKT5_S5_PT6_21rocsparse_index_base_b, .Lfunc_end77-_ZN9rocsparseL18bsrxmvn_4x4_kernelILj128ELj16EfiiaafEEvT3_20rocsparse_direction_NS_24const_host_device_scalarIT1_EES1_PKS1_PKT2_SA_S7_PKT4_PKT5_S5_PT6_21rocsparse_index_base_b
                                        ; -- End function
	.set _ZN9rocsparseL18bsrxmvn_4x4_kernelILj128ELj16EfiiaafEEvT3_20rocsparse_direction_NS_24const_host_device_scalarIT1_EES1_PKS1_PKT2_SA_S7_PKT4_PKT5_S5_PT6_21rocsparse_index_base_b.num_vgpr, 93
	.set _ZN9rocsparseL18bsrxmvn_4x4_kernelILj128ELj16EfiiaafEEvT3_20rocsparse_direction_NS_24const_host_device_scalarIT1_EES1_PKS1_PKT2_SA_S7_PKT4_PKT5_S5_PT6_21rocsparse_index_base_b.num_agpr, 0
	.set _ZN9rocsparseL18bsrxmvn_4x4_kernelILj128ELj16EfiiaafEEvT3_20rocsparse_direction_NS_24const_host_device_scalarIT1_EES1_PKS1_PKT2_SA_S7_PKT4_PKT5_S5_PT6_21rocsparse_index_base_b.numbered_sgpr, 18
	.set _ZN9rocsparseL18bsrxmvn_4x4_kernelILj128ELj16EfiiaafEEvT3_20rocsparse_direction_NS_24const_host_device_scalarIT1_EES1_PKS1_PKT2_SA_S7_PKT4_PKT5_S5_PT6_21rocsparse_index_base_b.num_named_barrier, 0
	.set _ZN9rocsparseL18bsrxmvn_4x4_kernelILj128ELj16EfiiaafEEvT3_20rocsparse_direction_NS_24const_host_device_scalarIT1_EES1_PKS1_PKT2_SA_S7_PKT4_PKT5_S5_PT6_21rocsparse_index_base_b.private_seg_size, 0
	.set _ZN9rocsparseL18bsrxmvn_4x4_kernelILj128ELj16EfiiaafEEvT3_20rocsparse_direction_NS_24const_host_device_scalarIT1_EES1_PKS1_PKT2_SA_S7_PKT4_PKT5_S5_PT6_21rocsparse_index_base_b.uses_vcc, 1
	.set _ZN9rocsparseL18bsrxmvn_4x4_kernelILj128ELj16EfiiaafEEvT3_20rocsparse_direction_NS_24const_host_device_scalarIT1_EES1_PKS1_PKT2_SA_S7_PKT4_PKT5_S5_PT6_21rocsparse_index_base_b.uses_flat_scratch, 0
	.set _ZN9rocsparseL18bsrxmvn_4x4_kernelILj128ELj16EfiiaafEEvT3_20rocsparse_direction_NS_24const_host_device_scalarIT1_EES1_PKS1_PKT2_SA_S7_PKT4_PKT5_S5_PT6_21rocsparse_index_base_b.has_dyn_sized_stack, 0
	.set _ZN9rocsparseL18bsrxmvn_4x4_kernelILj128ELj16EfiiaafEEvT3_20rocsparse_direction_NS_24const_host_device_scalarIT1_EES1_PKS1_PKT2_SA_S7_PKT4_PKT5_S5_PT6_21rocsparse_index_base_b.has_recursion, 0
	.set _ZN9rocsparseL18bsrxmvn_4x4_kernelILj128ELj16EfiiaafEEvT3_20rocsparse_direction_NS_24const_host_device_scalarIT1_EES1_PKS1_PKT2_SA_S7_PKT4_PKT5_S5_PT6_21rocsparse_index_base_b.has_indirect_call, 0
	.section	.AMDGPU.csdata,"",@progbits
; Kernel info:
; codeLenInByte = 5120
; TotalNumSgprs: 20
; NumVgprs: 93
; ScratchSize: 0
; MemoryBound: 0
; FloatMode: 240
; IeeeMode: 1
; LDSByteSize: 0 bytes/workgroup (compile time only)
; SGPRBlocks: 0
; VGPRBlocks: 5
; NumSGPRsForWavesPerEU: 20
; NumVGPRsForWavesPerEU: 93
; NamedBarCnt: 0
; Occupancy: 10
; WaveLimiterHint : 1
; COMPUTE_PGM_RSRC2:SCRATCH_EN: 0
; COMPUTE_PGM_RSRC2:USER_SGPR: 2
; COMPUTE_PGM_RSRC2:TRAP_HANDLER: 0
; COMPUTE_PGM_RSRC2:TGID_X_EN: 1
; COMPUTE_PGM_RSRC2:TGID_Y_EN: 0
; COMPUTE_PGM_RSRC2:TGID_Z_EN: 0
; COMPUTE_PGM_RSRC2:TIDIG_COMP_CNT: 0
	.section	.text._ZN9rocsparseL18bsrxmvn_4x4_kernelILj128ELj32EfiiaafEEvT3_20rocsparse_direction_NS_24const_host_device_scalarIT1_EES1_PKS1_PKT2_SA_S7_PKT4_PKT5_S5_PT6_21rocsparse_index_base_b,"axG",@progbits,_ZN9rocsparseL18bsrxmvn_4x4_kernelILj128ELj32EfiiaafEEvT3_20rocsparse_direction_NS_24const_host_device_scalarIT1_EES1_PKS1_PKT2_SA_S7_PKT4_PKT5_S5_PT6_21rocsparse_index_base_b,comdat
	.globl	_ZN9rocsparseL18bsrxmvn_4x4_kernelILj128ELj32EfiiaafEEvT3_20rocsparse_direction_NS_24const_host_device_scalarIT1_EES1_PKS1_PKT2_SA_S7_PKT4_PKT5_S5_PT6_21rocsparse_index_base_b ; -- Begin function _ZN9rocsparseL18bsrxmvn_4x4_kernelILj128ELj32EfiiaafEEvT3_20rocsparse_direction_NS_24const_host_device_scalarIT1_EES1_PKS1_PKT2_SA_S7_PKT4_PKT5_S5_PT6_21rocsparse_index_base_b
	.p2align	8
	.type	_ZN9rocsparseL18bsrxmvn_4x4_kernelILj128ELj32EfiiaafEEvT3_20rocsparse_direction_NS_24const_host_device_scalarIT1_EES1_PKS1_PKT2_SA_S7_PKT4_PKT5_S5_PT6_21rocsparse_index_base_b,@function
_ZN9rocsparseL18bsrxmvn_4x4_kernelILj128ELj32EfiiaafEEvT3_20rocsparse_direction_NS_24const_host_device_scalarIT1_EES1_PKS1_PKT2_SA_S7_PKT4_PKT5_S5_PT6_21rocsparse_index_base_b: ; @_ZN9rocsparseL18bsrxmvn_4x4_kernelILj128ELj32EfiiaafEEvT3_20rocsparse_direction_NS_24const_host_device_scalarIT1_EES1_PKS1_PKT2_SA_S7_PKT4_PKT5_S5_PT6_21rocsparse_index_base_b
; %bb.0:
	s_clause 0x2
	s_load_b64 s[16:17], s[0:1], 0x58
	s_load_b64 s[12:13], s[0:1], 0x8
	;; [unrolled: 1-line block ×3, first 2 shown]
	s_wait_kmcnt 0x0
	s_bitcmp1_b32 s17, 0
	s_cselect_b32 s2, -1, 0
	s_delay_alu instid0(SALU_CYCLE_1)
	s_and_b32 vcc_lo, exec_lo, s2
	s_xor_b32 s2, s2, -1
	s_cbranch_vccnz .LBB78_2
; %bb.1:
	s_load_b32 s12, s[12:13], 0x0
.LBB78_2:
	s_and_not1_b32 vcc_lo, exec_lo, s2
	s_cbranch_vccnz .LBB78_4
; %bb.3:
	s_load_b32 s14, s[14:15], 0x0
.LBB78_4:
	s_wait_kmcnt 0x0
	s_cmp_neq_f32 s12, 0
	s_mov_b32 s6, 0
	s_cselect_b32 s2, -1, 0
	s_cmp_neq_f32 s14, 1.0
	s_cselect_b32 s3, -1, 0
	s_delay_alu instid0(SALU_CYCLE_1) | instskip(NEXT) | instid1(SALU_CYCLE_1)
	s_or_b32 s2, s2, s3
	s_and_not1_b32 vcc_lo, exec_lo, s2
	s_cbranch_vccnz .LBB78_10
; %bb.5:
	s_clause 0x1
	s_load_b64 s[4:5], s[0:1], 0x18
	s_load_b64 s[2:3], s[0:1], 0x0
	s_bfe_u32 s7, ttmp6, 0x4000c
	s_and_b32 s8, ttmp6, 15
	s_add_co_i32 s7, s7, 1
	s_getreg_b32 s9, hwreg(HW_REG_IB_STS2, 6, 4)
	s_mul_i32 s7, ttmp9, s7
	v_lshrrev_b32_e32 v1, 5, v0
	s_add_co_i32 s8, s8, s7
	s_cmp_eq_u32 s9, 0
	s_cselect_b32 s7, ttmp9, s8
	s_delay_alu instid0(VALU_DEP_1) | instid1(SALU_CYCLE_1)
	v_lshl_or_b32 v2, s7, 2, v1
	s_wait_kmcnt 0x0
	s_cmp_lg_u64 s[4:5], 0
	s_cbranch_scc0 .LBB78_11
; %bb.6:
	s_load_b32 s6, s[0:1], 0x10
	s_mov_b32 s7, 0
                                        ; implicit-def: $vgpr1
	s_wait_kmcnt 0x0
	v_cmp_gt_i32_e32 vcc_lo, s6, v2
	s_mov_b32 s6, 0
	s_and_saveexec_b32 s8, vcc_lo
	s_delay_alu instid0(SALU_CYCLE_1)
	s_xor_b32 s8, exec_lo, s8
	s_cbranch_execz .LBB78_8
; %bb.7:
	global_load_b32 v1, v2, s[4:5] scale_offset
	s_mov_b32 s6, exec_lo
	s_wait_loadcnt 0x0
	v_subrev_nc_u32_e32 v1, s16, v1
.LBB78_8:
	s_or_b32 exec_lo, exec_lo, s8
	s_delay_alu instid0(SALU_CYCLE_1)
	s_and_b32 vcc_lo, exec_lo, s7
	s_cbranch_vccz .LBB78_12
.LBB78_9:
	v_cmp_gt_i32_e32 vcc_lo, s2, v2
	s_and_not1_b32 s2, s6, exec_lo
	s_and_b32 s4, vcc_lo, exec_lo
	s_delay_alu instid0(SALU_CYCLE_1) | instskip(NEXT) | instid1(SALU_CYCLE_1)
	s_or_b32 s6, s2, s4
	s_and_saveexec_b32 s2, s6
	s_cbranch_execnz .LBB78_13
.LBB78_10:
	s_sendmsg sendmsg(MSG_DEALLOC_VGPRS)
	s_endpgm
.LBB78_11:
                                        ; implicit-def: $vgpr1
	s_cbranch_execnz .LBB78_9
.LBB78_12:
	s_delay_alu instid0(VALU_DEP_1)
	v_mov_b32_e32 v2, v1
	s_and_saveexec_b32 s2, s6
	s_cbranch_execz .LBB78_10
.LBB78_13:
	s_load_b256 s[4:11], s[0:1], 0x20
	s_wait_kmcnt 0x0
	s_cmp_eq_u64 s[6:7], 0
	global_load_b32 v13, v2, s[4:5] scale_offset
	s_cselect_b32 vcc_lo, -1, 0
	v_ashrrev_i32_e32 v3, 31, v2
	s_cmp_eq_u32 s3, 1
	s_delay_alu instid0(VALU_DEP_1) | instskip(SKIP_1) | instid1(VALU_DEP_2)
	v_lshlrev_b64_e32 v[4:5], 2, v[2:3]
	v_and_b32_e32 v3, 31, v0
	v_add_nc_u64_e32 v[6:7], s[4:5], v[4:5]
	v_add_nc_u64_e32 v[4:5], s[6:7], v[4:5]
	s_wait_xcnt 0x0
	s_load_b64 s[4:5], s[0:1], 0x40
	s_delay_alu instid0(VALU_DEP_2) | instskip(NEXT) | instid1(VALU_DEP_1)
	v_add_nc_u64_e32 v[6:7], 4, v[6:7]
	v_dual_cndmask_b32 v5, v5, v7 :: v_dual_cndmask_b32 v4, v4, v6
	global_load_b32 v4, v[4:5], off
	s_wait_loadcnt 0x1
	v_subrev_nc_u32_e32 v0, s16, v13
	s_delay_alu instid0(VALU_DEP_1) | instskip(NEXT) | instid1(VALU_DEP_1)
	v_add_nc_u32_e32 v0, v0, v3
	v_ashrrev_i32_e32 v1, 31, v0
	s_wait_loadcnt 0x0
	v_subrev_nc_u32_e32 v12, s16, v4
	s_delay_alu instid0(VALU_DEP_2) | instskip(NEXT) | instid1(VALU_DEP_2)
	v_lshl_add_u64 v[4:5], v[0:1], 4, s[10:11]
	v_cmp_lt_i32_e64 s2, v0, v12
	s_cbranch_scc1 .LBB78_25
; %bb.14:
	v_dual_mov_b32 v7, 0 :: v_dual_mov_b32 v6, 0
	v_dual_mov_b32 v9, 0 :: v_dual_mov_b32 v8, 0
	s_and_saveexec_b32 s3, s2
	s_cbranch_execz .LBB78_24
; %bb.15:
	v_dual_mov_b32 v8, 0 :: v_dual_add_nc_u32 v1, v13, v3
	v_not_b32_e32 v6, v13
	s_delay_alu instid0(VALU_DEP_2) | instskip(NEXT) | instid1(VALU_DEP_3)
	v_subrev_nc_u32_e32 v1, s16, v1
	v_dual_mov_b32 v9, v8 :: v_dual_mov_b32 v7, v8
	s_delay_alu instid0(VALU_DEP_2) | instskip(NEXT) | instid1(VALU_DEP_1)
	v_add_max_i32_e64 v1, v1, 32, v12
	v_add3_u32 v1, s16, v1, v6
	s_delay_alu instid0(VALU_DEP_1) | instskip(SKIP_1) | instid1(VALU_DEP_2)
	v_dual_mov_b32 v6, v8 :: v_dual_sub_nc_u32 v14, v1, v3
	v_mov_b32_e32 v1, v0
	v_and_b32_e32 v10, 0x60, v14
	s_delay_alu instid0(VALU_DEP_1)
	v_cmp_ne_u32_e32 vcc_lo, 0x60, v10
	v_mov_b64_e32 v[10:11], v[4:5]
	s_and_saveexec_b32 s6, vcc_lo
	s_cbranch_execz .LBB78_19
; %bb.16:
	v_dual_lshrrev_b32 v1, 5, v14 :: v_dual_mov_b32 v7, 0
	v_mov_b64_e32 v[10:11], v[4:5]
	s_mov_b32 s7, 0
	s_delay_alu instid0(VALU_DEP_2) | instskip(NEXT) | instid1(VALU_DEP_1)
	v_dual_mov_b32 v6, v7 :: v_dual_add_nc_u32 v1, 1, v1
	v_dual_mov_b32 v1, v0 :: v_dual_bitop2_b32 v8, 3, v1 bitop3:0x40
	s_delay_alu instid0(VALU_DEP_1)
	v_dual_mov_b32 v9, v7 :: v_dual_sub_nc_u32 v15, 0, v8
	v_mov_b32_e32 v8, v7
.LBB78_17:                              ; =>This Inner Loop Header: Depth=1
	global_load_b32 v16, v1, s[8:9] scale_offset
	v_add_co_u32 v15, s10, v15, 1
	s_or_b32 s7, s10, s7
	s_wait_xcnt 0x0
	v_add_nc_u32_e32 v1, 32, v1
	s_wait_loadcnt 0x0
	v_subrev_nc_u32_e32 v20, s16, v16
	global_load_b128 v[16:19], v[10:11], off
	s_wait_kmcnt 0x0
	global_load_b32 v27, v20, s[4:5] scale_offset
	s_wait_xcnt 0x1
	v_add_nc_u64_e32 v[10:11], 0x200, v[10:11]
	s_wait_loadcnt 0x1
	v_bfe_i32 v21, v16, 8, 8
	v_dual_ashrrev_i32 v26, 24, v17 :: v_dual_ashrrev_i32 v28, 24, v16
	s_wait_xcnt 0x0
	v_bfe_i32 v20, v16, 0, 8
	v_bfe_i32 v22, v17, 0, 8
	;; [unrolled: 1-line block ×6, first 2 shown]
	v_cvt_f32_i32_e32 v16, v21
	v_cvt_f32_i32_e32 v21, v26
	s_wait_loadcnt 0x0
	v_bfe_i32 v26, v27, 0, 8
	v_bfe_i32 v23, v17, 8, 8
	;; [unrolled: 1-line block ×5, first 2 shown]
	v_dual_ashrrev_i32 v35, 24, v19 :: v_dual_ashrrev_i32 v36, 24, v18
	v_cvt_f32_i32_e32 v37, v20
	v_cvt_f32_i32_e32 v38, v22
	;; [unrolled: 1-line block ×6, first 2 shown]
	v_bfe_i32 v29, v27, 8, 8
	v_cvt_f32_i32_e32 v31, v26
	v_bfe_i32 v34, v18, 16, 8
	v_cvt_f32_i32_e32 v17, v23
	v_cvt_f32_i32_e32 v22, v30
	;; [unrolled: 1-line block ×3, first 2 shown]
	v_bfe_i32 v30, v27, 16, 8
	v_cvt_f32_i32_e32 v26, v29
	v_dual_fmac_f32 v8, v37, v31 :: v_dual_fmac_f32 v9, v38, v31
	v_fmac_f32_e32 v6, v24, v31
	v_fmac_f32_e32 v7, v28, v31
	v_ashrrev_i32_e32 v27, 24, v27
	v_cvt_f32_i32_e32 v18, v25
	v_cvt_f32_i32_e32 v25, v33
	;; [unrolled: 1-line block ×4, first 2 shown]
	v_pk_fma_f32 v[8:9], v[16:17], v[26:27], v[8:9] op_sel_hi:[1,0,1]
	v_pk_fma_f32 v[6:7], v[22:23], v[26:27], v[6:7] op_sel_hi:[1,0,1]
	v_cvt_f32_i32_e32 v17, v35
	v_cvt_f32_i32_e32 v16, v36
	;; [unrolled: 1-line block ×3, first 2 shown]
	v_pk_fma_f32 v[8:9], v[18:19], v[28:29], v[8:9] op_sel_hi:[1,0,1]
	v_pk_fma_f32 v[6:7], v[24:25], v[28:29], v[6:7] op_sel_hi:[1,0,1]
	s_delay_alu instid0(VALU_DEP_2) | instskip(NEXT) | instid1(VALU_DEP_2)
	v_pk_fma_f32 v[8:9], v[20:21], v[22:23], v[8:9] op_sel_hi:[1,0,1]
	v_pk_fma_f32 v[6:7], v[16:17], v[22:23], v[6:7] op_sel_hi:[1,0,1]
	s_and_not1_b32 exec_lo, exec_lo, s7
	s_cbranch_execnz .LBB78_17
; %bb.18:
	s_or_b32 exec_lo, exec_lo, s7
.LBB78_19:
	s_delay_alu instid0(SALU_CYCLE_1) | instskip(NEXT) | instid1(SALU_CYCLE_1)
	s_or_b32 exec_lo, exec_lo, s6
	s_mov_b32 s6, exec_lo
	v_cmpx_lt_u32_e32 0x5f, v14
	s_cbranch_execz .LBB78_23
; %bb.20:
	s_mov_b32 s7, 0
.LBB78_21:                              ; =>This Inner Loop Header: Depth=1
	s_clause 0x3
	global_load_b128 v[14:17], v[10:11], off
	global_load_b128 v[18:21], v[10:11], off offset:512
	global_load_b128 v[22:25], v[10:11], off offset:1024
	;; [unrolled: 1-line block ×3, first 2 shown]
	s_wait_xcnt 0x0
	v_add_nc_u64_e32 v[10:11], 0x800, v[10:11]
	s_wait_loadcnt 0x3
	v_bfe_i32 v30, v14, 0, 8
	v_bfe_i32 v31, v14, 8, 8
	;; [unrolled: 1-line block ×6, first 2 shown]
	v_dual_ashrrev_i32 v36, 24, v15 :: v_dual_ashrrev_i32 v37, 24, v14
	v_bfe_i32 v14, v16, 0, 8
	v_bfe_i32 v38, v16, 8, 8
	v_bfe_i32 v15, v17, 0, 8
	v_bfe_i32 v39, v17, 8, 8
	v_bfe_i32 v40, v17, 16, 8
	v_bfe_i32 v41, v16, 16, 8
	v_dual_ashrrev_i32 v17, 24, v17 :: v_dual_ashrrev_i32 v42, 24, v16
	s_wait_loadcnt 0x2
	v_bfe_i32 v43, v18, 0, 8
	v_bfe_i32 v44, v18, 8, 8
	;; [unrolled: 1-line block ×6, first 2 shown]
	v_dual_ashrrev_i32 v49, 24, v19 :: v_dual_ashrrev_i32 v50, 24, v18
	v_bfe_i32 v18, v20, 0, 8
	v_bfe_i32 v19, v20, 8, 8
	;; [unrolled: 1-line block ×6, first 2 shown]
	v_dual_ashrrev_i32 v55, 24, v21 :: v_dual_ashrrev_i32 v56, 24, v20
	s_wait_loadcnt 0x1
	v_bfe_i32 v57, v22, 0, 8
	v_bfe_i32 v58, v22, 8, 8
	;; [unrolled: 1-line block ×3, first 2 shown]
	v_dual_ashrrev_i32 v63, 24, v23 :: v_dual_ashrrev_i32 v64, 24, v22
	s_clause 0x3
	global_load_b32 v16, v1, s[8:9] scale_offset
	global_load_b32 v20, v1, s[8:9] offset:128 scale_offset
	global_load_b32 v21, v1, s[8:9] offset:256 scale_offset
	;; [unrolled: 1-line block ×3, first 2 shown]
	v_bfe_i32 v59, v23, 0, 8
	v_bfe_i32 v60, v23, 8, 8
	;; [unrolled: 1-line block ×3, first 2 shown]
	v_cvt_f32_i32_e32 v14, v14
	v_cvt_f32_i32_e32 v89, v18
	v_cvt_f32_i32_e32 v18, v48
	v_cvt_f32_i32_e32 v48, v57
	s_wait_loadcnt 0x4
	v_bfe_i32 v84, v29, 16, 8
	v_cvt_f32_i32_e32 v88, v43
	v_cvt_f32_i32_e32 v51, v51
	v_bfe_i32 v77, v26, 16, 8
	v_dual_ashrrev_i32 v78, 24, v27 :: v_dual_ashrrev_i32 v79, 24, v26
	v_bfe_i32 v65, v24, 0, 8
	v_bfe_i32 v66, v24, 8, 8
	;; [unrolled: 1-line block ×6, first 2 shown]
	v_dual_ashrrev_i32 v71, 24, v25 :: v_dual_ashrrev_i32 v72, 24, v24
	v_bfe_i32 v76, v27, 0, 8
	v_cvt_f32_i32_e32 v25, v55
	v_cvt_f32_i32_e32 v24, v56
	v_bfe_i32 v80, v28, 0, 8
	v_bfe_i32 v81, v28, 8, 8
	;; [unrolled: 1-line block ×5, first 2 shown]
	v_cvt_f32_i32_e32 v55, v80
	s_wait_xcnt 0x0
	v_add_nc_u32_e32 v1, 0x80, v1
	v_cvt_f32_i32_e32 v56, v82
	v_cvt_f32_i32_e32 v43, v78
	v_ashrrev_i32_e32 v86, 24, v29
	v_cvt_f32_i32_e32 v29, v61
	v_cmp_ge_i32_e32 vcc_lo, v1, v12
	s_or_b32 s7, vcc_lo, s7
	s_wait_loadcnt 0x3
	v_subrev_nc_u32_e32 v16, s16, v16
	s_wait_loadcnt 0x2
	v_subrev_nc_u32_e32 v20, s16, v20
	s_wait_loadcnt 0x1
	v_subrev_nc_u32_e32 v21, s16, v21
	s_wait_loadcnt 0x0
	v_subrev_nc_u32_e32 v22, s16, v22
	s_wait_kmcnt 0x0
	s_clause 0x3
	global_load_b32 v23, v16, s[4:5] scale_offset
	global_load_b32 v73, v20, s[4:5] scale_offset
	;; [unrolled: 1-line block ×4, first 2 shown]
	s_wait_xcnt 0x3
	v_cvt_f32_i32_e32 v16, v30
	s_wait_xcnt 0x1
	v_cvt_f32_i32_e32 v21, v49
	;; [unrolled: 2-line block ×3, first 2 shown]
	v_cvt_f32_i32_e32 v49, v59
	v_cvt_f32_i32_e32 v30, v64
	;; [unrolled: 1-line block ×3, first 2 shown]
	s_wait_loadcnt 0x3
	v_bfe_i32 v20, v23, 0, 8
	s_wait_loadcnt 0x2
	v_ashrrev_i32_e32 v59, 24, v73
	s_wait_loadcnt 0x0
	v_bfe_i32 v61, v75, 16, 8
	v_cvt_f32_i32_e32 v20, v20
	s_delay_alu instid0(VALU_DEP_1)
	v_fmac_f32_e32 v8, v16, v20
	v_cvt_f32_i32_e32 v16, v32
	v_fmac_f32_e32 v6, v14, v20
	v_cvt_f32_i32_e32 v14, v15
	v_cvt_f32_i32_e32 v15, v33
	;; [unrolled: 1-line block ×3, first 2 shown]
	v_fmac_f32_e32 v9, v16, v20
	v_bfe_i32 v16, v23, 8, 8
	v_fmac_f32_e32 v7, v14, v20
	v_cvt_f32_i32_e32 v14, v31
	v_cvt_f32_i32_e32 v20, v50
	;; [unrolled: 1-line block ×6, first 2 shown]
	s_delay_alu instid0(VALU_DEP_3)
	v_pk_fma_f32 v[8:9], v[14:15], v[16:17], v[8:9] op_sel_hi:[1,0,1]
	v_cvt_f32_i32_e32 v14, v38
	v_cvt_f32_i32_e32 v15, v39
	v_bfe_i32 v38, v26, 0, 8
	v_bfe_i32 v39, v26, 8, 8
	v_cvt_f32_i32_e32 v26, v58
	v_bfe_i32 v58, v73, 16, 8
	v_pk_fma_f32 v[6:7], v[14:15], v[16:17], v[6:7] op_sel_hi:[1,0,1]
	v_bfe_i32 v16, v23, 16, 8
	v_cvt_f32_i32_e32 v15, v34
	v_cvt_f32_i32_e32 v14, v35
	;; [unrolled: 1-line block ×5, first 2 shown]
	s_delay_alu instid0(VALU_DEP_1)
	v_pk_fma_f32 v[8:9], v[14:15], v[16:17], v[8:9] op_sel_hi:[1,0,1]
	v_cvt_f32_i32_e32 v15, v40
	v_cvt_f32_i32_e32 v14, v41
	v_bfe_i32 v40, v27, 8, 8
	v_bfe_i32 v41, v27, 16, 8
	v_cvt_f32_i32_e32 v27, v60
	v_ashrrev_i32_e32 v60, 24, v74
	v_pk_fma_f32 v[6:7], v[14:15], v[16:17], v[6:7] op_sel_hi:[1,0,1]
	v_ashrrev_i32_e32 v16, 24, v23
	v_cvt_f32_i32_e32 v15, v36
	v_cvt_f32_i32_e32 v14, v37
	;; [unrolled: 1-line block ×9, first 2 shown]
	v_pk_fma_f32 v[8:9], v[14:15], v[16:17], v[8:9] op_sel_hi:[1,0,1]
	v_cvt_f32_i32_e32 v15, v17
	v_cvt_f32_i32_e32 v14, v42
	;; [unrolled: 1-line block ×5, first 2 shown]
	s_delay_alu instid0(VALU_DEP_4)
	v_pk_fma_f32 v[6:7], v[14:15], v[16:17], v[6:7] op_sel_hi:[1,0,1]
	v_cvt_f32_i32_e32 v16, v19
	v_cvt_f32_i32_e32 v19, v47
	v_bfe_i32 v47, v73, 0, 8
	v_cvt_f32_i32_e32 v15, v46
	v_cvt_f32_i32_e32 v46, v45
	;; [unrolled: 1-line block ×5, first 2 shown]
	v_ashrrev_i32_e32 v87, 24, v28
	v_cvt_f32_i32_e32 v47, v84
	v_cvt_f32_i32_e32 v52, v67
	;; [unrolled: 1-line block ×3, first 2 shown]
	v_dual_fmac_f32 v9, v46, v57 :: v_dual_fma_f32 v6, v89, v57, v6
	v_bfe_i32 v46, v73, 8, 8
	v_dual_fma_f32 v8, v88, v57, v8 :: v_dual_fmac_f32 v7, v51, v57
	v_bfe_i32 v51, v74, 0, 8
	v_bfe_i32 v57, v74, 16, 8
	s_delay_alu instid0(VALU_DEP_4) | instskip(SKIP_2) | instid1(VALU_DEP_3)
	v_cvt_f32_i32_e32 v46, v46
	v_cvt_f32_i32_e32 v44, v81
	;; [unrolled: 1-line block ×3, first 2 shown]
	v_pk_fma_f32 v[8:9], v[14:15], v[46:47], v[8:9] op_sel_hi:[1,0,1]
	v_bfe_i32 v15, v74, 8, 8
	v_pk_fma_f32 v[6:7], v[16:17], v[46:47], v[6:7] op_sel_hi:[1,0,1]
	v_cvt_f32_i32_e32 v14, v58
	v_bfe_i32 v17, v75, 0, 8
	v_cvt_f32_i32_e32 v16, v59
	v_bfe_i32 v46, v75, 8, 8
	s_delay_alu instid0(VALU_DEP_4)
	v_pk_fma_f32 v[8:9], v[18:19], v[14:15], v[8:9] op_sel_hi:[1,0,1]
	v_pk_fma_f32 v[6:7], v[22:23], v[14:15], v[6:7] op_sel_hi:[1,0,1]
	v_cvt_f32_i32_e32 v19, v51
	v_cvt_f32_i32_e32 v18, v15
	;; [unrolled: 1-line block ×3, first 2 shown]
	v_pk_fma_f32 v[8:9], v[20:21], v[16:17], v[8:9] op_sel_hi:[1,0,1]
	v_pk_fma_f32 v[6:7], v[24:25], v[16:17], v[6:7] op_sel_hi:[1,0,1]
	v_cvt_f32_i32_e32 v16, v60
	s_delay_alu instid0(VALU_DEP_3) | instskip(NEXT) | instid1(VALU_DEP_3)
	v_dual_fma_f32 v8, v48, v19, v8 :: v_dual_fmac_f32 v9, v49, v19
	v_dual_fma_f32 v6, v50, v19, v6 :: v_dual_fmac_f32 v7, v52, v19
	s_delay_alu instid0(VALU_DEP_2) | instskip(NEXT) | instid1(VALU_DEP_2)
	v_pk_fma_f32 v[8:9], v[26:27], v[18:19], v[8:9] op_sel_hi:[1,0,1]
	v_pk_fma_f32 v[6:7], v[32:33], v[18:19], v[6:7] op_sel_hi:[1,0,1]
	s_delay_alu instid0(VALU_DEP_2) | instskip(NEXT) | instid1(VALU_DEP_2)
	v_pk_fma_f32 v[8:9], v[28:29], v[14:15], v[8:9] op_sel_hi:[1,0,1]
	v_pk_fma_f32 v[6:7], v[34:35], v[14:15], v[6:7] op_sel_hi:[1,0,1]
	v_cvt_f32_i32_e32 v15, v17
	v_cvt_f32_i32_e32 v14, v46
	s_delay_alu instid0(VALU_DEP_4)
	v_pk_fma_f32 v[8:9], v[30:31], v[16:17], v[8:9] op_sel_hi:[1,0,1]
	v_cvt_f32_i32_e32 v46, v85
	v_pk_fma_f32 v[6:7], v[36:37], v[16:17], v[6:7] op_sel_hi:[1,0,1]
	v_ashrrev_i32_e32 v17, 24, v75
	v_cvt_f32_i32_e32 v16, v61
	v_dual_fma_f32 v8, v53, v15, v8 :: v_dual_fmac_f32 v9, v54, v15
	s_delay_alu instid0(VALU_DEP_4) | instskip(NEXT) | instid1(VALU_DEP_4)
	v_dual_fma_f32 v6, v55, v15, v6 :: v_dual_fmac_f32 v7, v56, v15
	v_cvt_f32_i32_e32 v18, v17
	s_delay_alu instid0(VALU_DEP_3) | instskip(NEXT) | instid1(VALU_DEP_3)
	v_pk_fma_f32 v[8:9], v[38:39], v[14:15], v[8:9] op_sel_hi:[1,0,1]
	v_pk_fma_f32 v[6:7], v[44:45], v[14:15], v[6:7] op_sel_hi:[1,0,1]
	v_cvt_f32_i32_e32 v15, v86
	v_cvt_f32_i32_e32 v14, v87
	s_delay_alu instid0(VALU_DEP_4) | instskip(NEXT) | instid1(VALU_DEP_4)
	v_pk_fma_f32 v[8:9], v[40:41], v[16:17], v[8:9] op_sel_hi:[1,0,1]
	v_pk_fma_f32 v[6:7], v[46:47], v[16:17], v[6:7] op_sel_hi:[1,0,1]
	s_delay_alu instid0(VALU_DEP_2) | instskip(NEXT) | instid1(VALU_DEP_2)
	v_pk_fma_f32 v[8:9], v[42:43], v[18:19], v[8:9] op_sel_hi:[1,0,1]
	v_pk_fma_f32 v[6:7], v[14:15], v[18:19], v[6:7] op_sel_hi:[1,0,1]
	s_and_not1_b32 exec_lo, exec_lo, s7
	s_cbranch_execnz .LBB78_21
; %bb.22:
	s_or_b32 exec_lo, exec_lo, s7
.LBB78_23:
	s_delay_alu instid0(SALU_CYCLE_1)
	s_or_b32 exec_lo, exec_lo, s6
.LBB78_24:
	s_delay_alu instid0(SALU_CYCLE_1)
	s_or_b32 exec_lo, exec_lo, s3
	s_cbranch_execz .LBB78_26
	s_branch .LBB78_37
.LBB78_25:
                                        ; implicit-def: $vgpr7
                                        ; implicit-def: $vgpr9
.LBB78_26:
	v_dual_mov_b32 v7, 0 :: v_dual_mov_b32 v6, 0
	v_dual_mov_b32 v9, 0 :: v_dual_mov_b32 v8, 0
	s_and_saveexec_b32 s3, s2
	s_cbranch_execz .LBB78_36
; %bb.27:
	v_add_nc_u32_e32 v1, v13, v3
	v_not_b32_e32 v6, v13
	v_mov_b64_e32 v[8:9], 0
	s_mov_b32 s2, exec_lo
	s_delay_alu instid0(VALU_DEP_3) | instskip(NEXT) | instid1(VALU_DEP_1)
	v_subrev_nc_u32_e32 v1, s16, v1
	v_add_max_i32_e64 v1, v1, 32, v12
	s_delay_alu instid0(VALU_DEP_1) | instskip(SKIP_1) | instid1(VALU_DEP_2)
	v_add3_u32 v1, s16, v1, v6
	v_mov_b64_e32 v[6:7], 0
	v_sub_nc_u32_e32 v1, v1, v3
	s_delay_alu instid0(VALU_DEP_1) | instskip(NEXT) | instid1(VALU_DEP_1)
	v_and_b32_e32 v10, 0x60, v1
	v_cmpx_ne_u32_e32 0x60, v10
	s_cbranch_execz .LBB78_31
; %bb.28:
	v_lshrrev_b32_e32 v6, 5, v1
	s_mov_b32 s6, 0
	s_delay_alu instid0(VALU_DEP_1) | instskip(NEXT) | instid1(VALU_DEP_1)
	v_dual_mov_b32 v6, 0 :: v_dual_add_nc_u32 v7, 1, v6
	v_dual_mov_b32 v7, v6 :: v_dual_bitop2_b32 v9, 3, v7 bitop3:0x40
	s_delay_alu instid0(VALU_DEP_1)
	v_dual_mov_b32 v8, v6 :: v_dual_sub_nc_u32 v10, 0, v9
	v_mov_b32_e32 v9, v6
.LBB78_29:                              ; =>This Inner Loop Header: Depth=1
	global_load_b32 v11, v0, s[8:9] scale_offset
	v_add_co_u32 v10, s7, v10, 1
	s_or_b32 s6, s7, s6
	s_wait_xcnt 0x0
	v_add_nc_u32_e32 v0, 32, v0
	s_wait_loadcnt 0x0
	v_subrev_nc_u32_e32 v11, s16, v11
	global_load_b128 v[14:17], v[4:5], off
	s_wait_kmcnt 0x0
	global_load_b32 v13, v11, s[4:5] scale_offset
	s_wait_xcnt 0x1
	v_add_nc_u64_e32 v[4:5], 0x200, v[4:5]
	s_wait_loadcnt 0x1
	s_wait_xcnt 0x0
	v_bfe_i32 v11, v14, 8, 8
	v_bfe_i32 v18, v14, 0, 8
	v_dual_ashrrev_i32 v19, 24, v14 :: v_dual_ashrrev_i32 v23, 24, v15
	v_bfe_i32 v20, v14, 16, 8
	v_bfe_i32 v21, v15, 8, 8
	v_bfe_i32 v22, v15, 0, 8
	v_bfe_i32 v24, v15, 16, 8
	v_bfe_i32 v25, v16, 8, 8
	v_bfe_i32 v26, v16, 0, 8
	v_bfe_i32 v27, v17, 8, 8
	v_bfe_i32 v28, v17, 0, 8
	v_dual_ashrrev_i32 v29, 24, v16 :: v_dual_ashrrev_i32 v31, 24, v17
	v_cvt_f32_i32_e32 v15, v11
	s_wait_loadcnt 0x0
	v_bfe_i32 v11, v13, 0, 8
	v_bfe_i32 v30, v16, 16, 8
	;; [unrolled: 1-line block ×3, first 2 shown]
	v_cvt_f32_i32_e32 v14, v18
	v_cvt_f32_i32_e32 v17, v19
	;; [unrolled: 1-line block ×11, first 2 shown]
	v_bfe_i32 v28, v13, 8, 8
	v_cvt_f32_i32_e32 v26, v11
	v_cvt_f32_i32_e32 v27, v29
	v_bfe_i32 v11, v13, 16, 8
	v_ashrrev_i32_e32 v13, 24, v13
	v_cvt_f32_i32_e32 v28, v28
	s_delay_alu instid0(VALU_DEP_4)
	v_pk_fma_f32 v[8:9], v[14:15], v[26:27], v[8:9] op_sel_hi:[1,0,1]
	v_pk_fma_f32 v[6:7], v[16:17], v[26:27], v[6:7] op_sel_hi:[1,0,1]
	v_cvt_f32_i32_e32 v26, v30
	v_cvt_f32_i32_e32 v14, v11
	;; [unrolled: 1-line block ×3, first 2 shown]
	v_pk_fma_f32 v[8:9], v[18:19], v[28:29], v[8:9] op_sel_hi:[1,0,1]
	v_pk_fma_f32 v[6:7], v[20:21], v[28:29], v[6:7] op_sel_hi:[1,0,1]
	v_cvt_f32_i32_e32 v16, v32
	v_cvt_f32_i32_e32 v18, v13
	s_delay_alu instid0(VALU_DEP_4) | instskip(NEXT) | instid1(VALU_DEP_4)
	v_pk_fma_f32 v[8:9], v[22:23], v[14:15], v[8:9] op_sel_hi:[1,0,1]
	v_pk_fma_f32 v[6:7], v[26:27], v[14:15], v[6:7] op_sel_hi:[1,0,1]
	s_delay_alu instid0(VALU_DEP_2) | instskip(NEXT) | instid1(VALU_DEP_2)
	v_pk_fma_f32 v[8:9], v[24:25], v[18:19], v[8:9] op_sel_hi:[1,0,1]
	v_pk_fma_f32 v[6:7], v[16:17], v[18:19], v[6:7] op_sel_hi:[1,0,1]
	s_and_not1_b32 exec_lo, exec_lo, s6
	s_cbranch_execnz .LBB78_29
; %bb.30:
	s_or_b32 exec_lo, exec_lo, s6
.LBB78_31:
	s_delay_alu instid0(SALU_CYCLE_1) | instskip(NEXT) | instid1(SALU_CYCLE_1)
	s_or_b32 exec_lo, exec_lo, s2
	s_mov_b32 s2, exec_lo
	v_cmpx_lt_u32_e32 0x5f, v1
	s_cbranch_execz .LBB78_35
; %bb.32:
	s_mov_b32 s6, 0
.LBB78_33:                              ; =>This Inner Loop Header: Depth=1
	s_clause 0x3
	global_load_b32 v1, v0, s[8:9] scale_offset
	global_load_b32 v10, v0, s[8:9] offset:128 scale_offset
	global_load_b32 v11, v0, s[8:9] offset:256 scale_offset
	global_load_b32 v13, v0, s[8:9] offset:384 scale_offset
	s_clause 0x2
	global_load_b128 v[14:17], v[4:5], off
	global_load_b128 v[18:21], v[4:5], off offset:512
	global_load_b128 v[22:25], v[4:5], off offset:1024
	s_wait_xcnt 0x3
	v_add_nc_u32_e32 v0, 0x80, v0
	s_delay_alu instid0(VALU_DEP_1)
	v_cmp_ge_i32_e32 vcc_lo, v0, v12
	s_or_b32 s6, vcc_lo, s6
	s_wait_loadcnt 0x6
	v_subrev_nc_u32_e32 v1, s16, v1
	s_wait_loadcnt 0x5
	v_subrev_nc_u32_e32 v10, s16, v10
	;; [unrolled: 2-line block ×4, first 2 shown]
	s_wait_loadcnt 0x2
	v_bfe_i32 v31, v14, 16, 8
	s_wait_kmcnt 0x0
	s_clause 0x2
	global_load_b32 v30, v1, s[4:5] scale_offset
	global_load_b32 v47, v10, s[4:5] scale_offset
	;; [unrolled: 1-line block ×3, first 2 shown]
	global_load_b128 v[26:29], v[4:5], off offset:1536
	global_load_b32 v50, v13, s[4:5] scale_offset
	s_wait_xcnt 0x4
	v_bfe_i32 v1, v14, 8, 8
	s_wait_xcnt 0x3
	v_bfe_i32 v10, v14, 0, 8
	s_wait_xcnt 0x0
	v_dual_ashrrev_i32 v13, 24, v14 :: v_dual_ashrrev_i32 v34, 24, v15
	v_bfe_i32 v32, v15, 8, 8
	v_cvt_f32_i32_e32 v11, v1
	v_bfe_i32 v33, v15, 0, 8
	v_bfe_i32 v15, v15, 16, 8
	v_cvt_f32_i32_e32 v10, v10
	v_bfe_i32 v35, v16, 8, 8
	v_bfe_i32 v36, v16, 0, 8
	v_dual_ashrrev_i32 v39, 24, v16 :: v_dual_ashrrev_i32 v40, 24, v17
	v_bfe_i32 v16, v16, 16, 8
	v_bfe_i32 v37, v17, 8, 8
	v_bfe_i32 v38, v17, 0, 8
	v_bfe_i32 v17, v17, 16, 8
	s_wait_loadcnt 0x6
	v_bfe_i32 v41, v18, 8, 8
	v_bfe_i32 v42, v18, 0, 8
	v_dual_ashrrev_i32 v43, 24, v18 :: v_dual_ashrrev_i32 v46, 24, v19
	v_bfe_i32 v18, v18, 16, 8
	v_bfe_i32 v44, v19, 8, 8
	v_bfe_i32 v45, v19, 0, 8
	v_bfe_i32 v48, v19, 16, 8
	s_wait_loadcnt 0x5
	v_ashrrev_i32_e32 v61, 24, v22
	v_bfe_i32 v51, v20, 8, 8
	v_bfe_i32 v52, v20, 0, 8
	v_dual_ashrrev_i32 v55, 24, v20 :: v_dual_ashrrev_i32 v57, 24, v21
	v_bfe_i32 v56, v20, 16, 8
	v_cvt_f32_i32_e32 v19, v46
	v_bfe_i32 v53, v21, 8, 8
	v_bfe_i32 v54, v21, 0, 8
	;; [unrolled: 1-line block ×6, first 2 shown]
	v_dual_ashrrev_i32 v68, 24, v24 :: v_dual_ashrrev_i32 v70, 24, v25
	v_bfe_i32 v69, v24, 16, 8
	v_bfe_i32 v71, v25, 16, 8
	v_cvt_f32_i32_e32 v21, v51
	v_cvt_f32_i32_e32 v20, v52
	;; [unrolled: 1-line block ×3, first 2 shown]
	v_bfe_i32 v59, v22, 8, 8
	v_bfe_i32 v60, v22, 0, 8
	;; [unrolled: 1-line block ×5, first 2 shown]
	v_cvt_f32_i32_e32 v22, v54
	v_add_nc_u64_e32 v[4:5], 0x800, v[4:5]
	s_wait_loadcnt 0x4
	v_bfe_i32 v1, v30, 0, 8
	s_wait_loadcnt 0x1
	v_ashrrev_i32_e32 v86, 24, v29
	v_bfe_i32 v72, v26, 8, 8
	s_delay_alu instid0(VALU_DEP_3) | instskip(SKIP_3) | instid1(VALU_DEP_4)
	v_cvt_f32_i32_e32 v14, v1
	v_bfe_i32 v1, v23, 0, 8
	v_bfe_i32 v73, v26, 0, 8
	v_dual_ashrrev_i32 v74, 24, v26 :: v_dual_ashrrev_i32 v78, 24, v27
	v_pk_fma_f32 v[8:9], v[10:11], v[14:15], v[8:9] op_sel_hi:[1,0,1]
	v_cvt_f32_i32_e32 v11, v13
	v_cvt_f32_i32_e32 v10, v31
	v_ashrrev_i32_e32 v13, 24, v23
	v_bfe_i32 v75, v26, 16, 8
	v_bfe_i32 v76, v27, 8, 8
	;; [unrolled: 1-line block ×3, first 2 shown]
	v_pk_fma_f32 v[6:7], v[10:11], v[14:15], v[6:7] op_sel_hi:[1,0,1]
	v_bfe_i32 v14, v30, 8, 8
	v_cvt_f32_i32_e32 v11, v32
	v_cvt_f32_i32_e32 v10, v33
	;; [unrolled: 1-line block ×3, first 2 shown]
	v_bfe_i32 v1, v47, 8, 8
	v_cvt_f32_i32_e32 v14, v14
	v_bfe_i32 v79, v27, 16, 8
	v_cvt_f32_i32_e32 v23, v53
	v_cvt_f32_i32_e32 v27, v57
	;; [unrolled: 1-line block ×3, first 2 shown]
	v_pk_fma_f32 v[8:9], v[10:11], v[14:15], v[8:9] op_sel_hi:[1,0,1]
	v_cvt_f32_i32_e32 v11, v34
	v_cvt_f32_i32_e32 v10, v15
	v_bfe_i32 v15, v25, 8, 8
	v_cvt_f32_i32_e32 v25, v55
	v_ashrrev_i32_e32 v1, 24, v47
	v_cvt_f32_i32_e32 v26, v58
	v_bfe_i32 v80, v28, 8, 8
	v_pk_fma_f32 v[6:7], v[10:11], v[14:15], v[6:7] op_sel_hi:[1,0,1]
	v_bfe_i32 v14, v30, 16, 8
	v_cvt_f32_i32_e32 v11, v35
	v_cvt_f32_i32_e32 v10, v36
	;; [unrolled: 1-line block ×3, first 2 shown]
	v_bfe_i32 v13, v47, 16, 8
	v_cvt_f32_i32_e32 v14, v14
	v_bfe_i32 v81, v28, 0, 8
	v_bfe_i32 v82, v29, 8, 8
	v_ashrrev_i32_e32 v84, 24, v28
	v_bfe_i32 v83, v29, 0, 8
	v_pk_fma_f32 v[8:9], v[10:11], v[14:15], v[8:9] op_sel_hi:[1,0,1]
	v_cvt_f32_i32_e32 v11, v39
	v_cvt_f32_i32_e32 v10, v16
	;; [unrolled: 1-line block ×3, first 2 shown]
	v_bfe_i32 v85, v28, 16, 8
	v_bfe_i32 v87, v29, 16, 8
	v_cvt_f32_i32_e32 v29, v59
	v_pk_fma_f32 v[6:7], v[10:11], v[14:15], v[6:7] op_sel_hi:[1,0,1]
	v_ashrrev_i32_e32 v14, 24, v30
	v_cvt_f32_i32_e32 v11, v37
	v_cvt_f32_i32_e32 v10, v38
	;; [unrolled: 1-line block ×9, first 2 shown]
	v_pk_fma_f32 v[8:9], v[10:11], v[14:15], v[8:9] op_sel_hi:[1,0,1]
	v_cvt_f32_i32_e32 v11, v40
	v_cvt_f32_i32_e32 v10, v17
	;; [unrolled: 1-line block ×6, first 2 shown]
	v_pk_fma_f32 v[6:7], v[10:11], v[14:15], v[6:7] op_sel_hi:[1,0,1]
	v_bfe_i32 v14, v47, 0, 8
	v_cvt_f32_i32_e32 v11, v41
	v_cvt_f32_i32_e32 v10, v42
	;; [unrolled: 1-line block ×8, first 2 shown]
	s_delay_alu instid0(VALU_DEP_4)
	v_pk_fma_f32 v[8:9], v[10:11], v[14:15], v[8:9] op_sel_hi:[1,0,1]
	v_cvt_f32_i32_e32 v11, v43
	v_cvt_f32_i32_e32 v10, v18
	;; [unrolled: 1-line block ×4, first 2 shown]
	v_pk_fma_f32 v[8:9], v[16:17], v[46:47], v[8:9] op_sel_hi:[1,0,1]
	v_bfe_i32 v13, v49, 0, 8
	v_pk_fma_f32 v[6:7], v[10:11], v[14:15], v[6:7] op_sel_hi:[1,0,1]
	v_cvt_f32_i32_e32 v43, v70
	v_cvt_f32_i32_e32 v11, v74
	v_pk_fma_f32 v[8:9], v[20:21], v[48:49], v[8:9] op_sel_hi:[1,0,1]
	v_cvt_f32_i32_e32 v20, v13
	v_pk_fma_f32 v[6:7], v[18:19], v[46:47], v[6:7] op_sel_hi:[1,0,1]
	v_cvt_f32_i32_e32 v18, v1
	v_bfe_i32 v1, v49, 8, 8
	v_bfe_i32 v13, v49, 16, 8
	v_cvt_f32_i32_e32 v10, v75
	v_pk_fma_f32 v[6:7], v[24:25], v[48:49], v[6:7] op_sel_hi:[1,0,1]
	v_pk_fma_f32 v[8:9], v[22:23], v[18:19], v[8:9] op_sel_hi:[1,0,1]
	v_cvt_f32_i32_e32 v22, v1
	v_ashrrev_i32_e32 v1, 24, v49
	v_cvt_f32_i32_e32 v15, v76
	v_pk_fma_f32 v[6:7], v[26:27], v[18:19], v[6:7] op_sel_hi:[1,0,1]
	v_pk_fma_f32 v[8:9], v[28:29], v[20:21], v[8:9] op_sel_hi:[1,0,1]
	v_cvt_f32_i32_e32 v14, v77
	v_cvt_f32_i32_e32 v17, v78
	;; [unrolled: 1-line block ×3, first 2 shown]
	v_pk_fma_f32 v[6:7], v[30:31], v[20:21], v[6:7] op_sel_hi:[1,0,1]
	v_cvt_f32_i32_e32 v20, v13
	v_pk_fma_f32 v[8:9], v[32:33], v[22:23], v[8:9] op_sel_hi:[1,0,1]
	v_cvt_f32_i32_e32 v21, v82
	s_wait_loadcnt 0x0
	v_bfe_i32 v13, v50, 0, 8
	v_pk_fma_f32 v[6:7], v[34:35], v[22:23], v[6:7] op_sel_hi:[1,0,1]
	v_cvt_f32_i32_e32 v22, v1
	v_bfe_i32 v1, v50, 8, 8
	v_pk_fma_f32 v[8:9], v[36:37], v[20:21], v[8:9] op_sel_hi:[1,0,1]
	v_cvt_f32_i32_e32 v24, v13
	v_pk_fma_f32 v[6:7], v[40:41], v[20:21], v[6:7] op_sel_hi:[1,0,1]
	v_bfe_i32 v13, v50, 16, 8
	v_cvt_f32_i32_e32 v26, v1
	v_pk_fma_f32 v[8:9], v[38:39], v[22:23], v[8:9] op_sel_hi:[1,0,1]
	v_cvt_f32_i32_e32 v19, v80
	v_pk_fma_f32 v[6:7], v[42:43], v[22:23], v[6:7] op_sel_hi:[1,0,1]
	v_cvt_f32_i32_e32 v18, v81
	v_cvt_f32_i32_e32 v23, v84
	v_pk_fma_f32 v[8:9], v[44:45], v[24:25], v[8:9] op_sel_hi:[1,0,1]
	v_cvt_f32_i32_e32 v22, v85
	v_pk_fma_f32 v[6:7], v[10:11], v[24:25], v[6:7] op_sel_hi:[1,0,1]
	v_ashrrev_i32_e32 v1, 24, v50
	v_cvt_f32_i32_e32 v10, v13
	v_pk_fma_f32 v[8:9], v[14:15], v[26:27], v[8:9] op_sel_hi:[1,0,1]
	v_cvt_f32_i32_e32 v20, v83
	v_pk_fma_f32 v[6:7], v[16:17], v[26:27], v[6:7] op_sel_hi:[1,0,1]
	v_cvt_f32_i32_e32 v15, v86
	v_cvt_f32_i32_e32 v14, v87
	;; [unrolled: 1-line block ×3, first 2 shown]
	v_pk_fma_f32 v[8:9], v[18:19], v[10:11], v[8:9] op_sel_hi:[1,0,1]
	v_pk_fma_f32 v[6:7], v[22:23], v[10:11], v[6:7] op_sel_hi:[1,0,1]
	s_delay_alu instid0(VALU_DEP_2) | instskip(NEXT) | instid1(VALU_DEP_2)
	v_pk_fma_f32 v[8:9], v[20:21], v[16:17], v[8:9] op_sel_hi:[1,0,1]
	v_pk_fma_f32 v[6:7], v[14:15], v[16:17], v[6:7] op_sel_hi:[1,0,1]
	s_and_not1_b32 exec_lo, exec_lo, s6
	s_cbranch_execnz .LBB78_33
; %bb.34:
	s_or_b32 exec_lo, exec_lo, s6
.LBB78_35:
	s_delay_alu instid0(SALU_CYCLE_1)
	s_or_b32 exec_lo, exec_lo, s2
.LBB78_36:
	s_delay_alu instid0(SALU_CYCLE_1)
	s_or_b32 exec_lo, exec_lo, s3
.LBB78_37:
	v_mbcnt_lo_u32_b32 v10, -1, 0
	s_mov_b32 s2, -1
	s_delay_alu instid0(VALU_DEP_1) | instskip(SKIP_1) | instid1(VALU_DEP_1)
	v_xor_b32_e32 v11, 8, v10
	v_xor_b32_e32 v0, 16, v10
	v_cmp_gt_i32_e32 vcc_lo, 32, v0
	v_cndmask_b32_e32 v0, v10, v0, vcc_lo
	s_delay_alu instid0(VALU_DEP_4) | instskip(SKIP_1) | instid1(VALU_DEP_1)
	v_cmp_gt_i32_e32 vcc_lo, 32, v11
	v_cndmask_b32_e32 v11, v10, v11, vcc_lo
	v_dual_lshlrev_b32 v11, 2, v11 :: v_dual_lshlrev_b32 v5, 2, v0
	ds_bpermute_b32 v0, v5, v8
	ds_bpermute_b32 v1, v5, v9
	;; [unrolled: 1-line block ×4, first 2 shown]
	s_wait_dscnt 0x2
	v_pk_add_f32 v[0:1], v[8:9], v[0:1]
	s_wait_dscnt 0x0
	v_pk_add_f32 v[4:5], v[6:7], v[4:5]
	ds_bpermute_b32 v6, v11, v0
	ds_bpermute_b32 v7, v11, v1
	;; [unrolled: 1-line block ×4, first 2 shown]
	v_xor_b32_e32 v11, 4, v10
	s_delay_alu instid0(VALU_DEP_1) | instskip(SKIP_1) | instid1(VALU_DEP_1)
	v_cmp_gt_i32_e32 vcc_lo, 32, v11
	v_cndmask_b32_e32 v11, v10, v11, vcc_lo
	v_lshlrev_b32_e32 v11, 2, v11
	s_wait_dscnt 0x2
	v_pk_add_f32 v[0:1], v[0:1], v[6:7]
	s_wait_dscnt 0x0
	v_pk_add_f32 v[4:5], v[4:5], v[8:9]
	ds_bpermute_b32 v6, v11, v0
	ds_bpermute_b32 v7, v11, v1
	;; [unrolled: 1-line block ×4, first 2 shown]
	v_xor_b32_e32 v11, 2, v10
	s_delay_alu instid0(VALU_DEP_1) | instskip(SKIP_1) | instid1(VALU_DEP_1)
	v_cmp_gt_i32_e32 vcc_lo, 32, v11
	v_cndmask_b32_e32 v11, v10, v11, vcc_lo
	v_lshlrev_b32_e32 v11, 2, v11
	s_wait_dscnt 0x2
	v_pk_add_f32 v[0:1], v[0:1], v[6:7]
	s_wait_dscnt 0x0
	v_pk_add_f32 v[4:5], v[4:5], v[8:9]
	ds_bpermute_b32 v6, v11, v0
	ds_bpermute_b32 v7, v11, v1
	;; [unrolled: 1-line block ×4, first 2 shown]
	v_xor_b32_e32 v11, 1, v10
	s_delay_alu instid0(VALU_DEP_1) | instskip(SKIP_2) | instid1(VALU_DEP_2)
	v_cmp_gt_i32_e32 vcc_lo, 32, v11
	v_cndmask_b32_e32 v10, v10, v11, vcc_lo
	v_cmp_eq_u32_e32 vcc_lo, 31, v3
	v_lshlrev_b32_e32 v10, 2, v10
	s_wait_dscnt 0x2
	v_pk_add_f32 v[0:1], v[0:1], v[6:7]
	s_wait_dscnt 0x0
	v_pk_add_f32 v[6:7], v[4:5], v[8:9]
	ds_bpermute_b32 v4, v10, v0
	ds_bpermute_b32 v5, v10, v1
	;; [unrolled: 1-line block ×4, first 2 shown]
	s_and_b32 exec_lo, exec_lo, vcc_lo
	s_cbranch_execz .LBB78_10
; %bb.38:
	s_load_b64 s[0:1], s[0:1], 0x50
	s_wait_dscnt 0x2
	v_pk_add_f32 v[4:5], v[0:1], v[4:5]
	s_wait_dscnt 0x0
	v_pk_add_f32 v[0:1], v[6:7], v[8:9]
	v_lshlrev_b32_e32 v2, 2, v2
	s_cmp_eq_f32 s14, 0
	s_cbranch_scc0 .LBB78_40
; %bb.39:
	s_delay_alu instid0(VALU_DEP_1)
	v_ashrrev_i32_e32 v3, 31, v2
	v_pk_mul_f32 v[6:7], s[12:13], v[4:5] op_sel_hi:[0,1]
	v_pk_mul_f32 v[8:9], s[12:13], v[0:1] op_sel_hi:[0,1]
	s_mov_b32 s2, 0
	s_wait_kmcnt 0x0
	v_lshl_add_u64 v[10:11], v[2:3], 2, s[0:1]
	global_store_b128 v[10:11], v[6:9], off
.LBB78_40:
	s_and_not1_b32 vcc_lo, exec_lo, s2
	s_cbranch_vccnz .LBB78_10
; %bb.41:
	v_ashrrev_i32_e32 v3, 31, v2
	s_wait_kmcnt 0x0
	s_delay_alu instid0(VALU_DEP_1)
	v_lshl_add_u64 v[10:11], v[2:3], 2, s[0:1]
	v_pk_mul_f32 v[2:3], s[12:13], v[4:5] op_sel_hi:[0,1]
	v_pk_mul_f32 v[4:5], s[12:13], v[0:1] op_sel_hi:[0,1]
	global_load_b128 v[6:9], v[10:11], off
	s_wait_loadcnt 0x0
	v_pk_fma_f32 v[0:1], s[14:15], v[6:7], v[2:3] op_sel_hi:[0,1,1]
	v_pk_fma_f32 v[2:3], s[14:15], v[8:9], v[4:5] op_sel_hi:[0,1,1]
	global_store_b128 v[10:11], v[0:3], off
	s_sendmsg sendmsg(MSG_DEALLOC_VGPRS)
	s_endpgm
	.section	.rodata,"a",@progbits
	.p2align	6, 0x0
	.amdhsa_kernel _ZN9rocsparseL18bsrxmvn_4x4_kernelILj128ELj32EfiiaafEEvT3_20rocsparse_direction_NS_24const_host_device_scalarIT1_EES1_PKS1_PKT2_SA_S7_PKT4_PKT5_S5_PT6_21rocsparse_index_base_b
		.amdhsa_group_segment_fixed_size 0
		.amdhsa_private_segment_fixed_size 0
		.amdhsa_kernarg_size 96
		.amdhsa_user_sgpr_count 2
		.amdhsa_user_sgpr_dispatch_ptr 0
		.amdhsa_user_sgpr_queue_ptr 0
		.amdhsa_user_sgpr_kernarg_segment_ptr 1
		.amdhsa_user_sgpr_dispatch_id 0
		.amdhsa_user_sgpr_kernarg_preload_length 0
		.amdhsa_user_sgpr_kernarg_preload_offset 0
		.amdhsa_user_sgpr_private_segment_size 0
		.amdhsa_wavefront_size32 1
		.amdhsa_uses_dynamic_stack 0
		.amdhsa_enable_private_segment 0
		.amdhsa_system_sgpr_workgroup_id_x 1
		.amdhsa_system_sgpr_workgroup_id_y 0
		.amdhsa_system_sgpr_workgroup_id_z 0
		.amdhsa_system_sgpr_workgroup_info 0
		.amdhsa_system_vgpr_workitem_id 0
		.amdhsa_next_free_vgpr 90
		.amdhsa_next_free_sgpr 18
		.amdhsa_named_barrier_count 0
		.amdhsa_reserve_vcc 1
		.amdhsa_float_round_mode_32 0
		.amdhsa_float_round_mode_16_64 0
		.amdhsa_float_denorm_mode_32 3
		.amdhsa_float_denorm_mode_16_64 3
		.amdhsa_fp16_overflow 0
		.amdhsa_memory_ordered 1
		.amdhsa_forward_progress 1
		.amdhsa_inst_pref_size 42
		.amdhsa_round_robin_scheduling 0
		.amdhsa_exception_fp_ieee_invalid_op 0
		.amdhsa_exception_fp_denorm_src 0
		.amdhsa_exception_fp_ieee_div_zero 0
		.amdhsa_exception_fp_ieee_overflow 0
		.amdhsa_exception_fp_ieee_underflow 0
		.amdhsa_exception_fp_ieee_inexact 0
		.amdhsa_exception_int_div_zero 0
	.end_amdhsa_kernel
	.section	.text._ZN9rocsparseL18bsrxmvn_4x4_kernelILj128ELj32EfiiaafEEvT3_20rocsparse_direction_NS_24const_host_device_scalarIT1_EES1_PKS1_PKT2_SA_S7_PKT4_PKT5_S5_PT6_21rocsparse_index_base_b,"axG",@progbits,_ZN9rocsparseL18bsrxmvn_4x4_kernelILj128ELj32EfiiaafEEvT3_20rocsparse_direction_NS_24const_host_device_scalarIT1_EES1_PKS1_PKT2_SA_S7_PKT4_PKT5_S5_PT6_21rocsparse_index_base_b,comdat
.Lfunc_end78:
	.size	_ZN9rocsparseL18bsrxmvn_4x4_kernelILj128ELj32EfiiaafEEvT3_20rocsparse_direction_NS_24const_host_device_scalarIT1_EES1_PKS1_PKT2_SA_S7_PKT4_PKT5_S5_PT6_21rocsparse_index_base_b, .Lfunc_end78-_ZN9rocsparseL18bsrxmvn_4x4_kernelILj128ELj32EfiiaafEEvT3_20rocsparse_direction_NS_24const_host_device_scalarIT1_EES1_PKS1_PKT2_SA_S7_PKT4_PKT5_S5_PT6_21rocsparse_index_base_b
                                        ; -- End function
	.set _ZN9rocsparseL18bsrxmvn_4x4_kernelILj128ELj32EfiiaafEEvT3_20rocsparse_direction_NS_24const_host_device_scalarIT1_EES1_PKS1_PKT2_SA_S7_PKT4_PKT5_S5_PT6_21rocsparse_index_base_b.num_vgpr, 90
	.set _ZN9rocsparseL18bsrxmvn_4x4_kernelILj128ELj32EfiiaafEEvT3_20rocsparse_direction_NS_24const_host_device_scalarIT1_EES1_PKS1_PKT2_SA_S7_PKT4_PKT5_S5_PT6_21rocsparse_index_base_b.num_agpr, 0
	.set _ZN9rocsparseL18bsrxmvn_4x4_kernelILj128ELj32EfiiaafEEvT3_20rocsparse_direction_NS_24const_host_device_scalarIT1_EES1_PKS1_PKT2_SA_S7_PKT4_PKT5_S5_PT6_21rocsparse_index_base_b.numbered_sgpr, 18
	.set _ZN9rocsparseL18bsrxmvn_4x4_kernelILj128ELj32EfiiaafEEvT3_20rocsparse_direction_NS_24const_host_device_scalarIT1_EES1_PKS1_PKT2_SA_S7_PKT4_PKT5_S5_PT6_21rocsparse_index_base_b.num_named_barrier, 0
	.set _ZN9rocsparseL18bsrxmvn_4x4_kernelILj128ELj32EfiiaafEEvT3_20rocsparse_direction_NS_24const_host_device_scalarIT1_EES1_PKS1_PKT2_SA_S7_PKT4_PKT5_S5_PT6_21rocsparse_index_base_b.private_seg_size, 0
	.set _ZN9rocsparseL18bsrxmvn_4x4_kernelILj128ELj32EfiiaafEEvT3_20rocsparse_direction_NS_24const_host_device_scalarIT1_EES1_PKS1_PKT2_SA_S7_PKT4_PKT5_S5_PT6_21rocsparse_index_base_b.uses_vcc, 1
	.set _ZN9rocsparseL18bsrxmvn_4x4_kernelILj128ELj32EfiiaafEEvT3_20rocsparse_direction_NS_24const_host_device_scalarIT1_EES1_PKS1_PKT2_SA_S7_PKT4_PKT5_S5_PT6_21rocsparse_index_base_b.uses_flat_scratch, 0
	.set _ZN9rocsparseL18bsrxmvn_4x4_kernelILj128ELj32EfiiaafEEvT3_20rocsparse_direction_NS_24const_host_device_scalarIT1_EES1_PKS1_PKT2_SA_S7_PKT4_PKT5_S5_PT6_21rocsparse_index_base_b.has_dyn_sized_stack, 0
	.set _ZN9rocsparseL18bsrxmvn_4x4_kernelILj128ELj32EfiiaafEEvT3_20rocsparse_direction_NS_24const_host_device_scalarIT1_EES1_PKS1_PKT2_SA_S7_PKT4_PKT5_S5_PT6_21rocsparse_index_base_b.has_recursion, 0
	.set _ZN9rocsparseL18bsrxmvn_4x4_kernelILj128ELj32EfiiaafEEvT3_20rocsparse_direction_NS_24const_host_device_scalarIT1_EES1_PKS1_PKT2_SA_S7_PKT4_PKT5_S5_PT6_21rocsparse_index_base_b.has_indirect_call, 0
	.section	.AMDGPU.csdata,"",@progbits
; Kernel info:
; codeLenInByte = 5280
; TotalNumSgprs: 20
; NumVgprs: 90
; ScratchSize: 0
; MemoryBound: 0
; FloatMode: 240
; IeeeMode: 1
; LDSByteSize: 0 bytes/workgroup (compile time only)
; SGPRBlocks: 0
; VGPRBlocks: 5
; NumSGPRsForWavesPerEU: 20
; NumVGPRsForWavesPerEU: 90
; NamedBarCnt: 0
; Occupancy: 10
; WaveLimiterHint : 1
; COMPUTE_PGM_RSRC2:SCRATCH_EN: 0
; COMPUTE_PGM_RSRC2:USER_SGPR: 2
; COMPUTE_PGM_RSRC2:TRAP_HANDLER: 0
; COMPUTE_PGM_RSRC2:TGID_X_EN: 1
; COMPUTE_PGM_RSRC2:TGID_Y_EN: 0
; COMPUTE_PGM_RSRC2:TGID_Z_EN: 0
; COMPUTE_PGM_RSRC2:TIDIG_COMP_CNT: 0
	.section	.text._ZN9rocsparseL18bsrxmvn_4x4_kernelILj128ELj64EfiiaafEEvT3_20rocsparse_direction_NS_24const_host_device_scalarIT1_EES1_PKS1_PKT2_SA_S7_PKT4_PKT5_S5_PT6_21rocsparse_index_base_b,"axG",@progbits,_ZN9rocsparseL18bsrxmvn_4x4_kernelILj128ELj64EfiiaafEEvT3_20rocsparse_direction_NS_24const_host_device_scalarIT1_EES1_PKS1_PKT2_SA_S7_PKT4_PKT5_S5_PT6_21rocsparse_index_base_b,comdat
	.globl	_ZN9rocsparseL18bsrxmvn_4x4_kernelILj128ELj64EfiiaafEEvT3_20rocsparse_direction_NS_24const_host_device_scalarIT1_EES1_PKS1_PKT2_SA_S7_PKT4_PKT5_S5_PT6_21rocsparse_index_base_b ; -- Begin function _ZN9rocsparseL18bsrxmvn_4x4_kernelILj128ELj64EfiiaafEEvT3_20rocsparse_direction_NS_24const_host_device_scalarIT1_EES1_PKS1_PKT2_SA_S7_PKT4_PKT5_S5_PT6_21rocsparse_index_base_b
	.p2align	8
	.type	_ZN9rocsparseL18bsrxmvn_4x4_kernelILj128ELj64EfiiaafEEvT3_20rocsparse_direction_NS_24const_host_device_scalarIT1_EES1_PKS1_PKT2_SA_S7_PKT4_PKT5_S5_PT6_21rocsparse_index_base_b,@function
_ZN9rocsparseL18bsrxmvn_4x4_kernelILj128ELj64EfiiaafEEvT3_20rocsparse_direction_NS_24const_host_device_scalarIT1_EES1_PKS1_PKT2_SA_S7_PKT4_PKT5_S5_PT6_21rocsparse_index_base_b: ; @_ZN9rocsparseL18bsrxmvn_4x4_kernelILj128ELj64EfiiaafEEvT3_20rocsparse_direction_NS_24const_host_device_scalarIT1_EES1_PKS1_PKT2_SA_S7_PKT4_PKT5_S5_PT6_21rocsparse_index_base_b
; %bb.0:
	s_clause 0x2
	s_load_b64 s[16:17], s[0:1], 0x58
	s_load_b64 s[12:13], s[0:1], 0x8
	;; [unrolled: 1-line block ×3, first 2 shown]
	s_wait_kmcnt 0x0
	s_bitcmp1_b32 s17, 0
	s_cselect_b32 s2, -1, 0
	s_delay_alu instid0(SALU_CYCLE_1)
	s_and_b32 vcc_lo, exec_lo, s2
	s_xor_b32 s2, s2, -1
	s_cbranch_vccnz .LBB79_2
; %bb.1:
	s_load_b32 s12, s[12:13], 0x0
.LBB79_2:
	s_and_not1_b32 vcc_lo, exec_lo, s2
	s_cbranch_vccnz .LBB79_4
; %bb.3:
	s_load_b32 s14, s[14:15], 0x0
.LBB79_4:
	s_wait_kmcnt 0x0
	s_cmp_neq_f32 s12, 0
	s_mov_b32 s6, 0
	s_cselect_b32 s2, -1, 0
	s_cmp_neq_f32 s14, 1.0
	s_cselect_b32 s3, -1, 0
	s_delay_alu instid0(SALU_CYCLE_1) | instskip(NEXT) | instid1(SALU_CYCLE_1)
	s_or_b32 s2, s2, s3
	s_and_not1_b32 vcc_lo, exec_lo, s2
	s_cbranch_vccnz .LBB79_10
; %bb.5:
	s_clause 0x1
	s_load_b64 s[4:5], s[0:1], 0x18
	s_load_b64 s[2:3], s[0:1], 0x0
	s_bfe_u32 s7, ttmp6, 0x4000c
	s_and_b32 s8, ttmp6, 15
	s_add_co_i32 s7, s7, 1
	s_getreg_b32 s9, hwreg(HW_REG_IB_STS2, 6, 4)
	s_mul_i32 s7, ttmp9, s7
	v_lshrrev_b32_e32 v1, 6, v0
	s_add_co_i32 s8, s8, s7
	s_cmp_eq_u32 s9, 0
	s_cselect_b32 s7, ttmp9, s8
	s_delay_alu instid0(VALU_DEP_1) | instid1(SALU_CYCLE_1)
	v_lshl_or_b32 v2, s7, 1, v1
	s_wait_kmcnt 0x0
	s_cmp_lg_u64 s[4:5], 0
	s_cbranch_scc0 .LBB79_11
; %bb.6:
	s_load_b32 s6, s[0:1], 0x10
	s_mov_b32 s7, 0
                                        ; implicit-def: $vgpr1
	s_wait_kmcnt 0x0
	v_cmp_gt_i32_e32 vcc_lo, s6, v2
	s_mov_b32 s6, 0
	s_and_saveexec_b32 s8, vcc_lo
	s_delay_alu instid0(SALU_CYCLE_1)
	s_xor_b32 s8, exec_lo, s8
	s_cbranch_execz .LBB79_8
; %bb.7:
	global_load_b32 v1, v2, s[4:5] scale_offset
	s_mov_b32 s6, exec_lo
	s_wait_loadcnt 0x0
	v_subrev_nc_u32_e32 v1, s16, v1
.LBB79_8:
	s_or_b32 exec_lo, exec_lo, s8
	s_delay_alu instid0(SALU_CYCLE_1)
	s_and_b32 vcc_lo, exec_lo, s7
	s_cbranch_vccz .LBB79_12
.LBB79_9:
	v_cmp_gt_i32_e32 vcc_lo, s2, v2
	s_and_not1_b32 s2, s6, exec_lo
	s_and_b32 s4, vcc_lo, exec_lo
	s_delay_alu instid0(SALU_CYCLE_1) | instskip(NEXT) | instid1(SALU_CYCLE_1)
	s_or_b32 s6, s2, s4
	s_and_saveexec_b32 s2, s6
	s_cbranch_execnz .LBB79_13
.LBB79_10:
	s_sendmsg sendmsg(MSG_DEALLOC_VGPRS)
	s_endpgm
.LBB79_11:
                                        ; implicit-def: $vgpr1
	s_cbranch_execnz .LBB79_9
.LBB79_12:
	s_delay_alu instid0(VALU_DEP_1)
	v_mov_b32_e32 v2, v1
	s_and_saveexec_b32 s2, s6
	s_cbranch_execz .LBB79_10
.LBB79_13:
	s_load_b256 s[4:11], s[0:1], 0x20
	s_wait_kmcnt 0x0
	s_cmp_eq_u64 s[6:7], 0
	global_load_b32 v13, v2, s[4:5] scale_offset
	s_cselect_b32 vcc_lo, -1, 0
	v_ashrrev_i32_e32 v3, 31, v2
	s_cmp_eq_u32 s3, 1
	s_delay_alu instid0(VALU_DEP_1) | instskip(SKIP_1) | instid1(VALU_DEP_2)
	v_lshlrev_b64_e32 v[4:5], 2, v[2:3]
	v_and_b32_e32 v3, 63, v0
	v_add_nc_u64_e32 v[6:7], s[4:5], v[4:5]
	v_add_nc_u64_e32 v[4:5], s[6:7], v[4:5]
	s_wait_xcnt 0x0
	s_load_b64 s[4:5], s[0:1], 0x40
	s_delay_alu instid0(VALU_DEP_2) | instskip(NEXT) | instid1(VALU_DEP_1)
	v_add_nc_u64_e32 v[6:7], 4, v[6:7]
	v_dual_cndmask_b32 v5, v5, v7 :: v_dual_cndmask_b32 v4, v4, v6
	global_load_b32 v4, v[4:5], off
	s_wait_loadcnt 0x1
	v_subrev_nc_u32_e32 v0, s16, v13
	s_delay_alu instid0(VALU_DEP_1) | instskip(NEXT) | instid1(VALU_DEP_1)
	v_add_nc_u32_e32 v0, v0, v3
	v_ashrrev_i32_e32 v1, 31, v0
	s_wait_loadcnt 0x0
	v_subrev_nc_u32_e32 v12, s16, v4
	s_delay_alu instid0(VALU_DEP_2) | instskip(NEXT) | instid1(VALU_DEP_2)
	v_lshl_add_u64 v[4:5], v[0:1], 4, s[10:11]
	v_cmp_lt_i32_e64 s2, v0, v12
	s_cbranch_scc1 .LBB79_25
; %bb.14:
	v_dual_mov_b32 v7, 0 :: v_dual_mov_b32 v6, 0
	v_dual_mov_b32 v9, 0 :: v_dual_mov_b32 v8, 0
	s_and_saveexec_b32 s3, s2
	s_cbranch_execz .LBB79_24
; %bb.15:
	v_dual_mov_b32 v8, 0 :: v_dual_add_nc_u32 v1, v13, v3
	v_not_b32_e32 v6, v13
	s_delay_alu instid0(VALU_DEP_2) | instskip(NEXT) | instid1(VALU_DEP_3)
	v_subrev_nc_u32_e32 v1, s16, v1
	v_dual_mov_b32 v9, v8 :: v_dual_mov_b32 v7, v8
	s_delay_alu instid0(VALU_DEP_2) | instskip(NEXT) | instid1(VALU_DEP_1)
	v_add_max_i32_e64 v1, v1, 64, v12
	v_add3_u32 v1, s16, v1, v6
	s_delay_alu instid0(VALU_DEP_1) | instskip(SKIP_1) | instid1(VALU_DEP_2)
	v_dual_mov_b32 v6, v8 :: v_dual_sub_nc_u32 v14, v1, v3
	v_mov_b32_e32 v1, v0
	v_and_b32_e32 v10, 0xc0, v14
	s_delay_alu instid0(VALU_DEP_1)
	v_cmp_ne_u32_e32 vcc_lo, 0xc0, v10
	v_mov_b64_e32 v[10:11], v[4:5]
	s_and_saveexec_b32 s6, vcc_lo
	s_cbranch_execz .LBB79_19
; %bb.16:
	v_dual_lshrrev_b32 v1, 6, v14 :: v_dual_mov_b32 v7, 0
	v_mov_b64_e32 v[10:11], v[4:5]
	s_mov_b32 s7, 0
	s_delay_alu instid0(VALU_DEP_2) | instskip(NEXT) | instid1(VALU_DEP_1)
	v_dual_mov_b32 v6, v7 :: v_dual_add_nc_u32 v1, 1, v1
	v_dual_mov_b32 v1, v0 :: v_dual_bitop2_b32 v8, 3, v1 bitop3:0x40
	s_delay_alu instid0(VALU_DEP_1)
	v_dual_mov_b32 v9, v7 :: v_dual_sub_nc_u32 v15, 0, v8
	v_mov_b32_e32 v8, v7
.LBB79_17:                              ; =>This Inner Loop Header: Depth=1
	global_load_b32 v16, v1, s[8:9] scale_offset
	s_wait_xcnt 0x0
	v_add_nc_u32_e32 v1, 64, v1
	v_add_co_u32 v15, s10, v15, 1
	s_or_b32 s7, s10, s7
	s_wait_loadcnt 0x0
	v_subrev_nc_u32_e32 v20, s16, v16
	global_load_b128 v[16:19], v[10:11], off
	s_wait_kmcnt 0x0
	global_load_b32 v22, v20, s[4:5] scale_offset
	s_wait_xcnt 0x1
	v_add_nc_u64_e32 v[10:11], 0x400, v[10:11]
	s_wait_loadcnt 0x1
	v_bfe_i32 v23, v16, 16, 8
	v_bfe_i32 v24, v17, 0, 8
	v_bfe_i32 v25, v17, 8, 8
	v_bfe_i32 v29, v18, 0, 8
	s_wait_xcnt 0x0
	v_bfe_i32 v20, v16, 0, 8
	v_bfe_i32 v21, v16, 8, 8
	;; [unrolled: 1-line block ×3, first 2 shown]
	v_dual_ashrrev_i32 v27, 24, v17 :: v_dual_ashrrev_i32 v28, 24, v16
	v_bfe_i32 v30, v18, 8, 8
	v_bfe_i32 v31, v18, 16, 8
	;; [unrolled: 1-line block ×3, first 2 shown]
	v_cvt_f32_i32_e32 v16, v23
	v_cvt_f32_i32_e32 v23, v24
	;; [unrolled: 1-line block ×4, first 2 shown]
	s_wait_loadcnt 0x0
	v_bfe_i32 v29, v22, 0, 8
	v_bfe_i32 v33, v19, 8, 8
	v_bfe_i32 v34, v19, 16, 8
	v_dual_ashrrev_i32 v35, 24, v19 :: v_dual_ashrrev_i32 v36, 24, v18
	v_cvt_f32_i32_e32 v37, v20
	v_cvt_f32_i32_e32 v17, v26
	;; [unrolled: 1-line block ×6, first 2 shown]
	v_bfe_i32 v30, v22, 8, 8
	v_bfe_i32 v31, v22, 16, 8
	v_ashrrev_i32_e32 v32, 24, v22
	v_cvt_f32_i32_e32 v22, v29
	v_cvt_f32_i32_e32 v38, v21
	;; [unrolled: 1-line block ×5, first 2 shown]
	v_dual_fmac_f32 v8, v37, v22 :: v_dual_fmac_f32 v9, v23, v22
	v_dual_fmac_f32 v6, v25, v22 :: v_dual_fmac_f32 v7, v27, v22
	v_cvt_f32_i32_e32 v21, v34
	v_cvt_f32_i32_e32 v22, v31
	s_delay_alu instid0(VALU_DEP_4) | instskip(NEXT) | instid1(VALU_DEP_4)
	v_dual_fmac_f32 v8, v38, v29 :: v_dual_fmac_f32 v9, v24, v29
	v_dual_fmac_f32 v6, v26, v29 :: v_dual_fmac_f32 v7, v28, v29
	v_cvt_f32_i32_e32 v25, v35
	v_cvt_f32_i32_e32 v24, v36
	;; [unrolled: 1-line block ×3, first 2 shown]
	v_pk_fma_f32 v[8:9], v[16:17], v[22:23], v[8:9] op_sel_hi:[1,0,1]
	v_pk_fma_f32 v[6:7], v[20:21], v[22:23], v[6:7] op_sel_hi:[1,0,1]
	s_delay_alu instid0(VALU_DEP_2) | instskip(NEXT) | instid1(VALU_DEP_2)
	v_pk_fma_f32 v[8:9], v[18:19], v[26:27], v[8:9] op_sel_hi:[1,0,1]
	v_pk_fma_f32 v[6:7], v[24:25], v[26:27], v[6:7] op_sel_hi:[1,0,1]
	s_and_not1_b32 exec_lo, exec_lo, s7
	s_cbranch_execnz .LBB79_17
; %bb.18:
	s_or_b32 exec_lo, exec_lo, s7
.LBB79_19:
	s_delay_alu instid0(SALU_CYCLE_1) | instskip(NEXT) | instid1(SALU_CYCLE_1)
	s_or_b32 exec_lo, exec_lo, s6
	s_mov_b32 s6, exec_lo
	v_cmpx_lt_u32_e32 0xbf, v14
	s_cbranch_execz .LBB79_23
; %bb.20:
	s_mov_b32 s7, 0
.LBB79_21:                              ; =>This Inner Loop Header: Depth=1
	s_clause 0x3
	global_load_b128 v[14:17], v[10:11], off
	global_load_b128 v[18:21], v[10:11], off offset:1024
	global_load_b128 v[22:25], v[10:11], off offset:2048
	;; [unrolled: 1-line block ×3, first 2 shown]
	s_clause 0x2
	global_load_b32 v44, v1, s[8:9] scale_offset
	global_load_b32 v95, v1, s[8:9] offset:256 scale_offset
	global_load_b32 v96, v1, s[8:9] offset:512 scale_offset
	s_wait_xcnt 0x3
	v_add_nc_u64_e32 v[10:11], 0x1000, v[10:11]
	s_wait_loadcnt 0x6
	v_bfe_i32 v30, v14, 16, 8
	s_wait_loadcnt 0x5
	v_dual_ashrrev_i32 v61, 24, v21 :: v_dual_ashrrev_i32 v62, 24, v20
	s_wait_loadcnt 0x3
	v_bfe_i32 v90, v29, 0, 8
	v_bfe_i32 v91, v29, 8, 8
	v_bfe_i32 v92, v29, 16, 8
	v_dual_ashrrev_i32 v93, 24, v29 :: v_dual_ashrrev_i32 v94, 24, v28
	v_cvt_f32_i32_e32 v29, v61
	global_load_b32 v61, v1, s[8:9] offset:768 scale_offset
	v_bfe_i32 v65, v22, 16, 8
	v_bfe_i32 v31, v15, 16, 8
	v_dual_ashrrev_i32 v32, 24, v15 :: v_dual_ashrrev_i32 v33, 24, v14
	v_bfe_i32 v34, v16, 16, 8
	v_bfe_i32 v68, v23, 16, 8
	v_dual_ashrrev_i32 v69, 24, v23 :: v_dual_ashrrev_i32 v70, 24, v22
	v_bfe_i32 v73, v24, 16, 8
	s_wait_loadcnt 0x3
	v_subrev_nc_u32_e32 v44, s16, v44
	v_bfe_i32 v87, v28, 0, 8
	v_bfe_i32 v88, v28, 8, 8
	v_bfe_i32 v89, v28, 16, 8
	v_cvt_f32_i32_e32 v28, v62
	s_wait_loadcnt 0x2
	v_subrev_nc_u32_e32 v62, s16, v95
	v_bfe_i32 v45, v14, 0, 8
	v_bfe_i32 v46, v14, 8, 8
	v_cvt_f32_i32_e32 v14, v30
	v_cvt_f32_i32_e32 v30, v65
	s_wait_loadcnt 0x1
	v_subrev_nc_u32_e32 v65, s16, v96
	v_bfe_i32 v47, v15, 0, 8
	v_bfe_i32 v48, v15, 8, 8
	;; [unrolled: 1-line block ×4, first 2 shown]
	v_dual_ashrrev_i32 v36, 24, v17 :: v_dual_ashrrev_i32 v37, 24, v16
	v_bfe_i32 v53, v18, 0, 8
	v_bfe_i32 v54, v18, 8, 8
	;; [unrolled: 1-line block ×6, first 2 shown]
	v_dual_ashrrev_i32 v40, 24, v19 :: v_dual_ashrrev_i32 v41, 24, v18
	v_cvt_f32_i32_e32 v15, v31
	v_cvt_f32_i32_e32 v16, v34
	;; [unrolled: 1-line block ×8, first 2 shown]
	v_bfe_i32 v51, v17, 0, 8
	v_bfe_i32 v52, v17, 8, 8
	v_cvt_f32_i32_e32 v46, v46
	v_cvt_f32_i32_e32 v48, v48
	v_cvt_f32_i32_e32 v50, v50
	v_bfe_i32 v35, v17, 16, 8
	v_bfe_i32 v57, v20, 0, 8
	;; [unrolled: 1-line block ×5, first 2 shown]
	v_cvt_f32_i32_e32 v17, v35
	v_bfe_i32 v60, v21, 8, 8
	v_bfe_i32 v43, v21, 16, 8
	v_cvt_f32_i32_e32 v21, v36
	v_cvt_f32_i32_e32 v20, v37
	v_bfe_i32 v63, v22, 0, 8
	v_bfe_i32 v64, v22, 8, 8
	;; [unrolled: 1-line block ×4, first 2 shown]
	v_cvt_f32_i32_e32 v22, v38
	v_cvt_f32_i32_e32 v23, v39
	v_bfe_i32 v71, v24, 0, 8
	v_bfe_i32 v72, v24, 8, 8
	;; [unrolled: 1-line block ×5, first 2 shown]
	v_dual_ashrrev_i32 v77, 24, v25 :: v_dual_ashrrev_i32 v78, 24, v24
	v_bfe_i32 v79, v26, 0, 8
	v_bfe_i32 v80, v26, 8, 8
	;; [unrolled: 1-line block ×6, first 2 shown]
	v_dual_ashrrev_i32 v85, 24, v27 :: v_dual_ashrrev_i32 v86, 24, v26
	v_cvt_f32_i32_e32 v25, v40
	v_cvt_f32_i32_e32 v24, v41
	;; [unrolled: 1-line block ×16, first 2 shown]
	s_wait_loadcnt 0x0
	v_subrev_nc_u32_e32 v61, s16, v61
	s_wait_kmcnt 0x0
	s_clause 0x3
	global_load_b32 v68, v44, s[4:5] scale_offset
	global_load_b32 v69, v62, s[4:5] scale_offset
	global_load_b32 v70, v65, s[4:5] scale_offset
	global_load_b32 v73, v61, s[4:5] scale_offset
	s_wait_xcnt 0x3
	v_cvt_f32_i32_e32 v44, v45
	s_wait_xcnt 0x2
	v_cvt_f32_i32_e32 v62, v66
	;; [unrolled: 2-line block ×3, first 2 shown]
	v_cvt_f32_i32_e32 v64, v71
	v_cvt_f32_i32_e32 v66, v74
	;; [unrolled: 1-line block ×7, first 2 shown]
	s_wait_loadcnt 0x3
	v_bfe_i32 v45, v68, 0, 8
	s_delay_alu instid0(VALU_DEP_1) | instskip(NEXT) | instid1(VALU_DEP_1)
	v_cvt_f32_i32_e32 v45, v45
	v_fmac_f32_e32 v8, v44, v45
	v_cvt_f32_i32_e32 v44, v47
	v_cvt_f32_i32_e32 v47, v49
	;; [unrolled: 1-line block ×5, first 2 shown]
	v_fmac_f32_e32 v9, v44, v45
	v_bfe_i32 v44, v68, 8, 8
	v_fmac_f32_e32 v6, v47, v45
	v_bfe_i32 v47, v68, 16, 8
	v_ashrrev_i32_e32 v68, 24, v68
	v_cvt_f32_i32_e32 v53, v54
	v_cvt_f32_i32_e32 v44, v44
	v_fmac_f32_e32 v7, v49, v45
	v_add_nc_u32_e32 v1, 0x100, v1
	s_wait_loadcnt 0x2
	v_bfe_i32 v45, v69, 0, 8
	v_bfe_i32 v49, v69, 8, 8
	v_fmac_f32_e32 v8, v46, v44
	v_bfe_i32 v46, v69, 16, 8
	v_dual_fmac_f32 v6, v50, v44 :: v_dual_ashrrev_i32 v69, 24, v69
	v_dual_fmac_f32 v9, v48, v44 :: v_dual_fmac_f32 v7, v51, v44
	v_cvt_f32_i32_e32 v44, v47
	v_cvt_f32_i32_e32 v54, v55
	s_wait_loadcnt 0x1
	v_bfe_i32 v48, v70, 0, 8
	v_bfe_i32 v50, v70, 8, 8
	;; [unrolled: 1-line block ×3, first 2 shown]
	v_pk_fma_f32 v[8:9], v[14:15], v[44:45], v[8:9] op_sel_hi:[1,0,1]
	s_wait_loadcnt 0x0
	v_bfe_i32 v15, v73, 0, 8
	v_cvt_f32_i32_e32 v14, v68
	v_ashrrev_i32_e32 v70, 24, v70
	v_pk_fma_f32 v[6:7], v[16:17], v[44:45], v[6:7] op_sel_hi:[1,0,1]
	v_cvt_f32_i32_e32 v45, v45
	v_cvt_f32_i32_e32 v55, v56
	v_pk_fma_f32 v[8:9], v[18:19], v[14:15], v[8:9] op_sel_hi:[1,0,1]
	v_cvt_f32_i32_e32 v56, v57
	v_cvt_f32_i32_e32 v57, v58
	;; [unrolled: 1-line block ×4, first 2 shown]
	v_pk_fma_f32 v[6:7], v[20:21], v[14:15], v[6:7] op_sel_hi:[1,0,1]
	v_dual_fma_f32 v8, v52, v45, v8 :: v_dual_fmac_f32 v9, v54, v45
	v_cvt_f32_i32_e32 v59, v60
	v_bfe_i32 v17, v73, 16, 8
	v_cvt_f32_i32_e32 v16, v46
	v_dual_fma_f32 v6, v56, v45, v6 :: v_dual_fmac_f32 v7, v58, v45
	v_dual_fmac_f32 v8, v53, v49 :: v_dual_fmac_f32 v9, v55, v49
	v_cvt_f32_i32_e32 v44, v69
	s_delay_alu instid0(VALU_DEP_3) | instskip(SKIP_1) | instid1(VALU_DEP_4)
	v_dual_fmac_f32 v6, v57, v49 :: v_dual_fmac_f32 v7, v59, v49
	v_cvt_f32_i32_e32 v60, v63
	v_pk_fma_f32 v[8:9], v[22:23], v[16:17], v[8:9] op_sel_hi:[1,0,1]
	v_cvt_f32_i32_e32 v46, v48
	v_cvt_f32_i32_e32 v63, v67
	v_pk_fma_f32 v[6:7], v[26:27], v[16:17], v[6:7] op_sel_hi:[1,0,1]
	v_bfe_i32 v47, v73, 8, 8
	v_pk_fma_f32 v[8:9], v[24:25], v[44:45], v[8:9] op_sel_hi:[1,0,1]
	v_ashrrev_i32_e32 v73, 24, v73
	v_cvt_f32_i32_e32 v48, v50
	v_pk_fma_f32 v[6:7], v[28:29], v[44:45], v[6:7] op_sel_hi:[1,0,1]
	v_cvt_f32_i32_e32 v18, v51
	v_dual_fma_f32 v8, v60, v46, v8 :: v_dual_fmac_f32 v9, v62, v46
	v_cvt_f32_i32_e32 v67, v75
	s_delay_alu instid0(VALU_DEP_4) | instskip(NEXT) | instid1(VALU_DEP_3)
	v_dual_fma_f32 v6, v64, v46, v6 :: v_dual_fmac_f32 v7, v66, v46
	v_dual_fmac_f32 v8, v61, v48 :: v_dual_fmac_f32 v9, v63, v48
	v_cvt_f32_i32_e32 v14, v70
	s_delay_alu instid0(VALU_DEP_3)
	v_fmac_f32_e32 v6, v65, v48
	v_cvt_f32_i32_e32 v15, v15
	v_cvt_f32_i32_e32 v75, v83
	v_pk_fma_f32 v[8:9], v[30:31], v[18:19], v[8:9] op_sel_hi:[1,0,1]
	v_cvt_f32_i32_e32 v16, v47
	v_cmp_ge_i32_e32 vcc_lo, v1, v12
	s_delay_alu instid0(VALU_DEP_3) | instskip(SKIP_2) | instid1(VALU_DEP_2)
	v_pk_fma_f32 v[8:9], v[32:33], v[14:15], v[8:9] op_sel_hi:[1,0,1]
	v_fmac_f32_e32 v7, v67, v48
	s_or_b32 s7, vcc_lo, s7
	v_fmac_f32_e32 v9, v74, v15
	s_delay_alu instid0(VALU_DEP_2) | instskip(SKIP_1) | instid1(VALU_DEP_2)
	v_pk_fma_f32 v[6:7], v[34:35], v[18:19], v[6:7] op_sel_hi:[1,0,1]
	v_cvt_f32_i32_e32 v18, v73
	v_pk_fma_f32 v[6:7], v[36:37], v[14:15], v[6:7] op_sel_hi:[1,0,1]
	v_fma_f32 v8, v71, v15, v8
	v_cvt_f32_i32_e32 v14, v17
	v_cvt_f32_i32_e32 v17, v93
	s_delay_alu instid0(VALU_DEP_4) | instskip(NEXT) | instid1(VALU_DEP_4)
	v_dual_fma_f32 v6, v76, v15, v6 :: v_dual_fmac_f32 v7, v78, v15
	v_dual_fmac_f32 v8, v72, v16 :: v_dual_fmac_f32 v9, v75, v16
	s_delay_alu instid0(VALU_DEP_2) | instskip(SKIP_1) | instid1(VALU_DEP_3)
	v_dual_fmac_f32 v6, v77, v16 :: v_dual_fmac_f32 v7, v79, v16
	v_cvt_f32_i32_e32 v16, v94
	v_pk_fma_f32 v[8:9], v[38:39], v[14:15], v[8:9] op_sel_hi:[1,0,1]
	s_delay_alu instid0(VALU_DEP_3) | instskip(NEXT) | instid1(VALU_DEP_2)
	v_pk_fma_f32 v[6:7], v[42:43], v[14:15], v[6:7] op_sel_hi:[1,0,1]
	v_pk_fma_f32 v[8:9], v[40:41], v[18:19], v[8:9] op_sel_hi:[1,0,1]
	s_delay_alu instid0(VALU_DEP_2)
	v_pk_fma_f32 v[6:7], v[16:17], v[18:19], v[6:7] op_sel_hi:[1,0,1]
	s_and_not1_b32 exec_lo, exec_lo, s7
	s_cbranch_execnz .LBB79_21
; %bb.22:
	s_or_b32 exec_lo, exec_lo, s7
.LBB79_23:
	s_delay_alu instid0(SALU_CYCLE_1)
	s_or_b32 exec_lo, exec_lo, s6
.LBB79_24:
	s_delay_alu instid0(SALU_CYCLE_1)
	s_or_b32 exec_lo, exec_lo, s3
	s_cbranch_execz .LBB79_26
	s_branch .LBB79_37
.LBB79_25:
                                        ; implicit-def: $vgpr7
                                        ; implicit-def: $vgpr9
.LBB79_26:
	v_dual_mov_b32 v7, 0 :: v_dual_mov_b32 v6, 0
	v_dual_mov_b32 v9, 0 :: v_dual_mov_b32 v8, 0
	s_and_saveexec_b32 s3, s2
	s_cbranch_execz .LBB79_36
; %bb.27:
	v_add_nc_u32_e32 v1, v13, v3
	v_not_b32_e32 v6, v13
	v_mov_b64_e32 v[8:9], 0
	s_mov_b32 s2, exec_lo
	s_delay_alu instid0(VALU_DEP_3) | instskip(NEXT) | instid1(VALU_DEP_1)
	v_subrev_nc_u32_e32 v1, s16, v1
	v_add_max_i32_e64 v1, v1, 64, v12
	s_delay_alu instid0(VALU_DEP_1) | instskip(SKIP_1) | instid1(VALU_DEP_2)
	v_add3_u32 v1, s16, v1, v6
	v_mov_b64_e32 v[6:7], 0
	v_sub_nc_u32_e32 v1, v1, v3
	s_delay_alu instid0(VALU_DEP_1) | instskip(NEXT) | instid1(VALU_DEP_1)
	v_and_b32_e32 v10, 0xc0, v1
	v_cmpx_ne_u32_e32 0xc0, v10
	s_cbranch_execz .LBB79_31
; %bb.28:
	v_lshrrev_b32_e32 v6, 6, v1
	s_mov_b32 s6, 0
	s_delay_alu instid0(VALU_DEP_1) | instskip(NEXT) | instid1(VALU_DEP_1)
	v_dual_mov_b32 v6, 0 :: v_dual_add_nc_u32 v7, 1, v6
	v_dual_mov_b32 v7, v6 :: v_dual_bitop2_b32 v9, 3, v7 bitop3:0x40
	s_delay_alu instid0(VALU_DEP_1)
	v_dual_mov_b32 v8, v6 :: v_dual_sub_nc_u32 v10, 0, v9
	v_mov_b32_e32 v9, v6
.LBB79_29:                              ; =>This Inner Loop Header: Depth=1
	global_load_b32 v11, v0, s[8:9] scale_offset
	v_add_co_u32 v10, s7, v10, 1
	s_or_b32 s6, s7, s6
	s_wait_xcnt 0x0
	v_add_nc_u32_e32 v0, 64, v0
	s_wait_loadcnt 0x0
	v_subrev_nc_u32_e32 v11, s16, v11
	global_load_b128 v[14:17], v[4:5], off
	s_wait_kmcnt 0x0
	global_load_b32 v13, v11, s[4:5] scale_offset
	s_wait_xcnt 0x1
	v_add_nc_u64_e32 v[4:5], 0x400, v[4:5]
	s_wait_loadcnt 0x1
	s_wait_xcnt 0x0
	v_bfe_i32 v11, v14, 8, 8
	v_bfe_i32 v18, v14, 0, 8
	;; [unrolled: 1-line block ×4, first 2 shown]
	v_dual_ashrrev_i32 v21, 24, v14 :: v_dual_ashrrev_i32 v23, 24, v15
	v_bfe_i32 v22, v14, 16, 8
	v_bfe_i32 v24, v15, 16, 8
	;; [unrolled: 1-line block ×4, first 2 shown]
	v_dual_ashrrev_i32 v27, 24, v16 :: v_dual_ashrrev_i32 v31, 24, v17
	v_bfe_i32 v28, v16, 16, 8
	v_bfe_i32 v29, v17, 8, 8
	v_cvt_f32_i32_e32 v15, v11
	s_wait_loadcnt 0x0
	v_bfe_i32 v11, v13, 0, 8
	v_bfe_i32 v30, v17, 0, 8
	;; [unrolled: 1-line block ×3, first 2 shown]
	v_cvt_f32_i32_e32 v14, v18
	v_cvt_f32_i32_e32 v17, v19
	;; [unrolled: 1-line block ×11, first 2 shown]
	v_bfe_i32 v28, v13, 8, 8
	v_cvt_f32_i32_e32 v26, v11
	v_cvt_f32_i32_e32 v27, v29
	v_bfe_i32 v11, v13, 16, 8
	v_ashrrev_i32_e32 v13, 24, v13
	v_cvt_f32_i32_e32 v28, v28
	s_delay_alu instid0(VALU_DEP_4)
	v_pk_fma_f32 v[8:9], v[14:15], v[26:27], v[8:9] op_sel_hi:[1,0,1]
	v_pk_fma_f32 v[6:7], v[18:19], v[26:27], v[6:7] op_sel_hi:[1,0,1]
	v_cvt_f32_i32_e32 v14, v11
	v_cvt_f32_i32_e32 v26, v30
	v_cvt_f32_i32_e32 v18, v13
	v_pk_fma_f32 v[8:9], v[16:17], v[28:29], v[8:9] op_sel_hi:[1,0,1]
	v_pk_fma_f32 v[6:7], v[20:21], v[28:29], v[6:7] op_sel_hi:[1,0,1]
	v_cvt_f32_i32_e32 v17, v31
	v_cvt_f32_i32_e32 v16, v32
	s_delay_alu instid0(VALU_DEP_4) | instskip(NEXT) | instid1(VALU_DEP_4)
	v_pk_fma_f32 v[8:9], v[22:23], v[14:15], v[8:9] op_sel_hi:[1,0,1]
	v_pk_fma_f32 v[6:7], v[24:25], v[14:15], v[6:7] op_sel_hi:[1,0,1]
	s_delay_alu instid0(VALU_DEP_2) | instskip(NEXT) | instid1(VALU_DEP_2)
	v_pk_fma_f32 v[8:9], v[26:27], v[18:19], v[8:9] op_sel_hi:[1,0,1]
	v_pk_fma_f32 v[6:7], v[16:17], v[18:19], v[6:7] op_sel_hi:[1,0,1]
	s_and_not1_b32 exec_lo, exec_lo, s6
	s_cbranch_execnz .LBB79_29
; %bb.30:
	s_or_b32 exec_lo, exec_lo, s6
.LBB79_31:
	s_delay_alu instid0(SALU_CYCLE_1) | instskip(NEXT) | instid1(SALU_CYCLE_1)
	s_or_b32 exec_lo, exec_lo, s2
	s_mov_b32 s2, exec_lo
	v_cmpx_lt_u32_e32 0xbf, v1
	s_cbranch_execz .LBB79_35
; %bb.32:
	s_mov_b32 s6, 0
.LBB79_33:                              ; =>This Inner Loop Header: Depth=1
	s_clause 0x3
	global_load_b32 v1, v0, s[8:9] scale_offset
	global_load_b32 v10, v0, s[8:9] offset:256 scale_offset
	global_load_b32 v11, v0, s[8:9] offset:512 scale_offset
	;; [unrolled: 1-line block ×3, first 2 shown]
	s_clause 0x2
	global_load_b128 v[14:17], v[4:5], off
	global_load_b128 v[18:21], v[4:5], off offset:1024
	global_load_b128 v[22:25], v[4:5], off offset:2048
	s_wait_xcnt 0x3
	v_add_nc_u32_e32 v0, 0x100, v0
	s_delay_alu instid0(VALU_DEP_1)
	v_cmp_ge_i32_e32 vcc_lo, v0, v12
	s_or_b32 s6, vcc_lo, s6
	s_wait_loadcnt 0x6
	v_subrev_nc_u32_e32 v1, s16, v1
	s_wait_loadcnt 0x5
	v_subrev_nc_u32_e32 v10, s16, v10
	;; [unrolled: 2-line block ×4, first 2 shown]
	s_wait_loadcnt 0x2
	v_dual_ashrrev_i32 v31, 24, v14 :: v_dual_ashrrev_i32 v33, 24, v15
	s_wait_kmcnt 0x0
	s_clause 0x2
	global_load_b32 v59, v1, s[4:5] scale_offset
	global_load_b32 v60, v10, s[4:5] scale_offset
	;; [unrolled: 1-line block ×3, first 2 shown]
	global_load_b128 v[26:29], v[4:5], off offset:3072
	global_load_b32 v62, v13, s[4:5] scale_offset
	s_wait_xcnt 0x4
	v_bfe_i32 v1, v14, 8, 8
	s_wait_xcnt 0x3
	v_bfe_i32 v10, v14, 0, 8
	v_bfe_i32 v32, v14, 16, 8
	s_wait_xcnt 0x0
	v_bfe_i32 v13, v15, 8, 8
	v_bfe_i32 v30, v15, 0, 8
	v_cvt_f32_i32_e32 v11, v1
	v_cvt_f32_i32_e32 v10, v10
	v_bfe_i32 v34, v15, 16, 8
	v_dual_ashrrev_i32 v37, 24, v16 :: v_dual_ashrrev_i32 v41, 24, v17
	v_bfe_i32 v38, v16, 16, 8
	s_wait_loadcnt 0x6
	v_bfe_i32 v58, v21, 16, 8
	s_wait_loadcnt 0x5
	v_bfe_i32 v63, v22, 8, 8
	v_bfe_i32 v35, v16, 8, 8
	;; [unrolled: 1-line block ×5, first 2 shown]
	v_dual_ashrrev_i32 v47, 24, v18 :: v_dual_ashrrev_i32 v49, 24, v19
	v_bfe_i32 v48, v18, 16, 8
	v_bfe_i32 v65, v23, 8, 8
	;; [unrolled: 1-line block ×3, first 2 shown]
	v_dual_ashrrev_i32 v67, 24, v22 :: v_dual_ashrrev_i32 v69, 24, v23
	v_bfe_i32 v70, v23, 16, 8
	v_cvt_f32_i32_e32 v18, v38
	v_cvt_f32_i32_e32 v23, v41
	;; [unrolled: 1-line block ×4, first 2 shown]
	v_bfe_i32 v39, v17, 8, 8
	v_bfe_i32 v40, v17, 0, 8
	v_bfe_i32 v42, v17, 16, 8
	v_bfe_i32 v45, v19, 8, 8
	v_bfe_i32 v46, v19, 0, 8
	v_bfe_i32 v50, v19, 16, 8
	v_cvt_f32_i32_e32 v17, v35
	v_cvt_f32_i32_e32 v16, v36
	v_cvt_f32_i32_e32 v19, v37
	v_bfe_i32 v51, v20, 8, 8
	v_bfe_i32 v52, v20, 0, 8
	v_dual_ashrrev_i32 v53, 24, v20 :: v_dual_ashrrev_i32 v57, 24, v21
	v_bfe_i32 v54, v20, 16, 8
	v_bfe_i32 v55, v21, 8, 8
	;; [unrolled: 1-line block ×5, first 2 shown]
	v_cvt_f32_i32_e32 v21, v39
	v_cvt_f32_i32_e32 v20, v40
	;; [unrolled: 1-line block ×3, first 2 shown]
	v_bfe_i32 v71, v24, 8, 8
	v_bfe_i32 v72, v24, 0, 8
	v_dual_ashrrev_i32 v73, 24, v24 :: v_dual_ashrrev_i32 v77, 24, v25
	v_bfe_i32 v74, v24, 16, 8
	v_bfe_i32 v75, v25, 8, 8
	;; [unrolled: 1-line block ×4, first 2 shown]
	v_cvt_f32_i32_e32 v25, v43
	v_cvt_f32_i32_e32 v24, v44
	;; [unrolled: 1-line block ×12, first 2 shown]
	v_add_nc_u64_e32 v[4:5], 0x1000, v[4:5]
	s_wait_loadcnt 0x4
	v_bfe_i32 v1, v59, 0, 8
	v_bfe_i32 v63, v59, 16, 8
	s_wait_loadcnt 0x1
	v_bfe_i32 v81, v27, 8, 8
	v_bfe_i32 v87, v28, 8, 8
	v_cvt_f32_i32_e32 v14, v1
	v_bfe_i32 v1, v28, 0, 8
	v_dual_ashrrev_i32 v88, 24, v28 :: v_dual_ashrrev_i32 v92, 24, v29
	v_bfe_i32 v89, v28, 16, 8
	s_delay_alu instid0(VALU_DEP_4)
	v_pk_fma_f32 v[8:9], v[10:11], v[14:15], v[8:9] op_sel_hi:[1,0,1]
	v_cvt_f32_i32_e32 v11, v31
	v_cvt_f32_i32_e32 v10, v32
	v_bfe_i32 v90, v29, 8, 8
	v_bfe_i32 v91, v29, 0, 8
	;; [unrolled: 1-line block ×3, first 2 shown]
	v_cvt_f32_i32_e32 v29, v47
	v_pk_fma_f32 v[6:7], v[10:11], v[14:15], v[6:7] op_sel_hi:[1,0,1]
	v_cvt_f32_i32_e32 v11, v13
	v_bfe_i32 v13, v59, 8, 8
	v_cvt_f32_i32_e32 v10, v30
	v_cvt_f32_i32_e32 v15, v33
	;; [unrolled: 1-line block ×5, first 2 shown]
	v_ashrrev_i32_e32 v13, 24, v59
	v_bfe_i32 v79, v26, 8, 8
	v_bfe_i32 v80, v26, 0, 8
	v_bfe_i32 v82, v27, 0, 8
	v_pk_fma_f32 v[8:9], v[10:11], v[58:59], v[8:9] op_sel_hi:[1,0,1]
	v_cvt_f32_i32_e32 v10, v63
	v_pk_fma_f32 v[6:7], v[14:15], v[58:59], v[6:7] op_sel_hi:[1,0,1]
	v_cvt_f32_i32_e32 v11, v81
	v_bfe_i32 v15, v60, 0, 8
	v_cvt_f32_i32_e32 v14, v13
	v_bfe_i32 v13, v60, 8, 8
	v_dual_ashrrev_i32 v83, 24, v26 :: v_dual_ashrrev_i32 v85, 24, v27
	v_pk_fma_f32 v[8:9], v[16:17], v[10:11], v[8:9] op_sel_hi:[1,0,1]
	v_pk_fma_f32 v[6:7], v[18:19], v[10:11], v[6:7] op_sel_hi:[1,0,1]
	v_cvt_f32_i32_e32 v16, v15
	v_bfe_i32 v17, v60, 16, 8
	v_bfe_i32 v84, v26, 16, 8
	v_pk_fma_f32 v[8:9], v[20:21], v[14:15], v[8:9] op_sel_hi:[1,0,1]
	v_pk_fma_f32 v[6:7], v[22:23], v[14:15], v[6:7] op_sel_hi:[1,0,1]
	v_bfe_i32 v86, v27, 16, 8
	v_cvt_f32_i32_e32 v27, v45
	v_cvt_f32_i32_e32 v26, v46
	;; [unrolled: 1-line block ×5, first 2 shown]
	v_pk_fma_f32 v[8:9], v[24:25], v[16:17], v[8:9] op_sel_hi:[1,0,1]
	v_pk_fma_f32 v[6:7], v[28:29], v[16:17], v[6:7] op_sel_hi:[1,0,1]
	v_cvt_f32_i32_e32 v33, v51
	v_cvt_f32_i32_e32 v32, v52
	;; [unrolled: 1-line block ×3, first 2 shown]
	v_ashrrev_i32_e32 v13, 24, v60
	v_cvt_f32_i32_e32 v16, v17
	v_pk_fma_f32 v[8:9], v[26:27], v[18:19], v[8:9] op_sel_hi:[1,0,1]
	v_pk_fma_f32 v[6:7], v[30:31], v[18:19], v[6:7] op_sel_hi:[1,0,1]
	v_cvt_f32_i32_e32 v17, v85
	v_bfe_i32 v19, v61, 0, 8
	v_cvt_f32_i32_e32 v18, v13
	v_cvt_f32_i32_e32 v45, v67
	v_bfe_i32 v13, v61, 8, 8
	v_pk_fma_f32 v[8:9], v[32:33], v[16:17], v[8:9] op_sel_hi:[1,0,1]
	v_pk_fma_f32 v[6:7], v[34:35], v[16:17], v[6:7] op_sel_hi:[1,0,1]
	v_cvt_f32_i32_e32 v20, v19
	v_bfe_i32 v21, v61, 16, 8
	v_cvt_f32_i32_e32 v47, v69
	v_pk_fma_f32 v[8:9], v[36:37], v[18:19], v[8:9] op_sel_hi:[1,0,1]
	v_pk_fma_f32 v[6:7], v[38:39], v[18:19], v[6:7] op_sel_hi:[1,0,1]
	v_cvt_f32_i32_e32 v46, v70
	v_cvt_f32_i32_e32 v22, v13
	;; [unrolled: 1-line block ×3, first 2 shown]
	v_pk_fma_f32 v[8:9], v[40:41], v[20:21], v[8:9] op_sel_hi:[1,0,1]
	v_pk_fma_f32 v[6:7], v[44:45], v[20:21], v[6:7] op_sel_hi:[1,0,1]
	v_cvt_f32_i32_e32 v48, v72
	v_cvt_f32_i32_e32 v51, v73
	;; [unrolled: 1-line block ×4, first 2 shown]
	v_ashrrev_i32_e32 v1, 24, v61
	v_cvt_f32_i32_e32 v20, v21
	v_pk_fma_f32 v[8:9], v[42:43], v[22:23], v[8:9] op_sel_hi:[1,0,1]
	v_pk_fma_f32 v[6:7], v[46:47], v[22:23], v[6:7] op_sel_hi:[1,0,1]
	v_cvt_f32_i32_e32 v21, v88
	v_cvt_f32_i32_e32 v52, v76
	;; [unrolled: 1-line block ×3, first 2 shown]
	s_wait_loadcnt 0x0
	v_bfe_i32 v13, v62, 0, 8
	v_cvt_f32_i32_e32 v22, v1
	v_pk_fma_f32 v[8:9], v[48:49], v[20:21], v[8:9] op_sel_hi:[1,0,1]
	v_pk_fma_f32 v[6:7], v[50:51], v[20:21], v[6:7] op_sel_hi:[1,0,1]
	v_cvt_f32_i32_e32 v57, v79
	v_cvt_f32_i32_e32 v56, v80
	;; [unrolled: 1-line block ×4, first 2 shown]
	v_bfe_i32 v1, v62, 8, 8
	v_cvt_f32_i32_e32 v24, v13
	v_pk_fma_f32 v[8:9], v[52:53], v[22:23], v[8:9] op_sel_hi:[1,0,1]
	v_pk_fma_f32 v[6:7], v[54:55], v[22:23], v[6:7] op_sel_hi:[1,0,1]
	v_cvt_f32_i32_e32 v10, v82
	v_cvt_f32_i32_e32 v16, v86
	v_bfe_i32 v13, v62, 16, 8
	v_cvt_f32_i32_e32 v26, v1
	v_pk_fma_f32 v[8:9], v[56:57], v[24:25], v[8:9] op_sel_hi:[1,0,1]
	v_pk_fma_f32 v[6:7], v[14:15], v[24:25], v[6:7] op_sel_hi:[1,0,1]
	v_cvt_f32_i32_e32 v19, v87
	v_cvt_f32_i32_e32 v20, v89
	v_ashrrev_i32_e32 v1, 24, v62
	v_cvt_f32_i32_e32 v14, v13
	v_pk_fma_f32 v[8:9], v[10:11], v[26:27], v[8:9] op_sel_hi:[1,0,1]
	v_pk_fma_f32 v[6:7], v[16:17], v[26:27], v[6:7] op_sel_hi:[1,0,1]
	v_cvt_f32_i32_e32 v23, v90
	v_cvt_f32_i32_e32 v22, v91
	;; [unrolled: 1-line block ×5, first 2 shown]
	v_pk_fma_f32 v[8:9], v[18:19], v[14:15], v[8:9] op_sel_hi:[1,0,1]
	v_pk_fma_f32 v[6:7], v[20:21], v[14:15], v[6:7] op_sel_hi:[1,0,1]
	s_delay_alu instid0(VALU_DEP_2) | instskip(NEXT) | instid1(VALU_DEP_2)
	v_pk_fma_f32 v[8:9], v[22:23], v[16:17], v[8:9] op_sel_hi:[1,0,1]
	v_pk_fma_f32 v[6:7], v[10:11], v[16:17], v[6:7] op_sel_hi:[1,0,1]
	s_and_not1_b32 exec_lo, exec_lo, s6
	s_cbranch_execnz .LBB79_33
; %bb.34:
	s_or_b32 exec_lo, exec_lo, s6
.LBB79_35:
	s_delay_alu instid0(SALU_CYCLE_1)
	s_or_b32 exec_lo, exec_lo, s2
.LBB79_36:
	s_delay_alu instid0(SALU_CYCLE_1)
	s_or_b32 exec_lo, exec_lo, s3
.LBB79_37:
	v_mbcnt_lo_u32_b32 v10, -1, 0
	s_mov_b32 s2, -1
	s_delay_alu instid0(VALU_DEP_1) | instskip(SKIP_1) | instid1(VALU_DEP_1)
	v_xor_b32_e32 v11, 16, v10
	v_or_b32_e32 v0, 32, v10
	v_cmp_gt_i32_e32 vcc_lo, 32, v0
	v_cndmask_b32_e32 v0, v10, v0, vcc_lo
	s_delay_alu instid0(VALU_DEP_4) | instskip(SKIP_1) | instid1(VALU_DEP_1)
	v_cmp_gt_i32_e32 vcc_lo, 32, v11
	v_cndmask_b32_e32 v11, v10, v11, vcc_lo
	v_dual_lshlrev_b32 v11, 2, v11 :: v_dual_lshlrev_b32 v5, 2, v0
	ds_bpermute_b32 v0, v5, v8
	ds_bpermute_b32 v1, v5, v9
	;; [unrolled: 1-line block ×4, first 2 shown]
	s_wait_dscnt 0x2
	v_pk_add_f32 v[0:1], v[8:9], v[0:1]
	s_wait_dscnt 0x0
	v_pk_add_f32 v[4:5], v[6:7], v[4:5]
	ds_bpermute_b32 v6, v11, v0
	ds_bpermute_b32 v7, v11, v1
	ds_bpermute_b32 v8, v11, v4
	ds_bpermute_b32 v9, v11, v5
	v_xor_b32_e32 v11, 8, v10
	s_delay_alu instid0(VALU_DEP_1) | instskip(SKIP_1) | instid1(VALU_DEP_1)
	v_cmp_gt_i32_e32 vcc_lo, 32, v11
	v_cndmask_b32_e32 v11, v10, v11, vcc_lo
	v_lshlrev_b32_e32 v11, 2, v11
	s_wait_dscnt 0x2
	v_pk_add_f32 v[0:1], v[0:1], v[6:7]
	s_wait_dscnt 0x0
	v_pk_add_f32 v[4:5], v[4:5], v[8:9]
	ds_bpermute_b32 v6, v11, v0
	ds_bpermute_b32 v7, v11, v1
	ds_bpermute_b32 v8, v11, v4
	ds_bpermute_b32 v9, v11, v5
	v_xor_b32_e32 v11, 4, v10
	s_delay_alu instid0(VALU_DEP_1) | instskip(SKIP_1) | instid1(VALU_DEP_1)
	v_cmp_gt_i32_e32 vcc_lo, 32, v11
	v_cndmask_b32_e32 v11, v10, v11, vcc_lo
	v_lshlrev_b32_e32 v11, 2, v11
	;; [unrolled: 13-line block ×3, first 2 shown]
	s_wait_dscnt 0x2
	v_pk_add_f32 v[0:1], v[0:1], v[6:7]
	s_wait_dscnt 0x0
	v_pk_add_f32 v[4:5], v[4:5], v[8:9]
	ds_bpermute_b32 v6, v11, v0
	ds_bpermute_b32 v7, v11, v1
	;; [unrolled: 1-line block ×4, first 2 shown]
	v_xor_b32_e32 v11, 1, v10
	s_delay_alu instid0(VALU_DEP_1) | instskip(SKIP_2) | instid1(VALU_DEP_2)
	v_cmp_gt_i32_e32 vcc_lo, 32, v11
	v_cndmask_b32_e32 v10, v10, v11, vcc_lo
	v_cmp_eq_u32_e32 vcc_lo, 63, v3
	v_lshlrev_b32_e32 v10, 2, v10
	s_wait_dscnt 0x2
	v_pk_add_f32 v[0:1], v[0:1], v[6:7]
	s_wait_dscnt 0x0
	v_pk_add_f32 v[6:7], v[4:5], v[8:9]
	ds_bpermute_b32 v4, v10, v0
	ds_bpermute_b32 v5, v10, v1
	;; [unrolled: 1-line block ×4, first 2 shown]
	s_and_b32 exec_lo, exec_lo, vcc_lo
	s_cbranch_execz .LBB79_10
; %bb.38:
	s_load_b64 s[0:1], s[0:1], 0x50
	s_wait_dscnt 0x2
	v_pk_add_f32 v[4:5], v[0:1], v[4:5]
	s_wait_dscnt 0x0
	v_pk_add_f32 v[0:1], v[6:7], v[8:9]
	v_lshlrev_b32_e32 v2, 2, v2
	s_cmp_eq_f32 s14, 0
	s_cbranch_scc0 .LBB79_40
; %bb.39:
	s_delay_alu instid0(VALU_DEP_1)
	v_ashrrev_i32_e32 v3, 31, v2
	v_pk_mul_f32 v[6:7], s[12:13], v[4:5] op_sel_hi:[0,1]
	v_pk_mul_f32 v[8:9], s[12:13], v[0:1] op_sel_hi:[0,1]
	s_mov_b32 s2, 0
	s_wait_kmcnt 0x0
	v_lshl_add_u64 v[10:11], v[2:3], 2, s[0:1]
	global_store_b128 v[10:11], v[6:9], off
.LBB79_40:
	s_and_not1_b32 vcc_lo, exec_lo, s2
	s_cbranch_vccnz .LBB79_10
; %bb.41:
	v_ashrrev_i32_e32 v3, 31, v2
	s_wait_kmcnt 0x0
	s_delay_alu instid0(VALU_DEP_1)
	v_lshl_add_u64 v[10:11], v[2:3], 2, s[0:1]
	v_pk_mul_f32 v[2:3], s[12:13], v[4:5] op_sel_hi:[0,1]
	v_pk_mul_f32 v[4:5], s[12:13], v[0:1] op_sel_hi:[0,1]
	global_load_b128 v[6:9], v[10:11], off
	s_wait_loadcnt 0x0
	v_pk_fma_f32 v[0:1], s[14:15], v[6:7], v[2:3] op_sel_hi:[0,1,1]
	v_pk_fma_f32 v[2:3], s[14:15], v[8:9], v[4:5] op_sel_hi:[0,1,1]
	global_store_b128 v[10:11], v[0:3], off
	s_sendmsg sendmsg(MSG_DEALLOC_VGPRS)
	s_endpgm
	.section	.rodata,"a",@progbits
	.p2align	6, 0x0
	.amdhsa_kernel _ZN9rocsparseL18bsrxmvn_4x4_kernelILj128ELj64EfiiaafEEvT3_20rocsparse_direction_NS_24const_host_device_scalarIT1_EES1_PKS1_PKT2_SA_S7_PKT4_PKT5_S5_PT6_21rocsparse_index_base_b
		.amdhsa_group_segment_fixed_size 0
		.amdhsa_private_segment_fixed_size 0
		.amdhsa_kernarg_size 96
		.amdhsa_user_sgpr_count 2
		.amdhsa_user_sgpr_dispatch_ptr 0
		.amdhsa_user_sgpr_queue_ptr 0
		.amdhsa_user_sgpr_kernarg_segment_ptr 1
		.amdhsa_user_sgpr_dispatch_id 0
		.amdhsa_user_sgpr_kernarg_preload_length 0
		.amdhsa_user_sgpr_kernarg_preload_offset 0
		.amdhsa_user_sgpr_private_segment_size 0
		.amdhsa_wavefront_size32 1
		.amdhsa_uses_dynamic_stack 0
		.amdhsa_enable_private_segment 0
		.amdhsa_system_sgpr_workgroup_id_x 1
		.amdhsa_system_sgpr_workgroup_id_y 0
		.amdhsa_system_sgpr_workgroup_id_z 0
		.amdhsa_system_sgpr_workgroup_info 0
		.amdhsa_system_vgpr_workitem_id 0
		.amdhsa_next_free_vgpr 97
		.amdhsa_next_free_sgpr 18
		.amdhsa_named_barrier_count 0
		.amdhsa_reserve_vcc 1
		.amdhsa_float_round_mode_32 0
		.amdhsa_float_round_mode_16_64 0
		.amdhsa_float_denorm_mode_32 3
		.amdhsa_float_denorm_mode_16_64 3
		.amdhsa_fp16_overflow 0
		.amdhsa_memory_ordered 1
		.amdhsa_forward_progress 1
		.amdhsa_inst_pref_size 42
		.amdhsa_round_robin_scheduling 0
		.amdhsa_exception_fp_ieee_invalid_op 0
		.amdhsa_exception_fp_denorm_src 0
		.amdhsa_exception_fp_ieee_div_zero 0
		.amdhsa_exception_fp_ieee_overflow 0
		.amdhsa_exception_fp_ieee_underflow 0
		.amdhsa_exception_fp_ieee_inexact 0
		.amdhsa_exception_int_div_zero 0
	.end_amdhsa_kernel
	.section	.text._ZN9rocsparseL18bsrxmvn_4x4_kernelILj128ELj64EfiiaafEEvT3_20rocsparse_direction_NS_24const_host_device_scalarIT1_EES1_PKS1_PKT2_SA_S7_PKT4_PKT5_S5_PT6_21rocsparse_index_base_b,"axG",@progbits,_ZN9rocsparseL18bsrxmvn_4x4_kernelILj128ELj64EfiiaafEEvT3_20rocsparse_direction_NS_24const_host_device_scalarIT1_EES1_PKS1_PKT2_SA_S7_PKT4_PKT5_S5_PT6_21rocsparse_index_base_b,comdat
.Lfunc_end79:
	.size	_ZN9rocsparseL18bsrxmvn_4x4_kernelILj128ELj64EfiiaafEEvT3_20rocsparse_direction_NS_24const_host_device_scalarIT1_EES1_PKS1_PKT2_SA_S7_PKT4_PKT5_S5_PT6_21rocsparse_index_base_b, .Lfunc_end79-_ZN9rocsparseL18bsrxmvn_4x4_kernelILj128ELj64EfiiaafEEvT3_20rocsparse_direction_NS_24const_host_device_scalarIT1_EES1_PKS1_PKT2_SA_S7_PKT4_PKT5_S5_PT6_21rocsparse_index_base_b
                                        ; -- End function
	.set _ZN9rocsparseL18bsrxmvn_4x4_kernelILj128ELj64EfiiaafEEvT3_20rocsparse_direction_NS_24const_host_device_scalarIT1_EES1_PKS1_PKT2_SA_S7_PKT4_PKT5_S5_PT6_21rocsparse_index_base_b.num_vgpr, 97
	.set _ZN9rocsparseL18bsrxmvn_4x4_kernelILj128ELj64EfiiaafEEvT3_20rocsparse_direction_NS_24const_host_device_scalarIT1_EES1_PKS1_PKT2_SA_S7_PKT4_PKT5_S5_PT6_21rocsparse_index_base_b.num_agpr, 0
	.set _ZN9rocsparseL18bsrxmvn_4x4_kernelILj128ELj64EfiiaafEEvT3_20rocsparse_direction_NS_24const_host_device_scalarIT1_EES1_PKS1_PKT2_SA_S7_PKT4_PKT5_S5_PT6_21rocsparse_index_base_b.numbered_sgpr, 18
	.set _ZN9rocsparseL18bsrxmvn_4x4_kernelILj128ELj64EfiiaafEEvT3_20rocsparse_direction_NS_24const_host_device_scalarIT1_EES1_PKS1_PKT2_SA_S7_PKT4_PKT5_S5_PT6_21rocsparse_index_base_b.num_named_barrier, 0
	.set _ZN9rocsparseL18bsrxmvn_4x4_kernelILj128ELj64EfiiaafEEvT3_20rocsparse_direction_NS_24const_host_device_scalarIT1_EES1_PKS1_PKT2_SA_S7_PKT4_PKT5_S5_PT6_21rocsparse_index_base_b.private_seg_size, 0
	.set _ZN9rocsparseL18bsrxmvn_4x4_kernelILj128ELj64EfiiaafEEvT3_20rocsparse_direction_NS_24const_host_device_scalarIT1_EES1_PKS1_PKT2_SA_S7_PKT4_PKT5_S5_PT6_21rocsparse_index_base_b.uses_vcc, 1
	.set _ZN9rocsparseL18bsrxmvn_4x4_kernelILj128ELj64EfiiaafEEvT3_20rocsparse_direction_NS_24const_host_device_scalarIT1_EES1_PKS1_PKT2_SA_S7_PKT4_PKT5_S5_PT6_21rocsparse_index_base_b.uses_flat_scratch, 0
	.set _ZN9rocsparseL18bsrxmvn_4x4_kernelILj128ELj64EfiiaafEEvT3_20rocsparse_direction_NS_24const_host_device_scalarIT1_EES1_PKS1_PKT2_SA_S7_PKT4_PKT5_S5_PT6_21rocsparse_index_base_b.has_dyn_sized_stack, 0
	.set _ZN9rocsparseL18bsrxmvn_4x4_kernelILj128ELj64EfiiaafEEvT3_20rocsparse_direction_NS_24const_host_device_scalarIT1_EES1_PKS1_PKT2_SA_S7_PKT4_PKT5_S5_PT6_21rocsparse_index_base_b.has_recursion, 0
	.set _ZN9rocsparseL18bsrxmvn_4x4_kernelILj128ELj64EfiiaafEEvT3_20rocsparse_direction_NS_24const_host_device_scalarIT1_EES1_PKS1_PKT2_SA_S7_PKT4_PKT5_S5_PT6_21rocsparse_index_base_b.has_indirect_call, 0
	.section	.AMDGPU.csdata,"",@progbits
; Kernel info:
; codeLenInByte = 5352
; TotalNumSgprs: 20
; NumVgprs: 97
; ScratchSize: 0
; MemoryBound: 0
; FloatMode: 240
; IeeeMode: 1
; LDSByteSize: 0 bytes/workgroup (compile time only)
; SGPRBlocks: 0
; VGPRBlocks: 6
; NumSGPRsForWavesPerEU: 20
; NumVGPRsForWavesPerEU: 97
; NamedBarCnt: 0
; Occupancy: 9
; WaveLimiterHint : 1
; COMPUTE_PGM_RSRC2:SCRATCH_EN: 0
; COMPUTE_PGM_RSRC2:USER_SGPR: 2
; COMPUTE_PGM_RSRC2:TRAP_HANDLER: 0
; COMPUTE_PGM_RSRC2:TGID_X_EN: 1
; COMPUTE_PGM_RSRC2:TGID_Y_EN: 0
; COMPUTE_PGM_RSRC2:TGID_Z_EN: 0
; COMPUTE_PGM_RSRC2:TIDIG_COMP_CNT: 0
	.section	.text._ZN9rocsparseL18bsrxmvn_4x4_kernelILj128ELj4EfliaafEEvT3_20rocsparse_direction_NS_24const_host_device_scalarIT1_EES1_PKS1_PKT2_SA_S7_PKT4_PKT5_S5_PT6_21rocsparse_index_base_b,"axG",@progbits,_ZN9rocsparseL18bsrxmvn_4x4_kernelILj128ELj4EfliaafEEvT3_20rocsparse_direction_NS_24const_host_device_scalarIT1_EES1_PKS1_PKT2_SA_S7_PKT4_PKT5_S5_PT6_21rocsparse_index_base_b,comdat
	.globl	_ZN9rocsparseL18bsrxmvn_4x4_kernelILj128ELj4EfliaafEEvT3_20rocsparse_direction_NS_24const_host_device_scalarIT1_EES1_PKS1_PKT2_SA_S7_PKT4_PKT5_S5_PT6_21rocsparse_index_base_b ; -- Begin function _ZN9rocsparseL18bsrxmvn_4x4_kernelILj128ELj4EfliaafEEvT3_20rocsparse_direction_NS_24const_host_device_scalarIT1_EES1_PKS1_PKT2_SA_S7_PKT4_PKT5_S5_PT6_21rocsparse_index_base_b
	.p2align	8
	.type	_ZN9rocsparseL18bsrxmvn_4x4_kernelILj128ELj4EfliaafEEvT3_20rocsparse_direction_NS_24const_host_device_scalarIT1_EES1_PKS1_PKT2_SA_S7_PKT4_PKT5_S5_PT6_21rocsparse_index_base_b,@function
_ZN9rocsparseL18bsrxmvn_4x4_kernelILj128ELj4EfliaafEEvT3_20rocsparse_direction_NS_24const_host_device_scalarIT1_EES1_PKS1_PKT2_SA_S7_PKT4_PKT5_S5_PT6_21rocsparse_index_base_b: ; @_ZN9rocsparseL18bsrxmvn_4x4_kernelILj128ELj4EfliaafEEvT3_20rocsparse_direction_NS_24const_host_device_scalarIT1_EES1_PKS1_PKT2_SA_S7_PKT4_PKT5_S5_PT6_21rocsparse_index_base_b
; %bb.0:
	s_clause 0x2
	s_load_b64 s[16:17], s[0:1], 0x58
	s_load_b64 s[12:13], s[0:1], 0x8
	;; [unrolled: 1-line block ×3, first 2 shown]
	s_wait_kmcnt 0x0
	s_bitcmp1_b32 s17, 0
	s_cselect_b32 s2, -1, 0
	s_delay_alu instid0(SALU_CYCLE_1)
	s_and_b32 vcc_lo, exec_lo, s2
	s_xor_b32 s2, s2, -1
	s_cbranch_vccnz .LBB80_2
; %bb.1:
	s_load_b32 s12, s[12:13], 0x0
.LBB80_2:
	s_and_not1_b32 vcc_lo, exec_lo, s2
	s_cbranch_vccnz .LBB80_4
; %bb.3:
	s_load_b32 s14, s[14:15], 0x0
.LBB80_4:
	s_wait_kmcnt 0x0
	s_cmp_neq_f32 s12, 0
	s_mov_b32 s6, 0
	s_cselect_b32 s2, -1, 0
	s_cmp_neq_f32 s14, 1.0
	s_cselect_b32 s3, -1, 0
	s_delay_alu instid0(SALU_CYCLE_1) | instskip(NEXT) | instid1(SALU_CYCLE_1)
	s_or_b32 s2, s2, s3
	s_and_not1_b32 vcc_lo, exec_lo, s2
	s_cbranch_vccnz .LBB80_10
; %bb.5:
	s_clause 0x1
	s_load_b64 s[4:5], s[0:1], 0x18
	s_load_b64 s[2:3], s[0:1], 0x0
	s_bfe_u32 s7, ttmp6, 0x4000c
	s_and_b32 s8, ttmp6, 15
	s_add_co_i32 s7, s7, 1
	s_getreg_b32 s9, hwreg(HW_REG_IB_STS2, 6, 4)
	s_mul_i32 s7, ttmp9, s7
	v_lshrrev_b32_e32 v1, 2, v0
	s_add_co_i32 s8, s8, s7
	s_cmp_eq_u32 s9, 0
	s_cselect_b32 s7, ttmp9, s8
	s_delay_alu instid0(VALU_DEP_1) | instid1(SALU_CYCLE_1)
	v_lshl_or_b32 v2, s7, 5, v1
	s_wait_kmcnt 0x0
	s_cmp_lg_u64 s[4:5], 0
	s_cbranch_scc0 .LBB80_11
; %bb.6:
	s_load_b32 s6, s[0:1], 0x10
	s_mov_b32 s7, 0
                                        ; implicit-def: $vgpr1
	s_wait_kmcnt 0x0
	v_cmp_gt_i32_e32 vcc_lo, s6, v2
	s_mov_b32 s6, 0
	s_and_saveexec_b32 s8, vcc_lo
	s_delay_alu instid0(SALU_CYCLE_1)
	s_xor_b32 s8, exec_lo, s8
	s_cbranch_execz .LBB80_8
; %bb.7:
	global_load_b32 v1, v2, s[4:5] scale_offset
	s_mov_b32 s6, exec_lo
	s_wait_loadcnt 0x0
	v_subrev_nc_u32_e32 v1, s16, v1
.LBB80_8:
	s_or_b32 exec_lo, exec_lo, s8
	s_delay_alu instid0(SALU_CYCLE_1)
	s_and_b32 vcc_lo, exec_lo, s7
	s_cbranch_vccz .LBB80_12
.LBB80_9:
	v_cmp_gt_i32_e32 vcc_lo, s2, v2
	s_and_not1_b32 s2, s6, exec_lo
	s_and_b32 s4, vcc_lo, exec_lo
	s_delay_alu instid0(SALU_CYCLE_1) | instskip(NEXT) | instid1(SALU_CYCLE_1)
	s_or_b32 s6, s2, s4
	s_and_saveexec_b32 s2, s6
	s_cbranch_execnz .LBB80_13
.LBB80_10:
	s_sendmsg sendmsg(MSG_DEALLOC_VGPRS)
	s_endpgm
.LBB80_11:
                                        ; implicit-def: $vgpr1
	s_cbranch_execnz .LBB80_9
.LBB80_12:
	s_delay_alu instid0(VALU_DEP_1)
	v_mov_b32_e32 v2, v1
	s_and_saveexec_b32 s2, s6
	s_cbranch_execz .LBB80_10
.LBB80_13:
	s_load_b256 s[4:11], s[0:1], 0x20
	s_mov_b32 s17, 0
	v_dual_mov_b32 v1, 0 :: v_dual_bitop2_b32 v0, 3, v0 bitop3:0x40
	s_wait_kmcnt 0x0
	s_cmp_eq_u64 s[6:7], 0
	global_load_b64 v[14:15], v2, s[4:5] scale_offset
	s_cselect_b32 vcc_lo, -1, 0
	v_ashrrev_i32_e32 v3, 31, v2
	s_cmp_eq_u32 s3, 1
	s_delay_alu instid0(VALU_DEP_1) | instskip(NEXT) | instid1(VALU_DEP_1)
	v_lshlrev_b64_e32 v[4:5], 3, v[2:3]
	v_add_nc_u64_e32 v[6:7], s[4:5], v[4:5]
	v_add_nc_u64_e32 v[4:5], s[6:7], v[4:5]
	s_wait_xcnt 0x0
	s_load_b64 s[4:5], s[0:1], 0x40
	s_delay_alu instid0(VALU_DEP_2) | instskip(NEXT) | instid1(VALU_DEP_1)
	v_add_nc_u64_e32 v[6:7], 8, v[6:7]
	v_dual_cndmask_b32 v5, v5, v7 :: v_dual_cndmask_b32 v4, v4, v6
	global_load_b64 v[4:5], v[4:5], off
	s_wait_loadcnt 0x1
	v_sub_nc_u64_e64 v[6:7], v[14:15], s[16:17]
	s_delay_alu instid0(VALU_DEP_1) | instskip(NEXT) | instid1(VALU_DEP_1)
	v_add_nc_u64_e32 v[6:7], v[6:7], v[0:1]
	v_lshl_add_u64 v[8:9], v[6:7], 4, s[10:11]
	s_wait_loadcnt 0x0
	v_sub_nc_u64_e64 v[4:5], v[4:5], s[16:17]
	s_delay_alu instid0(VALU_DEP_1)
	v_cmp_lt_i64_e64 s2, v[6:7], v[4:5]
	s_cbranch_scc1 .LBB80_25
; %bb.14:
	v_dual_mov_b32 v13, v1 :: v_dual_mov_b32 v12, v1
	v_dual_mov_b32 v11, v1 :: v_dual_mov_b32 v10, v1
	s_and_saveexec_b32 s3, s2
	s_cbranch_execz .LBB80_24
; %bb.15:
	v_dual_mov_b32 v11, v1 :: v_dual_bitop2_b32 v10, 4, v0 bitop3:0x54
	v_sub_nc_u64_e32 v[12:13], s[16:17], v[0:1]
	v_not_b32_e32 v17, v15
	v_not_b32_e32 v16, v14
	v_mov_b64_e32 v[18:19], v[8:9]
	v_sub_nc_u64_e64 v[10:11], v[10:11], s[16:17]
	s_delay_alu instid0(VALU_DEP_3) | instskip(SKIP_1) | instid1(VALU_DEP_3)
	v_add_nc_u64_e32 v[12:13], v[12:13], v[16:17]
	v_mov_b64_e32 v[16:17], v[6:7]
	v_add_nc_u64_e32 v[10:11], v[10:11], v[14:15]
	s_delay_alu instid0(VALU_DEP_1) | instskip(NEXT) | instid1(VALU_DEP_1)
	v_max_i64 v[10:11], v[10:11], v[4:5]
	v_add_nc_u64_e32 v[20:21], v[12:13], v[10:11]
	s_delay_alu instid0(VALU_DEP_1) | instskip(NEXT) | instid1(VALU_DEP_1)
	v_dual_mov_b32 v11, 0 :: v_dual_bitop2_b32 v10, 12, v20 bitop3:0x40
	v_dual_mov_b32 v12, v11 :: v_dual_mov_b32 v13, v11
	s_delay_alu instid0(VALU_DEP_2)
	v_cmp_ne_u64_e32 vcc_lo, 12, v[10:11]
	v_mov_b32_e32 v10, v11
	s_and_saveexec_b32 s6, vcc_lo
	s_cbranch_execz .LBB80_19
; %bb.16:
	v_dual_lshrrev_b32 v3, 2, v20 :: v_dual_mov_b32 v11, 0
	v_mov_b64_e32 v[18:19], v[8:9]
	v_mov_b64_e32 v[16:17], v[6:7]
	v_lshl_add_u64 v[22:23], v[6:7], 2, s[8:9]
	s_delay_alu instid0(VALU_DEP_4) | instskip(SKIP_1) | instid1(VALU_DEP_1)
	v_dual_add_nc_u32 v3, 1, v3 :: v_dual_mov_b32 v13, v11
	s_mov_b32 s7, 0
	v_dual_mov_b32 v12, v11 :: v_dual_bitop2_b32 v10, 3, v3 bitop3:0x40
	s_delay_alu instid0(VALU_DEP_1)
	v_sub_nc_u64_e32 v[24:25], 0, v[10:11]
	v_mov_b32_e32 v10, v11
.LBB80_17:                              ; =>This Inner Loop Header: Depth=1
	global_load_b32 v3, v[22:23], off
	v_add_nc_u64_e32 v[24:25], 1, v[24:25]
	v_add_nc_u64_e32 v[16:17], 4, v[16:17]
	s_wait_xcnt 0x0
	v_add_nc_u64_e32 v[22:23], 16, v[22:23]
	s_delay_alu instid0(VALU_DEP_3)
	v_cmp_eq_u64_e32 vcc_lo, 0, v[24:25]
	s_or_b32 s7, vcc_lo, s7
	s_wait_loadcnt 0x0
	v_subrev_nc_u32_e32 v3, s16, v3
	global_load_b128 v[26:29], v[18:19], off
	s_wait_kmcnt 0x0
	global_load_b32 v41, v3, s[4:5] scale_offset
	s_wait_xcnt 0x1
	v_add_nc_u64_e32 v[18:19], 64, v[18:19]
	s_wait_loadcnt 0x1
	s_wait_xcnt 0x0
	v_bfe_i32 v3, v27, 0, 8
	v_bfe_i32 v30, v26, 0, 8
	;; [unrolled: 1-line block ×6, first 2 shown]
	v_dual_ashrrev_i32 v35, 24, v27 :: v_dual_ashrrev_i32 v36, 24, v26
	v_bfe_i32 v37, v29, 0, 8
	v_bfe_i32 v38, v28, 0, 8
	;; [unrolled: 1-line block ×5, first 2 shown]
	v_cvt_f32_i32_e32 v27, v3
	s_wait_loadcnt 0x0
	v_bfe_i32 v3, v41, 0, 8
	v_bfe_i32 v43, v28, 16, 8
	v_dual_ashrrev_i32 v44, 24, v29 :: v_dual_ashrrev_i32 v45, 24, v28
	v_cvt_f32_i32_e32 v26, v30
	v_cvt_f32_i32_e32 v29, v31
	;; [unrolled: 1-line block ×11, first 2 shown]
	v_bfe_i32 v40, v41, 8, 8
	v_cvt_f32_i32_e32 v38, v3
	v_cvt_f32_i32_e32 v39, v42
	v_bfe_i32 v3, v41, 16, 8
	s_delay_alu instid0(VALU_DEP_4) | instskip(NEXT) | instid1(VALU_DEP_3)
	v_cvt_f32_i32_e32 v40, v40
	v_pk_fma_f32 v[10:11], v[26:27], v[38:39], v[10:11] op_sel_hi:[1,0,1]
	v_pk_fma_f32 v[12:13], v[34:35], v[38:39], v[12:13] op_sel_hi:[1,0,1]
	v_cvt_f32_i32_e32 v38, v43
	v_ashrrev_i32_e32 v27, 24, v41
	v_cvt_f32_i32_e32 v26, v3
	v_pk_fma_f32 v[10:11], v[28:29], v[40:41], v[10:11] op_sel_hi:[1,0,1]
	v_pk_fma_f32 v[12:13], v[36:37], v[40:41], v[12:13] op_sel_hi:[1,0,1]
	v_cvt_f32_i32_e32 v29, v44
	v_cvt_f32_i32_e32 v28, v45
	;; [unrolled: 1-line block ×3, first 2 shown]
	v_pk_fma_f32 v[10:11], v[30:31], v[26:27], v[10:11] op_sel_hi:[1,0,1]
	v_pk_fma_f32 v[12:13], v[38:39], v[26:27], v[12:13] op_sel_hi:[1,0,1]
	s_delay_alu instid0(VALU_DEP_2) | instskip(NEXT) | instid1(VALU_DEP_2)
	v_pk_fma_f32 v[10:11], v[32:33], v[34:35], v[10:11] op_sel_hi:[1,0,1]
	v_pk_fma_f32 v[12:13], v[28:29], v[34:35], v[12:13] op_sel_hi:[1,0,1]
	s_and_not1_b32 exec_lo, exec_lo, s7
	s_cbranch_execnz .LBB80_17
; %bb.18:
	s_or_b32 exec_lo, exec_lo, s7
.LBB80_19:
	s_delay_alu instid0(SALU_CYCLE_1) | instskip(NEXT) | instid1(SALU_CYCLE_1)
	s_or_b32 exec_lo, exec_lo, s6
	s_mov_b32 s6, exec_lo
	v_cmpx_lt_u64_e32 11, v[20:21]
	s_cbranch_execz .LBB80_23
; %bb.20:
	v_lshl_add_u64 v[20:21], v[16:17], 2, s[8:9]
	s_mov_b32 s7, 0
	s_delay_alu instid0(VALU_DEP_1)
	v_add_nc_u64_e32 v[20:21], 32, v[20:21]
.LBB80_21:                              ; =>This Inner Loop Header: Depth=1
	s_clause 0x3
	global_load_b32 v3, v[20:21], off offset:-32
	global_load_b32 v34, v[20:21], off offset:-16
	global_load_b32 v35, v[20:21], off
	global_load_b32 v36, v[20:21], off offset:16
	s_clause 0x2
	global_load_b128 v[22:25], v[18:19], off offset:128
	global_load_b128 v[26:29], v[18:19], off
	global_load_b128 v[30:33], v[18:19], off offset:64
	v_add_nc_u64_e32 v[16:17], 16, v[16:17]
	s_wait_xcnt 0x3
	v_add_nc_u64_e32 v[20:21], 64, v[20:21]
	s_delay_alu instid0(VALU_DEP_2)
	v_cmp_ge_i64_e32 vcc_lo, v[16:17], v[4:5]
	s_or_b32 s7, vcc_lo, s7
	s_wait_loadcnt 0x6
	v_subrev_nc_u32_e32 v3, s16, v3
	s_wait_loadcnt 0x5
	v_subrev_nc_u32_e32 v38, s16, v34
	;; [unrolled: 2-line block ×4, first 2 shown]
	s_wait_loadcnt 0x2
	v_bfe_i32 v71, v24, 16, 8
	s_wait_kmcnt 0x0
	s_clause 0x2
	global_load_b32 v41, v3, s[4:5] scale_offset
	global_load_b32 v56, v38, s[4:5] scale_offset
	;; [unrolled: 1-line block ×3, first 2 shown]
	global_load_b128 v[34:37], v[18:19], off offset:192
	global_load_b32 v58, v40, s[4:5] scale_offset
	s_wait_loadcnt 0x6
	s_wait_xcnt 0x3
	v_bfe_i32 v38, v27, 0, 8
	s_wait_xcnt 0x2
	v_bfe_i32 v39, v26, 0, 8
	v_bfe_i32 v53, v29, 0, 8
	;; [unrolled: 1-line block ×7, first 2 shown]
	v_dual_ashrrev_i32 v29, 24, v29 :: v_dual_ashrrev_i32 v62, 24, v28
	s_wait_xcnt 0x0
	v_bfe_i32 v40, v27, 8, 8
	v_bfe_i32 v42, v26, 8, 8
	;; [unrolled: 1-line block ×4, first 2 shown]
	v_dual_ashrrev_i32 v45, 24, v27 :: v_dual_ashrrev_i32 v46, 24, v26
	v_cvt_f32_i32_e32 v27, v38
	v_cvt_f32_i32_e32 v26, v39
	v_bfe_i32 v3, v22, 16, 8
	s_wait_loadcnt 0x5
	v_bfe_i32 v64, v32, 0, 8
	v_bfe_i32 v66, v32, 8, 8
	;; [unrolled: 1-line block ×3, first 2 shown]
	v_dual_ashrrev_i32 v69, 24, v33 :: v_dual_ashrrev_i32 v70, 24, v32
	v_bfe_i32 v32, v23, 0, 8
	v_bfe_i32 v38, v22, 0, 8
	;; [unrolled: 1-line block ×12, first 2 shown]
	v_dual_ashrrev_i32 v31, 24, v31 :: v_dual_ashrrev_i32 v30, 24, v30
	v_cvt_f32_i32_e32 v33, v32
	v_cvt_f32_i32_e32 v32, v38
	;; [unrolled: 1-line block ×3, first 2 shown]
	s_delay_alu instid0(VALU_DEP_4)
	v_cvt_f32_i32_e32 v31, v31
	v_cvt_f32_i32_e32 v30, v30
	v_add_nc_u64_e32 v[18:19], 0x100, v[18:19]
	v_ashrrev_i32_e32 v73, 24, v24
	s_wait_loadcnt 0x4
	v_bfe_i32 v28, v41, 0, 8
	s_wait_loadcnt 0x1
	v_bfe_i32 v81, v36, 8, 8
	v_bfe_i32 v83, v36, 16, 8
	s_delay_alu instid0(VALU_DEP_3)
	v_cvt_f32_i32_e32 v28, v28
	v_ashrrev_i32_e32 v85, 24, v36
	v_bfe_i32 v72, v35, 0, 8
	v_bfe_i32 v75, v35, 8, 8
	;; [unrolled: 1-line block ×3, first 2 shown]
	v_pk_fma_f32 v[10:11], v[26:27], v[28:29], v[10:11] op_sel_hi:[1,0,1]
	v_cvt_f32_i32_e32 v27, v53
	v_cvt_f32_i32_e32 v26, v54
	v_bfe_i32 v53, v22, 8, 8
	v_bfe_i32 v54, v23, 16, 8
	;; [unrolled: 1-line block ×4, first 2 shown]
	v_pk_fma_f32 v[12:13], v[26:27], v[28:29], v[12:13] op_sel_hi:[1,0,1]
	v_bfe_i32 v28, v41, 8, 8
	v_cvt_f32_i32_e32 v27, v40
	v_cvt_f32_i32_e32 v26, v42
	v_bfe_i32 v40, v25, 0, 8
	v_bfe_i32 v42, v24, 0, 8
	v_cvt_f32_i32_e32 v28, v28
	v_dual_ashrrev_i32 v79, 24, v34 :: v_dual_ashrrev_i32 v84, 24, v37
	v_bfe_i32 v80, v37, 8, 8
	v_cvt_f32_i32_e32 v34, v53
	s_delay_alu instid0(VALU_DEP_4)
	v_pk_fma_f32 v[10:11], v[26:27], v[28:29], v[10:11] op_sel_hi:[1,0,1]
	v_cvt_f32_i32_e32 v27, v55
	v_cvt_f32_i32_e32 v26, v59
	v_bfe_i32 v55, v25, 8, 8
	v_bfe_i32 v59, v25, 16, 8
	v_dual_ashrrev_i32 v25, 24, v25 :: v_dual_ashrrev_i32 v78, 24, v35
	s_delay_alu instid0(VALU_DEP_4)
	v_pk_fma_f32 v[12:13], v[26:27], v[28:29], v[12:13] op_sel_hi:[1,0,1]
	v_bfe_i32 v28, v41, 16, 8
	v_cvt_f32_i32_e32 v27, v43
	v_cvt_f32_i32_e32 v26, v44
	v_bfe_i32 v44, v24, 8, 8
	v_ashrrev_i32_e32 v24, 24, v41
	v_cvt_f32_i32_e32 v28, v28
	v_cvt_f32_i32_e32 v41, v40
	;; [unrolled: 1-line block ×5, first 2 shown]
	v_pk_fma_f32 v[10:11], v[26:27], v[28:29], v[10:11] op_sel_hi:[1,0,1]
	v_cvt_f32_i32_e32 v27, v60
	v_cvt_f32_i32_e32 v26, v61
	v_dual_ashrrev_i32 v60, 24, v23 :: v_dual_ashrrev_i32 v61, 24, v22
	v_cvt_f32_i32_e32 v23, v45
	v_cvt_f32_i32_e32 v22, v46
	s_delay_alu instid0(VALU_DEP_4)
	v_pk_fma_f32 v[12:13], v[26:27], v[28:29], v[12:13] op_sel_hi:[1,0,1]
	v_cvt_f32_i32_e32 v27, v51
	v_cvt_f32_i32_e32 v26, v52
	;; [unrolled: 1-line block ×3, first 2 shown]
	v_pk_fma_f32 v[10:11], v[22:23], v[24:25], v[10:11] op_sel_hi:[1,0,1]
	v_cvt_f32_i32_e32 v23, v29
	v_cvt_f32_i32_e32 v22, v62
	;; [unrolled: 1-line block ×3, first 2 shown]
	v_bfe_i32 v62, v35, 16, 8
	v_cvt_f32_i32_e32 v35, v39
	v_cvt_f32_i32_e32 v39, v69
	v_pk_fma_f32 v[12:13], v[22:23], v[24:25], v[12:13] op_sel_hi:[1,0,1]
	v_bfe_i32 v24, v56, 0, 8
	v_cvt_f32_i32_e32 v23, v47
	v_cvt_f32_i32_e32 v22, v48
	;; [unrolled: 1-line block ×3, first 2 shown]
	v_bfe_i32 v82, v37, 16, 8
	v_cvt_f32_i32_e32 v24, v24
	v_cvt_f32_i32_e32 v44, v71
	;; [unrolled: 1-line block ×5, first 2 shown]
	v_pk_fma_f32 v[10:11], v[22:23], v[24:25], v[10:11] op_sel_hi:[1,0,1]
	v_cvt_f32_i32_e32 v23, v63
	v_cvt_f32_i32_e32 v22, v64
	v_bfe_i32 v64, v36, 0, 8
	v_cvt_f32_i32_e32 v36, v3
	v_bfe_i32 v3, v56, 16, 8
	v_bfe_i32 v63, v37, 0, 8
	v_pk_fma_f32 v[12:13], v[22:23], v[24:25], v[12:13] op_sel_hi:[1,0,1]
	v_bfe_i32 v24, v56, 8, 8
	v_cvt_f32_i32_e32 v23, v49
	v_cvt_f32_i32_e32 v22, v50
	v_ashrrev_i32_e32 v56, 24, v56
	v_cvt_f32_i32_e32 v37, v54
	v_cvt_f32_i32_e32 v24, v24
	;; [unrolled: 1-line block ×6, first 2 shown]
	v_pk_fma_f32 v[10:11], v[22:23], v[24:25], v[10:11] op_sel_hi:[1,0,1]
	v_cvt_f32_i32_e32 v23, v65
	v_cvt_f32_i32_e32 v22, v66
	;; [unrolled: 1-line block ×6, first 2 shown]
	v_pk_fma_f32 v[12:13], v[22:23], v[24:25], v[12:13] op_sel_hi:[1,0,1]
	v_cvt_f32_i32_e32 v22, v3
	v_cvt_f32_i32_e32 v23, v25
	v_bfe_i32 v3, v57, 0, 8
	v_cvt_f32_i32_e32 v24, v56
	s_delay_alu instid0(VALU_DEP_3)
	v_pk_fma_f32 v[10:11], v[26:27], v[22:23], v[10:11] op_sel_hi:[1,0,1]
	v_pk_fma_f32 v[12:13], v[28:29], v[22:23], v[12:13] op_sel_hi:[1,0,1]
	v_bfe_i32 v27, v57, 8, 8
	v_cvt_f32_i32_e32 v26, v3
	v_bfe_i32 v3, v57, 16, 8
	v_pk_fma_f32 v[10:11], v[30:31], v[24:25], v[10:11] op_sel_hi:[1,0,1]
	v_pk_fma_f32 v[12:13], v[38:39], v[24:25], v[12:13] op_sel_hi:[1,0,1]
	v_cvt_f32_i32_e32 v28, v27
	v_ashrrev_i32_e32 v29, 24, v57
	v_cvt_f32_i32_e32 v22, v73
	v_pk_fma_f32 v[10:11], v[32:33], v[26:27], v[10:11] op_sel_hi:[1,0,1]
	v_pk_fma_f32 v[12:13], v[40:41], v[26:27], v[12:13] op_sel_hi:[1,0,1]
	v_cvt_f32_i32_e32 v26, v3
	v_cvt_f32_i32_e32 v27, v80
	s_wait_loadcnt 0x0
	v_bfe_i32 v3, v58, 0, 8
	v_pk_fma_f32 v[10:11], v[34:35], v[28:29], v[10:11] op_sel_hi:[1,0,1]
	v_pk_fma_f32 v[12:13], v[42:43], v[28:29], v[12:13] op_sel_hi:[1,0,1]
	v_cvt_f32_i32_e32 v28, v29
	v_bfe_i32 v29, v58, 8, 8
	v_cvt_f32_i32_e32 v25, v63
	v_pk_fma_f32 v[10:11], v[36:37], v[26:27], v[10:11] op_sel_hi:[1,0,1]
	v_pk_fma_f32 v[12:13], v[44:45], v[26:27], v[12:13] op_sel_hi:[1,0,1]
	v_cvt_f32_i32_e32 v24, v64
	v_cvt_f32_i32_e32 v30, v3
	;; [unrolled: 1-line block ×3, first 2 shown]
	v_pk_fma_f32 v[10:11], v[46:47], v[28:29], v[10:11] op_sel_hi:[1,0,1]
	v_pk_fma_f32 v[12:13], v[22:23], v[28:29], v[12:13] op_sel_hi:[1,0,1]
	v_bfe_i32 v3, v58, 16, 8
	v_cvt_f32_i32_e32 v28, v29
	v_cvt_f32_i32_e32 v23, v82
	v_pk_fma_f32 v[10:11], v[48:49], v[30:31], v[10:11] op_sel_hi:[1,0,1]
	v_pk_fma_f32 v[12:13], v[24:25], v[30:31], v[12:13] op_sel_hi:[1,0,1]
	v_cvt_f32_i32_e32 v22, v83
	v_ashrrev_i32_e32 v25, 24, v58
	v_cvt_f32_i32_e32 v24, v3
	v_pk_fma_f32 v[10:11], v[50:51], v[28:29], v[10:11] op_sel_hi:[1,0,1]
	v_pk_fma_f32 v[12:13], v[26:27], v[28:29], v[12:13] op_sel_hi:[1,0,1]
	v_cvt_f32_i32_e32 v27, v84
	v_cvt_f32_i32_e32 v26, v85
	;; [unrolled: 1-line block ×3, first 2 shown]
	v_pk_fma_f32 v[10:11], v[52:53], v[24:25], v[10:11] op_sel_hi:[1,0,1]
	v_pk_fma_f32 v[12:13], v[22:23], v[24:25], v[12:13] op_sel_hi:[1,0,1]
	s_delay_alu instid0(VALU_DEP_2) | instskip(NEXT) | instid1(VALU_DEP_2)
	v_pk_fma_f32 v[10:11], v[54:55], v[28:29], v[10:11] op_sel_hi:[1,0,1]
	v_pk_fma_f32 v[12:13], v[26:27], v[28:29], v[12:13] op_sel_hi:[1,0,1]
	s_and_not1_b32 exec_lo, exec_lo, s7
	s_cbranch_execnz .LBB80_21
; %bb.22:
	s_or_b32 exec_lo, exec_lo, s7
.LBB80_23:
	s_delay_alu instid0(SALU_CYCLE_1)
	s_or_b32 exec_lo, exec_lo, s6
.LBB80_24:
	s_delay_alu instid0(SALU_CYCLE_1)
	s_or_b32 exec_lo, exec_lo, s3
	s_cbranch_execz .LBB80_26
	s_branch .LBB80_37
.LBB80_25:
                                        ; implicit-def: $vgpr13
                                        ; implicit-def: $vgpr11
.LBB80_26:
	v_dual_mov_b32 v13, 0 :: v_dual_mov_b32 v12, 0
	v_dual_mov_b32 v11, 0 :: v_dual_mov_b32 v10, 0
	s_and_saveexec_b32 s3, s2
	s_cbranch_execz .LBB80_36
; %bb.27:
	v_dual_mov_b32 v11, v1 :: v_dual_bitop2_b32 v10, 4, v0 bitop3:0x54
	v_sub_nc_u64_e32 v[12:13], s[16:17], v[0:1]
	s_delay_alu instid0(VALU_DEP_2) | instskip(NEXT) | instid1(VALU_DEP_1)
	v_sub_nc_u64_e64 v[10:11], v[10:11], s[16:17]
	v_add_nc_u64_e32 v[10:11], v[10:11], v[14:15]
	v_not_b32_e32 v15, v15
	v_not_b32_e32 v14, v14
	s_delay_alu instid0(VALU_DEP_1) | instskip(NEXT) | instid1(VALU_DEP_4)
	v_add_nc_u64_e32 v[12:13], v[12:13], v[14:15]
	v_max_i64 v[10:11], v[10:11], v[4:5]
	s_delay_alu instid0(VALU_DEP_1) | instskip(NEXT) | instid1(VALU_DEP_1)
	v_add_nc_u64_e32 v[14:15], v[12:13], v[10:11]
	v_dual_mov_b32 v11, 0 :: v_dual_bitop2_b32 v10, 12, v14 bitop3:0x40
	s_delay_alu instid0(VALU_DEP_1) | instskip(NEXT) | instid1(VALU_DEP_2)
	v_dual_mov_b32 v13, v11 :: v_dual_mov_b32 v12, v11
	v_cmp_ne_u64_e32 vcc_lo, 12, v[10:11]
	v_mov_b32_e32 v10, v11
	s_and_saveexec_b32 s2, vcc_lo
	s_cbranch_execz .LBB80_31
; %bb.28:
	v_dual_lshrrev_b32 v1, 2, v14 :: v_dual_mov_b32 v11, 0
	v_lshl_add_u64 v[16:17], v[6:7], 2, s[8:9]
	s_mov_b32 s6, 0
	s_delay_alu instid0(VALU_DEP_2) | instskip(NEXT) | instid1(VALU_DEP_1)
	v_dual_add_nc_u32 v1, 1, v1 :: v_dual_mov_b32 v13, v11
	v_dual_mov_b32 v12, v11 :: v_dual_bitop2_b32 v10, 3, v1 bitop3:0x40
	s_delay_alu instid0(VALU_DEP_1)
	v_sub_nc_u64_e32 v[18:19], 0, v[10:11]
	v_mov_b32_e32 v10, v11
.LBB80_29:                              ; =>This Inner Loop Header: Depth=1
	global_load_b32 v1, v[16:17], off
	v_add_nc_u64_e32 v[18:19], 1, v[18:19]
	v_add_nc_u64_e32 v[6:7], 4, v[6:7]
	s_wait_xcnt 0x0
	v_add_nc_u64_e32 v[16:17], 16, v[16:17]
	s_delay_alu instid0(VALU_DEP_3)
	v_cmp_eq_u64_e32 vcc_lo, 0, v[18:19]
	s_or_b32 s6, vcc_lo, s6
	s_wait_loadcnt 0x0
	v_subrev_nc_u32_e32 v1, s16, v1
	global_load_b128 v[20:23], v[8:9], off
	s_wait_kmcnt 0x0
	global_load_b32 v3, v1, s[4:5] scale_offset
	s_wait_xcnt 0x1
	v_add_nc_u64_e32 v[8:9], 64, v[8:9]
	s_wait_loadcnt 0x1
	s_wait_xcnt 0x0
	v_bfe_i32 v1, v20, 8, 8
	v_bfe_i32 v24, v20, 0, 8
	;; [unrolled: 1-line block ×8, first 2 shown]
	v_dual_ashrrev_i32 v31, 24, v20 :: v_dual_ashrrev_i32 v33, 24, v21
	v_bfe_i32 v32, v20, 16, 8
	v_bfe_i32 v34, v21, 16, 8
	v_dual_ashrrev_i32 v35, 24, v22 :: v_dual_ashrrev_i32 v37, 24, v23
	v_cvt_f32_i32_e32 v21, v1
	s_wait_loadcnt 0x0
	v_bfe_i32 v1, v3, 0, 8
	v_bfe_i32 v36, v22, 16, 8
	;; [unrolled: 1-line block ×3, first 2 shown]
	v_cvt_f32_i32_e32 v20, v24
	v_cvt_f32_i32_e32 v23, v25
	;; [unrolled: 1-line block ×11, first 2 shown]
	v_bfe_i32 v34, v3, 8, 8
	v_cvt_f32_i32_e32 v32, v1
	v_cvt_f32_i32_e32 v33, v35
	v_bfe_i32 v1, v3, 16, 8
	v_ashrrev_i32_e32 v3, 24, v3
	v_cvt_f32_i32_e32 v34, v34
	s_delay_alu instid0(VALU_DEP_4)
	v_pk_fma_f32 v[10:11], v[20:21], v[32:33], v[10:11] op_sel_hi:[1,0,1]
	v_pk_fma_f32 v[12:13], v[28:29], v[32:33], v[12:13] op_sel_hi:[1,0,1]
	v_cvt_f32_i32_e32 v32, v36
	v_cvt_f32_i32_e32 v20, v1
	;; [unrolled: 1-line block ×3, first 2 shown]
	v_pk_fma_f32 v[10:11], v[22:23], v[34:35], v[10:11] op_sel_hi:[1,0,1]
	v_pk_fma_f32 v[12:13], v[30:31], v[34:35], v[12:13] op_sel_hi:[1,0,1]
	v_cvt_f32_i32_e32 v23, v37
	v_cvt_f32_i32_e32 v22, v38
	s_delay_alu instid0(VALU_DEP_4) | instskip(NEXT) | instid1(VALU_DEP_4)
	v_pk_fma_f32 v[10:11], v[24:25], v[20:21], v[10:11] op_sel_hi:[1,0,1]
	v_pk_fma_f32 v[12:13], v[32:33], v[20:21], v[12:13] op_sel_hi:[1,0,1]
	s_delay_alu instid0(VALU_DEP_2) | instskip(NEXT) | instid1(VALU_DEP_2)
	v_pk_fma_f32 v[10:11], v[26:27], v[28:29], v[10:11] op_sel_hi:[1,0,1]
	v_pk_fma_f32 v[12:13], v[22:23], v[28:29], v[12:13] op_sel_hi:[1,0,1]
	s_and_not1_b32 exec_lo, exec_lo, s6
	s_cbranch_execnz .LBB80_29
; %bb.30:
	s_or_b32 exec_lo, exec_lo, s6
.LBB80_31:
	s_delay_alu instid0(SALU_CYCLE_1) | instskip(NEXT) | instid1(SALU_CYCLE_1)
	s_or_b32 exec_lo, exec_lo, s2
	s_mov_b32 s2, exec_lo
	v_cmpx_lt_u64_e32 11, v[14:15]
	s_cbranch_execz .LBB80_35
; %bb.32:
	v_lshl_add_u64 v[14:15], v[6:7], 2, s[8:9]
	s_mov_b32 s6, 0
	s_delay_alu instid0(VALU_DEP_1)
	v_add_nc_u64_e32 v[14:15], 32, v[14:15]
.LBB80_33:                              ; =>This Inner Loop Header: Depth=1
	s_clause 0x3
	global_load_b32 v1, v[14:15], off offset:-32
	global_load_b32 v3, v[14:15], off offset:-16
	global_load_b32 v28, v[14:15], off
	global_load_b32 v29, v[14:15], off offset:16
	s_clause 0x2
	global_load_b128 v[16:19], v[8:9], off
	global_load_b128 v[20:23], v[8:9], off offset:64
	global_load_b128 v[24:27], v[8:9], off offset:128
	v_add_nc_u64_e32 v[6:7], 16, v[6:7]
	s_wait_xcnt 0x3
	v_add_nc_u64_e32 v[14:15], 64, v[14:15]
	s_delay_alu instid0(VALU_DEP_2)
	v_cmp_ge_i64_e32 vcc_lo, v[6:7], v[4:5]
	s_or_b32 s6, vcc_lo, s6
	s_wait_loadcnt 0x6
	v_subrev_nc_u32_e32 v1, s16, v1
	s_wait_loadcnt 0x5
	v_subrev_nc_u32_e32 v3, s16, v3
	;; [unrolled: 2-line block ×4, first 2 shown]
	s_wait_loadcnt 0x2
	v_dual_ashrrev_i32 v48, 24, v16 :: v_dual_ashrrev_i32 v53, 24, v17
	s_wait_kmcnt 0x0
	s_clause 0x2
	global_load_b32 v34, v1, s[4:5] scale_offset
	global_load_b32 v50, v3, s[4:5] scale_offset
	;; [unrolled: 1-line block ×3, first 2 shown]
	global_load_b128 v[28:31], v[8:9], off offset:192
	global_load_b32 v52, v33, s[4:5] scale_offset
	s_wait_xcnt 0x4
	v_bfe_i32 v1, v16, 8, 8
	s_wait_xcnt 0x3
	v_bfe_i32 v3, v16, 0, 8
	;; [unrolled: 2-line block ×4, first 2 shown]
	v_bfe_i32 v54, v17, 16, 8
	v_cvt_f32_i32_e32 v17, v1
	v_bfe_i32 v35, v18, 8, 8
	v_bfe_i32 v36, v18, 0, 8
	;; [unrolled: 1-line block ×5, first 2 shown]
	v_dual_ashrrev_i32 v55, 24, v18 :: v_dual_ashrrev_i32 v57, 24, v19
	v_bfe_i32 v56, v18, 16, 8
	v_bfe_i32 v19, v19, 16, 8
	v_cvt_f32_i32_e32 v16, v3
	s_wait_loadcnt 0x6
	v_bfe_i32 v39, v20, 8, 8
	v_bfe_i32 v40, v20, 0, 8
	v_dual_ashrrev_i32 v58, 24, v20 :: v_dual_ashrrev_i32 v59, 24, v21
	v_bfe_i32 v20, v20, 16, 8
	v_bfe_i32 v41, v21, 8, 8
	;; [unrolled: 1-line block ×7, first 2 shown]
	v_dual_ashrrev_i32 v61, 24, v22 :: v_dual_ashrrev_i32 v63, 24, v23
	v_bfe_i32 v62, v22, 16, 8
	s_wait_loadcnt 0x5
	v_bfe_i32 v3, v25, 0, 8
	v_bfe_i32 v66, v26, 0, 8
	v_dual_ashrrev_i32 v67, 24, v26 :: v_dual_ashrrev_i32 v73, 24, v27
	v_bfe_i32 v68, v27, 0, 8
	v_bfe_i32 v74, v27, 16, 8
	;; [unrolled: 1-line block ×6, first 2 shown]
	v_cvt_f32_i32_e32 v21, v45
	v_add_nc_u64_e32 v[8:9], 0x100, v[8:9]
	v_cvt_f32_i32_e32 v23, v47
	v_ashrrev_i32_e32 v65, 24, v25
	v_cvt_f32_i32_e32 v22, v22
	s_wait_loadcnt 0x4
	v_bfe_i32 v1, v34, 0, 8
	s_wait_loadcnt 0x1
	v_bfe_i32 v69, v28, 8, 8
	v_bfe_i32 v70, v28, 0, 8
	s_delay_alu instid0(VALU_DEP_3) | instskip(SKIP_3) | instid1(VALU_DEP_4)
	v_cvt_f32_i32_e32 v18, v1
	v_bfe_i32 v1, v25, 8, 8
	v_bfe_i32 v77, v28, 16, 8
	v_dual_ashrrev_i32 v78, 24, v29 :: v_dual_ashrrev_i32 v80, 24, v30
	v_pk_fma_f32 v[10:11], v[16:17], v[18:19], v[10:11] op_sel_hi:[1,0,1]
	v_cvt_f32_i32_e32 v17, v48
	v_cvt_f32_i32_e32 v16, v49
	v_ashrrev_i32_e32 v48, 24, v24
	v_bfe_i32 v49, v24, 16, 8
	v_bfe_i32 v79, v29, 16, 8
	v_ashrrev_i32_e32 v82, 24, v31
	v_pk_fma_f32 v[12:13], v[16:17], v[18:19], v[12:13] op_sel_hi:[1,0,1]
	v_bfe_i32 v18, v34, 8, 8
	v_cvt_f32_i32_e32 v17, v32
	v_cvt_f32_i32_e32 v16, v33
	;; [unrolled: 1-line block ×3, first 2 shown]
	v_ashrrev_i32_e32 v3, 24, v50
	v_cvt_f32_i32_e32 v18, v18
	v_bfe_i32 v71, v30, 8, 8
	v_bfe_i32 v72, v30, 0, 8
	;; [unrolled: 1-line block ×4, first 2 shown]
	v_pk_fma_f32 v[10:11], v[16:17], v[18:19], v[10:11] op_sel_hi:[1,0,1]
	v_cvt_f32_i32_e32 v17, v53
	v_cvt_f32_i32_e32 v16, v54
	v_bfe_i32 v53, v25, 16, 8
	v_bfe_i32 v54, v26, 8, 8
	v_cvt_f32_i32_e32 v25, v1
	v_bfe_i32 v1, v50, 16, 8
	v_pk_fma_f32 v[12:13], v[16:17], v[18:19], v[12:13] op_sel_hi:[1,0,1]
	v_bfe_i32 v18, v34, 16, 8
	v_cvt_f32_i32_e32 v17, v35
	v_cvt_f32_i32_e32 v16, v36
	v_bfe_i32 v81, v30, 16, 8
	v_bfe_i32 v83, v31, 16, 8
	v_cvt_f32_i32_e32 v18, v18
	v_cvt_f32_i32_e32 v31, v63
	;; [unrolled: 1-line block ×5, first 2 shown]
	v_pk_fma_f32 v[10:11], v[16:17], v[18:19], v[10:11] op_sel_hi:[1,0,1]
	v_cvt_f32_i32_e32 v17, v55
	v_cvt_f32_i32_e32 v16, v56
	v_bfe_i32 v55, v26, 16, 8
	v_bfe_i32 v56, v27, 8, 8
	v_cvt_f32_i32_e32 v27, v59
	v_cvt_f32_i32_e32 v26, v60
	v_pk_fma_f32 v[12:13], v[16:17], v[18:19], v[12:13] op_sel_hi:[1,0,1]
	v_ashrrev_i32_e32 v18, 24, v34
	v_cvt_f32_i32_e32 v17, v37
	v_cvt_f32_i32_e32 v16, v38
	;; [unrolled: 1-line block ×9, first 2 shown]
	v_pk_fma_f32 v[10:11], v[16:17], v[18:19], v[10:11] op_sel_hi:[1,0,1]
	v_cvt_f32_i32_e32 v17, v57
	v_cvt_f32_i32_e32 v16, v19
	v_bfe_i32 v19, v29, 8, 8
	v_bfe_i32 v57, v29, 0, 8
	v_cvt_f32_i32_e32 v29, v61
	v_cvt_f32_i32_e32 v49, v75
	;; [unrolled: 1-line block ×3, first 2 shown]
	v_pk_fma_f32 v[12:13], v[16:17], v[18:19], v[12:13] op_sel_hi:[1,0,1]
	v_bfe_i32 v18, v50, 0, 8
	v_cvt_f32_i32_e32 v17, v39
	v_cvt_f32_i32_e32 v16, v40
	;; [unrolled: 1-line block ×6, first 2 shown]
	s_delay_alu instid0(VALU_DEP_2)
	v_pk_fma_f32 v[10:11], v[16:17], v[18:19], v[10:11] op_sel_hi:[1,0,1]
	v_cvt_f32_i32_e32 v17, v58
	v_cvt_f32_i32_e32 v16, v20
	v_ashrrev_i32_e32 v58, 24, v28
	v_cvt_f32_i32_e32 v28, v62
	v_cvt_f32_i32_e32 v20, v46
	;; [unrolled: 1-line block ×3, first 2 shown]
	v_pk_fma_f32 v[12:13], v[16:17], v[18:19], v[12:13] op_sel_hi:[1,0,1]
	v_bfe_i32 v18, v50, 8, 8
	v_cvt_f32_i32_e32 v17, v41
	v_cvt_f32_i32_e32 v16, v42
	;; [unrolled: 1-line block ×5, first 2 shown]
	s_delay_alu instid0(VALU_DEP_1)
	v_pk_fma_f32 v[10:11], v[16:17], v[18:19], v[10:11] op_sel_hi:[1,0,1]
	v_cvt_f32_i32_e32 v17, v43
	v_cvt_f32_i32_e32 v16, v44
	v_pk_fma_f32 v[12:13], v[26:27], v[18:19], v[12:13] op_sel_hi:[1,0,1]
	v_cvt_f32_i32_e32 v18, v1
	v_cvt_f32_i32_e32 v19, v73
	v_bfe_i32 v1, v51, 0, 8
	v_cvt_f32_i32_e32 v26, v3
	v_bfe_i32 v3, v51, 8, 8
	v_cvt_f32_i32_e32 v43, v69
	v_pk_fma_f32 v[10:11], v[16:17], v[18:19], v[10:11] op_sel_hi:[1,0,1]
	v_pk_fma_f32 v[12:13], v[28:29], v[18:19], v[12:13] op_sel_hi:[1,0,1]
	v_cvt_f32_i32_e32 v16, v1
	v_cvt_f32_i32_e32 v17, v58
	v_bfe_i32 v1, v51, 16, 8
	v_pk_fma_f32 v[10:11], v[20:21], v[26:27], v[10:11] op_sel_hi:[1,0,1]
	v_pk_fma_f32 v[12:13], v[30:31], v[26:27], v[12:13] op_sel_hi:[1,0,1]
	v_cvt_f32_i32_e32 v20, v3
	v_ashrrev_i32_e32 v3, 24, v51
	v_cvt_f32_i32_e32 v18, v74
	v_pk_fma_f32 v[10:11], v[22:23], v[16:17], v[10:11] op_sel_hi:[1,0,1]
	v_pk_fma_f32 v[12:13], v[32:33], v[16:17], v[12:13] op_sel_hi:[1,0,1]
	v_cvt_f32_i32_e32 v22, v1
	s_wait_loadcnt 0x0
	v_bfe_i32 v1, v52, 0, 8
	v_cvt_f32_i32_e32 v16, v77
	v_pk_fma_f32 v[10:11], v[24:25], v[20:21], v[10:11] op_sel_hi:[1,0,1]
	v_pk_fma_f32 v[12:13], v[34:35], v[20:21], v[12:13] op_sel_hi:[1,0,1]
	v_cvt_f32_i32_e32 v24, v3
	v_bfe_i32 v3, v52, 8, 8
	v_cvt_f32_i32_e32 v44, v57
	v_pk_fma_f32 v[10:11], v[36:37], v[22:23], v[10:11] op_sel_hi:[1,0,1]
	v_pk_fma_f32 v[12:13], v[38:39], v[22:23], v[12:13] op_sel_hi:[1,0,1]
	v_cvt_f32_i32_e32 v22, v1
	v_cvt_f32_i32_e32 v21, v78
	;; [unrolled: 1-line block ×3, first 2 shown]
	v_pk_fma_f32 v[10:11], v[40:41], v[24:25], v[10:11] op_sel_hi:[1,0,1]
	v_pk_fma_f32 v[12:13], v[18:19], v[24:25], v[12:13] op_sel_hi:[1,0,1]
	v_bfe_i32 v1, v52, 16, 8
	v_cvt_f32_i32_e32 v24, v3
	v_cvt_f32_i32_e32 v19, v80
	v_pk_fma_f32 v[10:11], v[42:43], v[22:23], v[10:11] op_sel_hi:[1,0,1]
	v_pk_fma_f32 v[12:13], v[16:17], v[22:23], v[12:13] op_sel_hi:[1,0,1]
	v_cvt_f32_i32_e32 v18, v81
	v_ashrrev_i32_e32 v3, 24, v52
	v_cvt_f32_i32_e32 v16, v1
	v_pk_fma_f32 v[10:11], v[44:45], v[24:25], v[10:11] op_sel_hi:[1,0,1]
	v_pk_fma_f32 v[12:13], v[20:21], v[24:25], v[12:13] op_sel_hi:[1,0,1]
	v_cvt_f32_i32_e32 v21, v82
	v_cvt_f32_i32_e32 v20, v83
	;; [unrolled: 1-line block ×3, first 2 shown]
	v_pk_fma_f32 v[10:11], v[46:47], v[16:17], v[10:11] op_sel_hi:[1,0,1]
	v_pk_fma_f32 v[12:13], v[18:19], v[16:17], v[12:13] op_sel_hi:[1,0,1]
	s_delay_alu instid0(VALU_DEP_2) | instskip(NEXT) | instid1(VALU_DEP_2)
	v_pk_fma_f32 v[10:11], v[48:49], v[22:23], v[10:11] op_sel_hi:[1,0,1]
	v_pk_fma_f32 v[12:13], v[20:21], v[22:23], v[12:13] op_sel_hi:[1,0,1]
	s_and_not1_b32 exec_lo, exec_lo, s6
	s_cbranch_execnz .LBB80_33
; %bb.34:
	s_or_b32 exec_lo, exec_lo, s6
.LBB80_35:
	s_delay_alu instid0(SALU_CYCLE_1)
	s_or_b32 exec_lo, exec_lo, s2
.LBB80_36:
	s_delay_alu instid0(SALU_CYCLE_1)
	s_or_b32 exec_lo, exec_lo, s3
.LBB80_37:
	v_mbcnt_lo_u32_b32 v1, -1, 0
	s_mov_b32 s2, -1
	s_delay_alu instid0(VALU_DEP_1) | instskip(NEXT) | instid1(VALU_DEP_1)
	v_xor_b32_e32 v3, 2, v1
	v_cmp_gt_i32_e32 vcc_lo, 32, v3
	v_cndmask_b32_e32 v3, v1, v3, vcc_lo
	s_delay_alu instid0(VALU_DEP_1)
	v_lshlrev_b32_e32 v3, 2, v3
	ds_bpermute_b32 v4, v3, v10
	ds_bpermute_b32 v5, v3, v11
	ds_bpermute_b32 v6, v3, v12
	ds_bpermute_b32 v7, v3, v13
	v_xor_b32_e32 v3, 1, v1
	s_delay_alu instid0(VALU_DEP_1) | instskip(SKIP_2) | instid1(VALU_DEP_2)
	v_cmp_gt_i32_e32 vcc_lo, 32, v3
	v_cndmask_b32_e32 v1, v1, v3, vcc_lo
	v_cmp_eq_u32_e32 vcc_lo, 3, v0
	v_lshlrev_b32_e32 v1, 2, v1
	s_wait_dscnt 0x2
	v_pk_add_f32 v[4:5], v[10:11], v[4:5]
	s_wait_dscnt 0x0
	v_pk_add_f32 v[6:7], v[12:13], v[6:7]
	ds_bpermute_b32 v10, v1, v4
	ds_bpermute_b32 v11, v1, v5
	;; [unrolled: 1-line block ×4, first 2 shown]
	s_and_b32 exec_lo, exec_lo, vcc_lo
	s_cbranch_execz .LBB80_10
; %bb.38:
	s_load_b64 s[0:1], s[0:1], 0x50
	s_wait_dscnt 0x2
	v_pk_add_f32 v[4:5], v[4:5], v[10:11]
	s_wait_dscnt 0x0
	v_pk_add_f32 v[0:1], v[6:7], v[8:9]
	v_lshlrev_b32_e32 v2, 2, v2
	s_cmp_eq_f32 s14, 0
	s_cbranch_scc0 .LBB80_40
; %bb.39:
	s_delay_alu instid0(VALU_DEP_1)
	v_ashrrev_i32_e32 v3, 31, v2
	v_pk_mul_f32 v[6:7], s[12:13], v[4:5] op_sel_hi:[0,1]
	v_pk_mul_f32 v[8:9], s[12:13], v[0:1] op_sel_hi:[0,1]
	s_mov_b32 s2, 0
	s_wait_kmcnt 0x0
	v_lshl_add_u64 v[10:11], v[2:3], 2, s[0:1]
	global_store_b128 v[10:11], v[6:9], off
.LBB80_40:
	s_and_not1_b32 vcc_lo, exec_lo, s2
	s_cbranch_vccnz .LBB80_10
; %bb.41:
	v_ashrrev_i32_e32 v3, 31, v2
	s_wait_kmcnt 0x0
	s_delay_alu instid0(VALU_DEP_1)
	v_lshl_add_u64 v[10:11], v[2:3], 2, s[0:1]
	v_pk_mul_f32 v[2:3], s[12:13], v[4:5] op_sel_hi:[0,1]
	v_pk_mul_f32 v[4:5], s[12:13], v[0:1] op_sel_hi:[0,1]
	global_load_b128 v[6:9], v[10:11], off
	s_wait_loadcnt 0x0
	v_pk_fma_f32 v[0:1], s[14:15], v[6:7], v[2:3] op_sel_hi:[0,1,1]
	v_pk_fma_f32 v[2:3], s[14:15], v[8:9], v[4:5] op_sel_hi:[0,1,1]
	global_store_b128 v[10:11], v[0:3], off
	s_sendmsg sendmsg(MSG_DEALLOC_VGPRS)
	s_endpgm
	.section	.rodata,"a",@progbits
	.p2align	6, 0x0
	.amdhsa_kernel _ZN9rocsparseL18bsrxmvn_4x4_kernelILj128ELj4EfliaafEEvT3_20rocsparse_direction_NS_24const_host_device_scalarIT1_EES1_PKS1_PKT2_SA_S7_PKT4_PKT5_S5_PT6_21rocsparse_index_base_b
		.amdhsa_group_segment_fixed_size 0
		.amdhsa_private_segment_fixed_size 0
		.amdhsa_kernarg_size 96
		.amdhsa_user_sgpr_count 2
		.amdhsa_user_sgpr_dispatch_ptr 0
		.amdhsa_user_sgpr_queue_ptr 0
		.amdhsa_user_sgpr_kernarg_segment_ptr 1
		.amdhsa_user_sgpr_dispatch_id 0
		.amdhsa_user_sgpr_kernarg_preload_length 0
		.amdhsa_user_sgpr_kernarg_preload_offset 0
		.amdhsa_user_sgpr_private_segment_size 0
		.amdhsa_wavefront_size32 1
		.amdhsa_uses_dynamic_stack 0
		.amdhsa_enable_private_segment 0
		.amdhsa_system_sgpr_workgroup_id_x 1
		.amdhsa_system_sgpr_workgroup_id_y 0
		.amdhsa_system_sgpr_workgroup_id_z 0
		.amdhsa_system_sgpr_workgroup_info 0
		.amdhsa_system_vgpr_workitem_id 0
		.amdhsa_next_free_vgpr 86
		.amdhsa_next_free_sgpr 18
		.amdhsa_named_barrier_count 0
		.amdhsa_reserve_vcc 1
		.amdhsa_float_round_mode_32 0
		.amdhsa_float_round_mode_16_64 0
		.amdhsa_float_denorm_mode_32 3
		.amdhsa_float_denorm_mode_16_64 3
		.amdhsa_fp16_overflow 0
		.amdhsa_memory_ordered 1
		.amdhsa_forward_progress 1
		.amdhsa_inst_pref_size 40
		.amdhsa_round_robin_scheduling 0
		.amdhsa_exception_fp_ieee_invalid_op 0
		.amdhsa_exception_fp_denorm_src 0
		.amdhsa_exception_fp_ieee_div_zero 0
		.amdhsa_exception_fp_ieee_overflow 0
		.amdhsa_exception_fp_ieee_underflow 0
		.amdhsa_exception_fp_ieee_inexact 0
		.amdhsa_exception_int_div_zero 0
	.end_amdhsa_kernel
	.section	.text._ZN9rocsparseL18bsrxmvn_4x4_kernelILj128ELj4EfliaafEEvT3_20rocsparse_direction_NS_24const_host_device_scalarIT1_EES1_PKS1_PKT2_SA_S7_PKT4_PKT5_S5_PT6_21rocsparse_index_base_b,"axG",@progbits,_ZN9rocsparseL18bsrxmvn_4x4_kernelILj128ELj4EfliaafEEvT3_20rocsparse_direction_NS_24const_host_device_scalarIT1_EES1_PKS1_PKT2_SA_S7_PKT4_PKT5_S5_PT6_21rocsparse_index_base_b,comdat
.Lfunc_end80:
	.size	_ZN9rocsparseL18bsrxmvn_4x4_kernelILj128ELj4EfliaafEEvT3_20rocsparse_direction_NS_24const_host_device_scalarIT1_EES1_PKS1_PKT2_SA_S7_PKT4_PKT5_S5_PT6_21rocsparse_index_base_b, .Lfunc_end80-_ZN9rocsparseL18bsrxmvn_4x4_kernelILj128ELj4EfliaafEEvT3_20rocsparse_direction_NS_24const_host_device_scalarIT1_EES1_PKS1_PKT2_SA_S7_PKT4_PKT5_S5_PT6_21rocsparse_index_base_b
                                        ; -- End function
	.set _ZN9rocsparseL18bsrxmvn_4x4_kernelILj128ELj4EfliaafEEvT3_20rocsparse_direction_NS_24const_host_device_scalarIT1_EES1_PKS1_PKT2_SA_S7_PKT4_PKT5_S5_PT6_21rocsparse_index_base_b.num_vgpr, 86
	.set _ZN9rocsparseL18bsrxmvn_4x4_kernelILj128ELj4EfliaafEEvT3_20rocsparse_direction_NS_24const_host_device_scalarIT1_EES1_PKS1_PKT2_SA_S7_PKT4_PKT5_S5_PT6_21rocsparse_index_base_b.num_agpr, 0
	.set _ZN9rocsparseL18bsrxmvn_4x4_kernelILj128ELj4EfliaafEEvT3_20rocsparse_direction_NS_24const_host_device_scalarIT1_EES1_PKS1_PKT2_SA_S7_PKT4_PKT5_S5_PT6_21rocsparse_index_base_b.numbered_sgpr, 18
	.set _ZN9rocsparseL18bsrxmvn_4x4_kernelILj128ELj4EfliaafEEvT3_20rocsparse_direction_NS_24const_host_device_scalarIT1_EES1_PKS1_PKT2_SA_S7_PKT4_PKT5_S5_PT6_21rocsparse_index_base_b.num_named_barrier, 0
	.set _ZN9rocsparseL18bsrxmvn_4x4_kernelILj128ELj4EfliaafEEvT3_20rocsparse_direction_NS_24const_host_device_scalarIT1_EES1_PKS1_PKT2_SA_S7_PKT4_PKT5_S5_PT6_21rocsparse_index_base_b.private_seg_size, 0
	.set _ZN9rocsparseL18bsrxmvn_4x4_kernelILj128ELj4EfliaafEEvT3_20rocsparse_direction_NS_24const_host_device_scalarIT1_EES1_PKS1_PKT2_SA_S7_PKT4_PKT5_S5_PT6_21rocsparse_index_base_b.uses_vcc, 1
	.set _ZN9rocsparseL18bsrxmvn_4x4_kernelILj128ELj4EfliaafEEvT3_20rocsparse_direction_NS_24const_host_device_scalarIT1_EES1_PKS1_PKT2_SA_S7_PKT4_PKT5_S5_PT6_21rocsparse_index_base_b.uses_flat_scratch, 0
	.set _ZN9rocsparseL18bsrxmvn_4x4_kernelILj128ELj4EfliaafEEvT3_20rocsparse_direction_NS_24const_host_device_scalarIT1_EES1_PKS1_PKT2_SA_S7_PKT4_PKT5_S5_PT6_21rocsparse_index_base_b.has_dyn_sized_stack, 0
	.set _ZN9rocsparseL18bsrxmvn_4x4_kernelILj128ELj4EfliaafEEvT3_20rocsparse_direction_NS_24const_host_device_scalarIT1_EES1_PKS1_PKT2_SA_S7_PKT4_PKT5_S5_PT6_21rocsparse_index_base_b.has_recursion, 0
	.set _ZN9rocsparseL18bsrxmvn_4x4_kernelILj128ELj4EfliaafEEvT3_20rocsparse_direction_NS_24const_host_device_scalarIT1_EES1_PKS1_PKT2_SA_S7_PKT4_PKT5_S5_PT6_21rocsparse_index_base_b.has_indirect_call, 0
	.section	.AMDGPU.csdata,"",@progbits
; Kernel info:
; codeLenInByte = 5112
; TotalNumSgprs: 20
; NumVgprs: 86
; ScratchSize: 0
; MemoryBound: 0
; FloatMode: 240
; IeeeMode: 1
; LDSByteSize: 0 bytes/workgroup (compile time only)
; SGPRBlocks: 0
; VGPRBlocks: 5
; NumSGPRsForWavesPerEU: 20
; NumVGPRsForWavesPerEU: 86
; NamedBarCnt: 0
; Occupancy: 10
; WaveLimiterHint : 1
; COMPUTE_PGM_RSRC2:SCRATCH_EN: 0
; COMPUTE_PGM_RSRC2:USER_SGPR: 2
; COMPUTE_PGM_RSRC2:TRAP_HANDLER: 0
; COMPUTE_PGM_RSRC2:TGID_X_EN: 1
; COMPUTE_PGM_RSRC2:TGID_Y_EN: 0
; COMPUTE_PGM_RSRC2:TGID_Z_EN: 0
; COMPUTE_PGM_RSRC2:TIDIG_COMP_CNT: 0
	.section	.text._ZN9rocsparseL18bsrxmvn_4x4_kernelILj128ELj8EfliaafEEvT3_20rocsparse_direction_NS_24const_host_device_scalarIT1_EES1_PKS1_PKT2_SA_S7_PKT4_PKT5_S5_PT6_21rocsparse_index_base_b,"axG",@progbits,_ZN9rocsparseL18bsrxmvn_4x4_kernelILj128ELj8EfliaafEEvT3_20rocsparse_direction_NS_24const_host_device_scalarIT1_EES1_PKS1_PKT2_SA_S7_PKT4_PKT5_S5_PT6_21rocsparse_index_base_b,comdat
	.globl	_ZN9rocsparseL18bsrxmvn_4x4_kernelILj128ELj8EfliaafEEvT3_20rocsparse_direction_NS_24const_host_device_scalarIT1_EES1_PKS1_PKT2_SA_S7_PKT4_PKT5_S5_PT6_21rocsparse_index_base_b ; -- Begin function _ZN9rocsparseL18bsrxmvn_4x4_kernelILj128ELj8EfliaafEEvT3_20rocsparse_direction_NS_24const_host_device_scalarIT1_EES1_PKS1_PKT2_SA_S7_PKT4_PKT5_S5_PT6_21rocsparse_index_base_b
	.p2align	8
	.type	_ZN9rocsparseL18bsrxmvn_4x4_kernelILj128ELj8EfliaafEEvT3_20rocsparse_direction_NS_24const_host_device_scalarIT1_EES1_PKS1_PKT2_SA_S7_PKT4_PKT5_S5_PT6_21rocsparse_index_base_b,@function
_ZN9rocsparseL18bsrxmvn_4x4_kernelILj128ELj8EfliaafEEvT3_20rocsparse_direction_NS_24const_host_device_scalarIT1_EES1_PKS1_PKT2_SA_S7_PKT4_PKT5_S5_PT6_21rocsparse_index_base_b: ; @_ZN9rocsparseL18bsrxmvn_4x4_kernelILj128ELj8EfliaafEEvT3_20rocsparse_direction_NS_24const_host_device_scalarIT1_EES1_PKS1_PKT2_SA_S7_PKT4_PKT5_S5_PT6_21rocsparse_index_base_b
; %bb.0:
	s_clause 0x2
	s_load_b64 s[16:17], s[0:1], 0x58
	s_load_b64 s[12:13], s[0:1], 0x8
	;; [unrolled: 1-line block ×3, first 2 shown]
	s_wait_kmcnt 0x0
	s_bitcmp1_b32 s17, 0
	s_cselect_b32 s2, -1, 0
	s_delay_alu instid0(SALU_CYCLE_1)
	s_and_b32 vcc_lo, exec_lo, s2
	s_xor_b32 s2, s2, -1
	s_cbranch_vccnz .LBB81_2
; %bb.1:
	s_load_b32 s12, s[12:13], 0x0
.LBB81_2:
	s_and_not1_b32 vcc_lo, exec_lo, s2
	s_cbranch_vccnz .LBB81_4
; %bb.3:
	s_load_b32 s14, s[14:15], 0x0
.LBB81_4:
	s_wait_kmcnt 0x0
	s_cmp_neq_f32 s12, 0
	s_mov_b32 s6, 0
	s_cselect_b32 s2, -1, 0
	s_cmp_neq_f32 s14, 1.0
	s_cselect_b32 s3, -1, 0
	s_delay_alu instid0(SALU_CYCLE_1) | instskip(NEXT) | instid1(SALU_CYCLE_1)
	s_or_b32 s2, s2, s3
	s_and_not1_b32 vcc_lo, exec_lo, s2
	s_cbranch_vccnz .LBB81_10
; %bb.5:
	s_clause 0x1
	s_load_b64 s[4:5], s[0:1], 0x18
	s_load_b64 s[2:3], s[0:1], 0x0
	s_bfe_u32 s7, ttmp6, 0x4000c
	s_and_b32 s8, ttmp6, 15
	s_add_co_i32 s7, s7, 1
	s_getreg_b32 s9, hwreg(HW_REG_IB_STS2, 6, 4)
	s_mul_i32 s7, ttmp9, s7
	v_lshrrev_b32_e32 v1, 3, v0
	s_add_co_i32 s8, s8, s7
	s_cmp_eq_u32 s9, 0
	s_cselect_b32 s7, ttmp9, s8
	s_delay_alu instid0(VALU_DEP_1) | instid1(SALU_CYCLE_1)
	v_lshl_or_b32 v2, s7, 4, v1
	s_wait_kmcnt 0x0
	s_cmp_lg_u64 s[4:5], 0
	s_cbranch_scc0 .LBB81_11
; %bb.6:
	s_load_b32 s6, s[0:1], 0x10
	s_mov_b32 s7, 0
                                        ; implicit-def: $vgpr1
	s_wait_kmcnt 0x0
	v_cmp_gt_i32_e32 vcc_lo, s6, v2
	s_mov_b32 s6, 0
	s_and_saveexec_b32 s8, vcc_lo
	s_delay_alu instid0(SALU_CYCLE_1)
	s_xor_b32 s8, exec_lo, s8
	s_cbranch_execz .LBB81_8
; %bb.7:
	global_load_b32 v1, v2, s[4:5] scale_offset
	s_mov_b32 s6, exec_lo
	s_wait_loadcnt 0x0
	v_subrev_nc_u32_e32 v1, s16, v1
.LBB81_8:
	s_or_b32 exec_lo, exec_lo, s8
	s_delay_alu instid0(SALU_CYCLE_1)
	s_and_b32 vcc_lo, exec_lo, s7
	s_cbranch_vccz .LBB81_12
.LBB81_9:
	v_cmp_gt_i32_e32 vcc_lo, s2, v2
	s_and_not1_b32 s2, s6, exec_lo
	s_and_b32 s4, vcc_lo, exec_lo
	s_delay_alu instid0(SALU_CYCLE_1) | instskip(NEXT) | instid1(SALU_CYCLE_1)
	s_or_b32 s6, s2, s4
	s_and_saveexec_b32 s2, s6
	s_cbranch_execnz .LBB81_13
.LBB81_10:
	s_sendmsg sendmsg(MSG_DEALLOC_VGPRS)
	s_endpgm
.LBB81_11:
                                        ; implicit-def: $vgpr1
	s_cbranch_execnz .LBB81_9
.LBB81_12:
	s_delay_alu instid0(VALU_DEP_1)
	v_mov_b32_e32 v2, v1
	s_and_saveexec_b32 s2, s6
	s_cbranch_execz .LBB81_10
.LBB81_13:
	s_load_b256 s[4:11], s[0:1], 0x20
	s_mov_b32 s17, 0
	v_dual_mov_b32 v1, 0 :: v_dual_bitop2_b32 v0, 7, v0 bitop3:0x40
	s_wait_kmcnt 0x0
	s_cmp_eq_u64 s[6:7], 0
	global_load_b64 v[14:15], v2, s[4:5] scale_offset
	s_cselect_b32 vcc_lo, -1, 0
	v_ashrrev_i32_e32 v3, 31, v2
	s_cmp_eq_u32 s3, 1
	s_delay_alu instid0(VALU_DEP_1) | instskip(NEXT) | instid1(VALU_DEP_1)
	v_lshlrev_b64_e32 v[4:5], 3, v[2:3]
	v_add_nc_u64_e32 v[6:7], s[4:5], v[4:5]
	v_add_nc_u64_e32 v[4:5], s[6:7], v[4:5]
	s_wait_xcnt 0x0
	s_load_b64 s[4:5], s[0:1], 0x40
	s_delay_alu instid0(VALU_DEP_2) | instskip(NEXT) | instid1(VALU_DEP_1)
	v_add_nc_u64_e32 v[6:7], 8, v[6:7]
	v_dual_cndmask_b32 v5, v5, v7 :: v_dual_cndmask_b32 v4, v4, v6
	global_load_b64 v[4:5], v[4:5], off
	s_wait_loadcnt 0x1
	v_sub_nc_u64_e64 v[6:7], v[14:15], s[16:17]
	s_delay_alu instid0(VALU_DEP_1) | instskip(NEXT) | instid1(VALU_DEP_1)
	v_add_nc_u64_e32 v[6:7], v[6:7], v[0:1]
	v_lshl_add_u64 v[8:9], v[6:7], 4, s[10:11]
	s_wait_loadcnt 0x0
	v_sub_nc_u64_e64 v[4:5], v[4:5], s[16:17]
	s_delay_alu instid0(VALU_DEP_1)
	v_cmp_lt_i64_e64 s2, v[6:7], v[4:5]
	s_cbranch_scc1 .LBB81_25
; %bb.14:
	v_dual_mov_b32 v11, v1 :: v_dual_mov_b32 v10, v1
	v_dual_mov_b32 v13, v1 :: v_dual_mov_b32 v12, v1
	s_and_saveexec_b32 s3, s2
	s_cbranch_execz .LBB81_24
; %bb.15:
	v_dual_mov_b32 v11, v1 :: v_dual_bitop2_b32 v10, 8, v0 bitop3:0x54
	v_sub_nc_u64_e32 v[12:13], s[16:17], v[0:1]
	v_not_b32_e32 v17, v15
	v_not_b32_e32 v16, v14
	v_mov_b64_e32 v[18:19], v[8:9]
	v_sub_nc_u64_e64 v[10:11], v[10:11], s[16:17]
	s_delay_alu instid0(VALU_DEP_3) | instskip(SKIP_1) | instid1(VALU_DEP_3)
	v_add_nc_u64_e32 v[12:13], v[12:13], v[16:17]
	v_mov_b64_e32 v[16:17], v[6:7]
	v_add_nc_u64_e32 v[10:11], v[10:11], v[14:15]
	s_delay_alu instid0(VALU_DEP_1) | instskip(NEXT) | instid1(VALU_DEP_1)
	v_max_i64 v[10:11], v[10:11], v[4:5]
	v_add_nc_u64_e32 v[20:21], v[12:13], v[10:11]
	s_delay_alu instid0(VALU_DEP_1) | instskip(NEXT) | instid1(VALU_DEP_1)
	v_dual_mov_b32 v13, 0 :: v_dual_bitop2_b32 v12, 24, v20 bitop3:0x40
	v_dual_mov_b32 v10, v13 :: v_dual_mov_b32 v11, v13
	s_delay_alu instid0(VALU_DEP_2)
	v_cmp_ne_u64_e32 vcc_lo, 24, v[12:13]
	v_mov_b32_e32 v12, v13
	s_and_saveexec_b32 s6, vcc_lo
	s_cbranch_execz .LBB81_19
; %bb.16:
	v_dual_lshrrev_b32 v3, 3, v20 :: v_dual_mov_b32 v11, 0
	v_mov_b64_e32 v[18:19], v[8:9]
	v_mov_b64_e32 v[16:17], v[6:7]
	v_lshl_add_u64 v[22:23], v[6:7], 2, s[8:9]
	s_delay_alu instid0(VALU_DEP_4) | instskip(SKIP_1) | instid1(VALU_DEP_1)
	v_dual_mov_b32 v12, v11 :: v_dual_add_nc_u32 v3, 1, v3
	s_mov_b32 s7, 0
	v_dual_mov_b32 v13, v11 :: v_dual_bitop2_b32 v10, 3, v3 bitop3:0x40
	s_delay_alu instid0(VALU_DEP_1)
	v_sub_nc_u64_e32 v[24:25], 0, v[10:11]
	v_mov_b32_e32 v10, v11
.LBB81_17:                              ; =>This Inner Loop Header: Depth=1
	global_load_b32 v3, v[22:23], off
	v_add_nc_u64_e32 v[24:25], 1, v[24:25]
	v_add_nc_u64_e32 v[16:17], 8, v[16:17]
	s_wait_xcnt 0x0
	v_add_nc_u64_e32 v[22:23], 32, v[22:23]
	s_delay_alu instid0(VALU_DEP_3)
	v_cmp_eq_u64_e32 vcc_lo, 0, v[24:25]
	s_or_b32 s7, vcc_lo, s7
	s_wait_loadcnt 0x0
	v_subrev_nc_u32_e32 v3, s16, v3
	global_load_b128 v[26:29], v[18:19], off
	s_wait_kmcnt 0x0
	global_load_b32 v41, v3, s[4:5] scale_offset
	s_wait_xcnt 0x1
	v_add_nc_u64_e32 v[18:19], 0x80, v[18:19]
	s_wait_loadcnt 0x1
	s_wait_xcnt 0x0
	v_bfe_i32 v3, v26, 0, 8
	v_bfe_i32 v30, v27, 0, 8
	v_bfe_i32 v31, v27, 8, 8
	v_bfe_i32 v32, v26, 8, 8
	v_bfe_i32 v33, v27, 16, 8
	v_bfe_i32 v34, v26, 16, 8
	v_dual_ashrrev_i32 v35, 24, v27 :: v_dual_ashrrev_i32 v36, 24, v26
	v_bfe_i32 v37, v28, 0, 8
	v_bfe_i32 v38, v29, 0, 8
	;; [unrolled: 1-line block ×5, first 2 shown]
	v_cvt_f32_i32_e32 v26, v3
	s_wait_loadcnt 0x0
	v_bfe_i32 v3, v41, 0, 8
	v_bfe_i32 v43, v28, 16, 8
	v_dual_ashrrev_i32 v44, 24, v29 :: v_dual_ashrrev_i32 v45, 24, v28
	v_cvt_f32_i32_e32 v27, v30
	v_cvt_f32_i32_e32 v29, v31
	;; [unrolled: 1-line block ×11, first 2 shown]
	v_bfe_i32 v40, v41, 8, 8
	v_cvt_f32_i32_e32 v38, v3
	v_cvt_f32_i32_e32 v39, v42
	v_bfe_i32 v3, v41, 16, 8
	s_delay_alu instid0(VALU_DEP_4) | instskip(NEXT) | instid1(VALU_DEP_3)
	v_cvt_f32_i32_e32 v40, v40
	v_pk_fma_f32 v[12:13], v[26:27], v[38:39], v[12:13] op_sel_hi:[1,0,1]
	v_pk_fma_f32 v[10:11], v[34:35], v[38:39], v[10:11] op_sel_hi:[1,0,1]
	v_cvt_f32_i32_e32 v38, v43
	v_ashrrev_i32_e32 v27, 24, v41
	v_cvt_f32_i32_e32 v26, v3
	v_pk_fma_f32 v[12:13], v[28:29], v[40:41], v[12:13] op_sel_hi:[1,0,1]
	v_pk_fma_f32 v[10:11], v[36:37], v[40:41], v[10:11] op_sel_hi:[1,0,1]
	v_cvt_f32_i32_e32 v29, v44
	v_cvt_f32_i32_e32 v28, v45
	;; [unrolled: 1-line block ×3, first 2 shown]
	v_pk_fma_f32 v[12:13], v[30:31], v[26:27], v[12:13] op_sel_hi:[1,0,1]
	v_pk_fma_f32 v[10:11], v[38:39], v[26:27], v[10:11] op_sel_hi:[1,0,1]
	s_delay_alu instid0(VALU_DEP_2) | instskip(NEXT) | instid1(VALU_DEP_2)
	v_pk_fma_f32 v[12:13], v[32:33], v[34:35], v[12:13] op_sel_hi:[1,0,1]
	v_pk_fma_f32 v[10:11], v[28:29], v[34:35], v[10:11] op_sel_hi:[1,0,1]
	s_and_not1_b32 exec_lo, exec_lo, s7
	s_cbranch_execnz .LBB81_17
; %bb.18:
	s_or_b32 exec_lo, exec_lo, s7
.LBB81_19:
	s_delay_alu instid0(SALU_CYCLE_1) | instskip(NEXT) | instid1(SALU_CYCLE_1)
	s_or_b32 exec_lo, exec_lo, s6
	s_mov_b32 s6, exec_lo
	v_cmpx_lt_u64_e32 23, v[20:21]
	s_cbranch_execz .LBB81_23
; %bb.20:
	v_lshl_add_u64 v[20:21], v[16:17], 2, s[8:9]
	s_mov_b32 s7, 0
	s_delay_alu instid0(VALU_DEP_1)
	v_add_nc_u64_e32 v[20:21], 64, v[20:21]
.LBB81_21:                              ; =>This Inner Loop Header: Depth=1
	s_clause 0x3
	global_load_b32 v3, v[20:21], off offset:-64
	global_load_b32 v34, v[20:21], off offset:-32
	global_load_b32 v35, v[20:21], off
	global_load_b32 v36, v[20:21], off offset:32
	s_clause 0x2
	global_load_b128 v[22:25], v[18:19], off
	global_load_b128 v[26:29], v[18:19], off offset:256
	global_load_b128 v[30:33], v[18:19], off offset:128
	v_add_nc_u64_e32 v[16:17], 32, v[16:17]
	s_wait_xcnt 0x3
	v_add_nc_u64_e32 v[20:21], 0x80, v[20:21]
	s_delay_alu instid0(VALU_DEP_2)
	v_cmp_ge_i64_e32 vcc_lo, v[16:17], v[4:5]
	s_or_b32 s7, vcc_lo, s7
	s_wait_loadcnt 0x6
	v_subrev_nc_u32_e32 v3, s16, v3
	s_wait_loadcnt 0x5
	v_subrev_nc_u32_e32 v38, s16, v34
	;; [unrolled: 2-line block ×4, first 2 shown]
	s_wait_loadcnt 0x2
	v_bfe_i32 v42, v22, 8, 8
	s_wait_kmcnt 0x0
	s_clause 0x2
	global_load_b32 v73, v3, s[4:5] scale_offset
	global_load_b32 v74, v38, s[4:5] scale_offset
	;; [unrolled: 1-line block ×3, first 2 shown]
	global_load_b128 v[34:37], v[18:19], off offset:384
	global_load_b32 v76, v40, s[4:5] scale_offset
	s_wait_xcnt 0x4
	v_bfe_i32 v3, v22, 0, 8
	s_wait_xcnt 0x2
	v_bfe_i32 v39, v24, 0, 8
	s_wait_xcnt 0x0
	v_bfe_i32 v40, v25, 0, 8
	s_wait_loadcnt 0x6
	v_dual_ashrrev_i32 v50, 24, v26 :: v_dual_ashrrev_i32 v45, 24, v23
	v_bfe_i32 v44, v22, 16, 8
	s_wait_loadcnt 0x5
	v_dual_ashrrev_i32 v46, 24, v22 :: v_dual_ashrrev_i32 v54, 24, v31
	v_bfe_i32 v48, v30, 0, 8
	v_bfe_i32 v51, v30, 8, 8
	;; [unrolled: 1-line block ×3, first 2 shown]
	v_dual_ashrrev_i32 v55, 24, v30 :: v_dual_ashrrev_i32 v62, 24, v27
	v_bfe_i32 v56, v27, 0, 8
	v_bfe_i32 v57, v26, 0, 8
	;; [unrolled: 1-line block ×7, first 2 shown]
	v_cvt_f32_i32_e32 v22, v3
	v_bfe_i32 v38, v23, 0, 8
	v_bfe_i32 v47, v31, 0, 8
	;; [unrolled: 1-line block ×4, first 2 shown]
	v_dual_ashrrev_i32 v68, 24, v28 :: v_dual_ashrrev_i32 v65, 24, v25
	v_bfe_i32 v31, v24, 8, 8
	v_bfe_i32 v63, v25, 16, 8
	;; [unrolled: 1-line block ×3, first 2 shown]
	v_dual_ashrrev_i32 v66, 24, v24 :: v_dual_ashrrev_i32 v78, 24, v33
	v_dual_ashrrev_i32 v79, 24, v32 :: v_dual_ashrrev_i32 v86, 24, v29
	v_bfe_i32 v80, v29, 0, 8
	v_bfe_i32 v82, v29, 8, 8
	;; [unrolled: 1-line block ×3, first 2 shown]
	v_cvt_f32_i32_e32 v24, v39
	v_cvt_f32_i32_e32 v25, v40
	;; [unrolled: 1-line block ×6, first 2 shown]
	v_bfe_i32 v41, v23, 8, 8
	v_bfe_i32 v43, v23, 16, 8
	;; [unrolled: 1-line block ×5, first 2 shown]
	v_cvt_f32_i32_e32 v23, v38
	v_cvt_f32_i32_e32 v28, v31
	v_bfe_i32 v58, v27, 8, 8
	v_bfe_i32 v60, v27, 16, 8
	;; [unrolled: 1-line block ×6, first 2 shown]
	v_cvt_f32_i32_e32 v27, v41
	v_cvt_f32_i32_e32 v26, v42
	;; [unrolled: 1-line block ×27, first 2 shown]
	v_add_nc_u64_e32 v[18:19], 0x200, v[18:19]
	s_wait_loadcnt 0x4
	v_bfe_i32 v3, v73, 0, 8
	s_wait_loadcnt 0x1
	v_bfe_i32 v87, v35, 0, 8
	v_bfe_i32 v88, v34, 0, 8
	;; [unrolled: 1-line block ×6, first 2 shown]
	v_dual_ashrrev_i32 v93, 24, v35 :: v_dual_ashrrev_i32 v94, 24, v34
	v_cvt_f32_i32_e32 v35, v45
	v_cvt_f32_i32_e32 v34, v46
	;; [unrolled: 1-line block ×6, first 2 shown]
	v_bfe_i32 v72, v73, 8, 8
	v_cvt_f32_i32_e32 v70, v3
	v_cvt_f32_i32_e32 v71, v87
	v_bfe_i32 v3, v73, 16, 8
	v_bfe_i32 v95, v37, 0, 8
	v_cvt_f32_i32_e32 v72, v72
	v_bfe_i32 v96, v36, 0, 8
	v_pk_fma_f32 v[10:11], v[24:25], v[70:71], v[10:11] op_sel_hi:[1,0,1]
	v_pk_fma_f32 v[12:13], v[22:23], v[70:71], v[12:13] op_sel_hi:[1,0,1]
	v_ashrrev_i32_e32 v24, 24, v73
	v_cvt_f32_i32_e32 v22, v3
	v_cvt_f32_i32_e32 v23, v89
	v_pk_fma_f32 v[10:11], v[28:29], v[72:73], v[10:11] op_sel_hi:[1,0,1]
	v_pk_fma_f32 v[12:13], v[26:27], v[72:73], v[12:13] op_sel_hi:[1,0,1]
	v_bfe_i32 v3, v74, 0, 8
	v_ashrrev_i32_e32 v29, 24, v74
	v_cvt_f32_i32_e32 v24, v24
	v_pk_fma_f32 v[10:11], v[32:33], v[22:23], v[10:11] op_sel_hi:[1,0,1]
	v_pk_fma_f32 v[12:13], v[30:31], v[22:23], v[12:13] op_sel_hi:[1,0,1]
	v_bfe_i32 v27, v74, 8, 8
	v_cvt_f32_i32_e32 v26, v3
	v_bfe_i32 v97, v37, 8, 8
	v_pk_fma_f32 v[10:11], v[52:53], v[24:25], v[10:11] op_sel_hi:[1,0,1]
	v_bfe_i32 v98, v36, 8, 8
	v_bfe_i32 v99, v37, 16, 8
	;; [unrolled: 1-line block ×3, first 2 shown]
	v_dual_ashrrev_i32 v101, 24, v37 :: v_dual_ashrrev_i32 v102, 24, v36
	v_cvt_f32_i32_e32 v37, v47
	v_cvt_f32_i32_e32 v36, v48
	v_pk_fma_f32 v[12:13], v[34:35], v[24:25], v[12:13] op_sel_hi:[1,0,1]
	v_bfe_i32 v3, v74, 16, 8
	v_cvt_f32_i32_e32 v28, v27
	v_pk_fma_f32 v[10:11], v[54:55], v[26:27], v[10:11] op_sel_hi:[1,0,1]
	v_cvt_f32_i32_e32 v47, v58
	v_cvt_f32_i32_e32 v58, v77
	v_pk_fma_f32 v[12:13], v[36:37], v[26:27], v[12:13] op_sel_hi:[1,0,1]
	v_cvt_f32_i32_e32 v26, v3
	v_pk_fma_f32 v[10:11], v[56:57], v[28:29], v[10:11] op_sel_hi:[1,0,1]
	v_cvt_f32_i32_e32 v27, v93
	v_cvt_f32_i32_e32 v48, v61
	;; [unrolled: 1-line block ×3, first 2 shown]
	v_pk_fma_f32 v[12:13], v[38:39], v[28:29], v[12:13] op_sel_hi:[1,0,1]
	v_bfe_i32 v3, v75, 0, 8
	v_cvt_f32_i32_e32 v28, v29
	v_pk_fma_f32 v[10:11], v[58:59], v[26:27], v[10:11] op_sel_hi:[1,0,1]
	v_bfe_i32 v31, v75, 8, 8
	v_pk_fma_f32 v[12:13], v[40:41], v[26:27], v[12:13] op_sel_hi:[1,0,1]
	v_cvt_f32_i32_e32 v30, v3
	v_bfe_i32 v3, v75, 16, 8
	v_pk_fma_f32 v[10:11], v[60:61], v[28:29], v[10:11] op_sel_hi:[1,0,1]
	v_cvt_f32_i32_e32 v32, v31
	v_pk_fma_f32 v[12:13], v[42:43], v[28:29], v[12:13] op_sel_hi:[1,0,1]
	v_ashrrev_i32_e32 v33, 24, v75
	v_cvt_f32_i32_e32 v29, v95
	v_pk_fma_f32 v[10:11], v[62:63], v[30:31], v[10:11] op_sel_hi:[1,0,1]
	v_cvt_f32_i32_e32 v28, v96
	v_pk_fma_f32 v[12:13], v[44:45], v[30:31], v[12:13] op_sel_hi:[1,0,1]
	v_cvt_f32_i32_e32 v30, v3
	v_cvt_f32_i32_e32 v31, v97
	v_pk_fma_f32 v[10:11], v[64:65], v[32:33], v[10:11] op_sel_hi:[1,0,1]
	s_wait_loadcnt 0x0
	v_bfe_i32 v3, v76, 0, 8
	v_pk_fma_f32 v[12:13], v[46:47], v[32:33], v[12:13] op_sel_hi:[1,0,1]
	v_cvt_f32_i32_e32 v32, v33
	v_bfe_i32 v35, v76, 8, 8
	v_pk_fma_f32 v[10:11], v[66:67], v[30:31], v[10:11] op_sel_hi:[1,0,1]
	v_cvt_f32_i32_e32 v34, v3
	v_pk_fma_f32 v[12:13], v[48:49], v[30:31], v[12:13] op_sel_hi:[1,0,1]
	v_cvt_f32_i32_e32 v70, v88
	v_cvt_f32_i32_e32 v22, v90
	v_pk_fma_f32 v[10:11], v[68:69], v[32:33], v[10:11] op_sel_hi:[1,0,1]
	v_cvt_f32_i32_e32 v30, v98
	v_bfe_i32 v3, v76, 16, 8
	v_cvt_f32_i32_e32 v36, v35
	v_cvt_f32_i32_e32 v25, v91
	v_pk_fma_f32 v[10:11], v[28:29], v[34:35], v[10:11] op_sel_hi:[1,0,1]
	v_ashrrev_i32_e32 v29, 24, v76
	v_pk_fma_f32 v[12:13], v[50:51], v[32:33], v[12:13] op_sel_hi:[1,0,1]
	v_cvt_f32_i32_e32 v24, v92
	v_cvt_f32_i32_e32 v33, v99
	;; [unrolled: 1-line block ×4, first 2 shown]
	v_pk_fma_f32 v[12:13], v[70:71], v[34:35], v[12:13] op_sel_hi:[1,0,1]
	v_pk_fma_f32 v[10:11], v[30:31], v[36:37], v[10:11] op_sel_hi:[1,0,1]
	v_cvt_f32_i32_e32 v26, v94
	v_cvt_f32_i32_e32 v30, v29
	s_delay_alu instid0(VALU_DEP_4) | instskip(SKIP_3) | instid1(VALU_DEP_4)
	v_pk_fma_f32 v[12:13], v[22:23], v[36:37], v[12:13] op_sel_hi:[1,0,1]
	v_cvt_f32_i32_e32 v23, v101
	v_cvt_f32_i32_e32 v22, v102
	v_pk_fma_f32 v[10:11], v[32:33], v[28:29], v[10:11] op_sel_hi:[1,0,1]
	v_pk_fma_f32 v[12:13], v[24:25], v[28:29], v[12:13] op_sel_hi:[1,0,1]
	s_delay_alu instid0(VALU_DEP_2) | instskip(NEXT) | instid1(VALU_DEP_2)
	v_pk_fma_f32 v[10:11], v[22:23], v[30:31], v[10:11] op_sel_hi:[1,0,1]
	v_pk_fma_f32 v[12:13], v[26:27], v[30:31], v[12:13] op_sel_hi:[1,0,1]
	s_and_not1_b32 exec_lo, exec_lo, s7
	s_cbranch_execnz .LBB81_21
; %bb.22:
	s_or_b32 exec_lo, exec_lo, s7
.LBB81_23:
	s_delay_alu instid0(SALU_CYCLE_1)
	s_or_b32 exec_lo, exec_lo, s6
.LBB81_24:
	s_delay_alu instid0(SALU_CYCLE_1)
	s_or_b32 exec_lo, exec_lo, s3
	s_cbranch_execz .LBB81_26
	s_branch .LBB81_37
.LBB81_25:
                                        ; implicit-def: $vgpr11
                                        ; implicit-def: $vgpr13
.LBB81_26:
	v_dual_mov_b32 v11, 0 :: v_dual_mov_b32 v10, 0
	v_dual_mov_b32 v13, 0 :: v_dual_mov_b32 v12, 0
	s_and_saveexec_b32 s3, s2
	s_cbranch_execz .LBB81_36
; %bb.27:
	v_dual_mov_b32 v11, v1 :: v_dual_bitop2_b32 v10, 8, v0 bitop3:0x54
	v_sub_nc_u64_e32 v[12:13], s[16:17], v[0:1]
	s_delay_alu instid0(VALU_DEP_2) | instskip(NEXT) | instid1(VALU_DEP_1)
	v_sub_nc_u64_e64 v[10:11], v[10:11], s[16:17]
	v_add_nc_u64_e32 v[10:11], v[10:11], v[14:15]
	v_not_b32_e32 v15, v15
	v_not_b32_e32 v14, v14
	s_delay_alu instid0(VALU_DEP_1) | instskip(NEXT) | instid1(VALU_DEP_4)
	v_add_nc_u64_e32 v[12:13], v[12:13], v[14:15]
	v_max_i64 v[10:11], v[10:11], v[4:5]
	s_delay_alu instid0(VALU_DEP_1) | instskip(NEXT) | instid1(VALU_DEP_1)
	v_add_nc_u64_e32 v[14:15], v[12:13], v[10:11]
	v_dual_mov_b32 v13, 0 :: v_dual_bitop2_b32 v12, 24, v14 bitop3:0x40
	s_delay_alu instid0(VALU_DEP_1) | instskip(NEXT) | instid1(VALU_DEP_2)
	v_dual_mov_b32 v11, v13 :: v_dual_mov_b32 v10, v13
	v_cmp_ne_u64_e32 vcc_lo, 24, v[12:13]
	v_mov_b32_e32 v12, v13
	s_and_saveexec_b32 s2, vcc_lo
	s_cbranch_execz .LBB81_31
; %bb.28:
	v_dual_lshrrev_b32 v1, 3, v14 :: v_dual_mov_b32 v11, 0
	v_lshl_add_u64 v[16:17], v[6:7], 2, s[8:9]
	s_mov_b32 s6, 0
	s_delay_alu instid0(VALU_DEP_2) | instskip(NEXT) | instid1(VALU_DEP_1)
	v_dual_mov_b32 v12, v11 :: v_dual_add_nc_u32 v1, 1, v1
	v_dual_mov_b32 v13, v11 :: v_dual_bitop2_b32 v10, 3, v1 bitop3:0x40
	s_delay_alu instid0(VALU_DEP_1)
	v_sub_nc_u64_e32 v[18:19], 0, v[10:11]
	v_mov_b32_e32 v10, v11
.LBB81_29:                              ; =>This Inner Loop Header: Depth=1
	global_load_b32 v1, v[16:17], off
	v_add_nc_u64_e32 v[18:19], 1, v[18:19]
	v_add_nc_u64_e32 v[6:7], 8, v[6:7]
	s_wait_xcnt 0x0
	v_add_nc_u64_e32 v[16:17], 32, v[16:17]
	s_delay_alu instid0(VALU_DEP_3)
	v_cmp_eq_u64_e32 vcc_lo, 0, v[18:19]
	s_or_b32 s6, vcc_lo, s6
	s_wait_loadcnt 0x0
	v_subrev_nc_u32_e32 v1, s16, v1
	global_load_b128 v[20:23], v[8:9], off
	s_wait_kmcnt 0x0
	global_load_b32 v3, v1, s[4:5] scale_offset
	s_wait_xcnt 0x1
	v_add_nc_u64_e32 v[8:9], 0x80, v[8:9]
	s_wait_loadcnt 0x1
	s_wait_xcnt 0x0
	v_bfe_i32 v1, v20, 8, 8
	v_bfe_i32 v24, v20, 0, 8
	v_dual_ashrrev_i32 v25, 24, v20 :: v_dual_ashrrev_i32 v33, 24, v21
	v_bfe_i32 v26, v20, 16, 8
	v_bfe_i32 v27, v21, 8, 8
	;; [unrolled: 1-line block ×8, first 2 shown]
	v_dual_ashrrev_i32 v35, 24, v22 :: v_dual_ashrrev_i32 v37, 24, v23
	v_cvt_f32_i32_e32 v21, v1
	s_wait_loadcnt 0x0
	v_bfe_i32 v1, v3, 0, 8
	v_bfe_i32 v36, v22, 16, 8
	;; [unrolled: 1-line block ×3, first 2 shown]
	v_cvt_f32_i32_e32 v20, v24
	v_cvt_f32_i32_e32 v23, v25
	;; [unrolled: 1-line block ×11, first 2 shown]
	v_bfe_i32 v34, v3, 8, 8
	v_cvt_f32_i32_e32 v32, v1
	v_cvt_f32_i32_e32 v33, v35
	v_bfe_i32 v1, v3, 16, 8
	v_ashrrev_i32_e32 v3, 24, v3
	v_cvt_f32_i32_e32 v34, v34
	s_delay_alu instid0(VALU_DEP_4)
	v_pk_fma_f32 v[12:13], v[20:21], v[32:33], v[12:13] op_sel_hi:[1,0,1]
	v_pk_fma_f32 v[10:11], v[22:23], v[32:33], v[10:11] op_sel_hi:[1,0,1]
	v_cvt_f32_i32_e32 v32, v36
	v_cvt_f32_i32_e32 v20, v1
	;; [unrolled: 1-line block ×3, first 2 shown]
	v_pk_fma_f32 v[12:13], v[24:25], v[34:35], v[12:13] op_sel_hi:[1,0,1]
	v_pk_fma_f32 v[10:11], v[30:31], v[34:35], v[10:11] op_sel_hi:[1,0,1]
	v_cvt_f32_i32_e32 v22, v38
	v_cvt_f32_i32_e32 v24, v3
	s_delay_alu instid0(VALU_DEP_4) | instskip(NEXT) | instid1(VALU_DEP_4)
	v_pk_fma_f32 v[12:13], v[26:27], v[20:21], v[12:13] op_sel_hi:[1,0,1]
	v_pk_fma_f32 v[10:11], v[32:33], v[20:21], v[10:11] op_sel_hi:[1,0,1]
	s_delay_alu instid0(VALU_DEP_2) | instskip(NEXT) | instid1(VALU_DEP_2)
	v_pk_fma_f32 v[12:13], v[28:29], v[24:25], v[12:13] op_sel_hi:[1,0,1]
	v_pk_fma_f32 v[10:11], v[22:23], v[24:25], v[10:11] op_sel_hi:[1,0,1]
	s_and_not1_b32 exec_lo, exec_lo, s6
	s_cbranch_execnz .LBB81_29
; %bb.30:
	s_or_b32 exec_lo, exec_lo, s6
.LBB81_31:
	s_delay_alu instid0(SALU_CYCLE_1) | instskip(NEXT) | instid1(SALU_CYCLE_1)
	s_or_b32 exec_lo, exec_lo, s2
	s_mov_b32 s2, exec_lo
	v_cmpx_lt_u64_e32 23, v[14:15]
	s_cbranch_execz .LBB81_35
; %bb.32:
	v_lshl_add_u64 v[14:15], v[6:7], 2, s[8:9]
	s_mov_b32 s6, 0
	s_delay_alu instid0(VALU_DEP_1)
	v_add_nc_u64_e32 v[14:15], 64, v[14:15]
.LBB81_33:                              ; =>This Inner Loop Header: Depth=1
	s_clause 0x3
	global_load_b32 v1, v[14:15], off offset:-64
	global_load_b32 v3, v[14:15], off offset:-32
	global_load_b32 v28, v[14:15], off
	global_load_b32 v29, v[14:15], off offset:32
	s_clause 0x2
	global_load_b128 v[16:19], v[8:9], off
	global_load_b128 v[20:23], v[8:9], off offset:128
	global_load_b128 v[24:27], v[8:9], off offset:256
	v_add_nc_u64_e32 v[6:7], 32, v[6:7]
	s_wait_xcnt 0x3
	v_add_nc_u64_e32 v[14:15], 0x80, v[14:15]
	s_delay_alu instid0(VALU_DEP_2)
	v_cmp_ge_i64_e32 vcc_lo, v[6:7], v[4:5]
	s_or_b32 s6, vcc_lo, s6
	s_wait_loadcnt 0x6
	v_subrev_nc_u32_e32 v1, s16, v1
	s_wait_loadcnt 0x5
	v_subrev_nc_u32_e32 v3, s16, v3
	;; [unrolled: 2-line block ×4, first 2 shown]
	s_wait_loadcnt 0x2
	v_bfe_i32 v34, v17, 8, 8
	s_wait_kmcnt 0x0
	s_clause 0x2
	global_load_b32 v60, v1, s[4:5] scale_offset
	global_load_b32 v61, v3, s[4:5] scale_offset
	;; [unrolled: 1-line block ×3, first 2 shown]
	global_load_b128 v[28:31], v[8:9], off offset:384
	global_load_b32 v63, v33, s[4:5] scale_offset
	s_wait_xcnt 0x4
	v_bfe_i32 v1, v16, 8, 8
	s_wait_xcnt 0x3
	v_bfe_i32 v3, v16, 0, 8
	s_wait_xcnt 0x2
	v_dual_ashrrev_i32 v32, 24, v16 :: v_dual_ashrrev_i32 v53, 24, v17
	v_bfe_i32 v35, v17, 0, 8
	v_bfe_i32 v54, v17, 16, 8
	v_cvt_f32_i32_e32 v17, v1
	s_wait_xcnt 0x0
	v_bfe_i32 v33, v16, 16, 8
	v_bfe_i32 v36, v18, 8, 8
	v_bfe_i32 v37, v18, 0, 8
	v_bfe_i32 v38, v19, 8, 8
	v_bfe_i32 v39, v19, 0, 8
	v_dual_ashrrev_i32 v55, 24, v18 :: v_dual_ashrrev_i32 v57, 24, v19
	v_bfe_i32 v56, v18, 16, 8
	v_bfe_i32 v19, v19, 16, 8
	v_cvt_f32_i32_e32 v16, v3
	s_wait_loadcnt 0x6
	v_bfe_i32 v40, v20, 8, 8
	v_bfe_i32 v41, v20, 0, 8
	;; [unrolled: 1-line block ×8, first 2 shown]
	s_wait_loadcnt 0x5
	v_bfe_i32 v52, v26, 8, 8
	v_dual_ashrrev_i32 v58, 24, v20 :: v_dual_ashrrev_i32 v64, 24, v21
	v_bfe_i32 v59, v20, 16, 8
	v_bfe_i32 v65, v21, 16, 8
	v_dual_ashrrev_i32 v66, 24, v22 :: v_dual_ashrrev_i32 v68, 24, v23
	v_bfe_i32 v67, v22, 16, 8
	v_bfe_i32 v69, v23, 16, 8
	;; [unrolled: 1-line block ×3, first 2 shown]
	v_dual_ashrrev_i32 v75, 24, v26 :: v_dual_ashrrev_i32 v79, 24, v27
	v_bfe_i32 v76, v26, 16, 8
	v_cvt_f32_i32_e32 v21, v36
	v_cvt_f32_i32_e32 v20, v37
	;; [unrolled: 1-line block ×5, first 2 shown]
	v_bfe_i32 v48, v24, 8, 8
	v_bfe_i32 v49, v24, 0, 8
	;; [unrolled: 1-line block ×4, first 2 shown]
	v_dual_ashrrev_i32 v71, 24, v24 :: v_dual_ashrrev_i32 v73, 24, v25
	v_bfe_i32 v72, v24, 16, 8
	v_bfe_i32 v74, v25, 16, 8
	;; [unrolled: 1-line block ×5, first 2 shown]
	v_cvt_f32_i32_e32 v25, v38
	v_cvt_f32_i32_e32 v24, v39
	;; [unrolled: 1-line block ×14, first 2 shown]
	v_add_nc_u64_e32 v[8:9], 0x200, v[8:9]
	s_wait_loadcnt 0x4
	v_bfe_i32 v1, v60, 0, 8
	s_wait_loadcnt 0x1
	v_bfe_i32 v83, v29, 8, 8
	v_bfe_i32 v81, v28, 8, 8
	s_delay_alu instid0(VALU_DEP_3)
	v_cvt_f32_i32_e32 v18, v1
	v_bfe_i32 v82, v28, 0, 8
	v_bfe_i32 v84, v29, 0, 8
	;; [unrolled: 1-line block ×4, first 2 shown]
	v_pk_fma_f32 v[12:13], v[16:17], v[18:19], v[12:13] op_sel_hi:[1,0,1]
	v_cvt_f32_i32_e32 v17, v32
	v_cvt_f32_i32_e32 v16, v33
	v_bfe_i32 v1, v31, 8, 8
	v_bfe_i32 v3, v31, 0, 8
	v_dual_ashrrev_i32 v87, 24, v28 :: v_dual_ashrrev_i32 v89, 24, v29
	s_delay_alu instid0(VALU_DEP_4)
	v_pk_fma_f32 v[10:11], v[16:17], v[18:19], v[10:11] op_sel_hi:[1,0,1]
	v_bfe_i32 v18, v60, 8, 8
	v_cvt_f32_i32_e32 v17, v34
	v_cvt_f32_i32_e32 v16, v35
	;; [unrolled: 1-line block ×5, first 2 shown]
	v_bfe_i32 v64, v61, 0, 8
	v_bfe_i32 v88, v28, 16, 8
	;; [unrolled: 1-line block ×3, first 2 shown]
	v_dual_ashrrev_i32 v91, 24, v30 :: v_dual_ashrrev_i32 v93, 24, v31
	v_pk_fma_f32 v[12:13], v[16:17], v[18:19], v[12:13] op_sel_hi:[1,0,1]
	v_cvt_f32_i32_e32 v17, v53
	v_cvt_f32_i32_e32 v16, v54
	v_bfe_i32 v92, v30, 16, 8
	v_bfe_i32 v94, v31, 16, 8
	v_cvt_f32_i32_e32 v29, v40
	v_cvt_f32_i32_e32 v28, v41
	v_pk_fma_f32 v[10:11], v[16:17], v[18:19], v[10:11] op_sel_hi:[1,0,1]
	v_bfe_i32 v18, v60, 16, 8
	v_ashrrev_i32_e32 v60, 24, v60
	v_cvt_f32_i32_e32 v19, v83
	v_cvt_f32_i32_e32 v31, v58
	;; [unrolled: 1-line block ×8, first 2 shown]
	v_pk_fma_f32 v[12:13], v[20:21], v[18:19], v[12:13] op_sel_hi:[1,0,1]
	v_cvt_f32_i32_e32 v20, v60
	v_pk_fma_f32 v[10:11], v[22:23], v[18:19], v[10:11] op_sel_hi:[1,0,1]
	v_bfe_i32 v23, v61, 8, 8
	v_cvt_f32_i32_e32 v22, v64
	v_cvt_f32_i32_e32 v41, v50
	v_pk_fma_f32 v[12:13], v[24:25], v[20:21], v[12:13] op_sel_hi:[1,0,1]
	v_pk_fma_f32 v[10:11], v[26:27], v[20:21], v[10:11] op_sel_hi:[1,0,1]
	v_bfe_i32 v25, v61, 16, 8
	v_cvt_f32_i32_e32 v24, v23
	v_ashrrev_i32_e32 v26, 24, v61
	v_pk_fma_f32 v[12:13], v[28:29], v[22:23], v[12:13] op_sel_hi:[1,0,1]
	v_pk_fma_f32 v[10:11], v[30:31], v[22:23], v[10:11] op_sel_hi:[1,0,1]
	v_cvt_f32_i32_e32 v22, v25
	v_cvt_f32_i32_e32 v23, v1
	v_bfe_i32 v1, v62, 0, 8
	v_pk_fma_f32 v[12:13], v[32:33], v[24:25], v[12:13] op_sel_hi:[1,0,1]
	v_pk_fma_f32 v[10:11], v[44:45], v[24:25], v[10:11] op_sel_hi:[1,0,1]
	v_cvt_f32_i32_e32 v24, v26
	v_cvt_f32_i32_e32 v40, v51
	;; [unrolled: 1-line block ×3, first 2 shown]
	v_pk_fma_f32 v[12:13], v[34:35], v[22:23], v[12:13] op_sel_hi:[1,0,1]
	v_pk_fma_f32 v[10:11], v[46:47], v[22:23], v[10:11] op_sel_hi:[1,0,1]
	v_cvt_f32_i32_e32 v50, v72
	v_cvt_f32_i32_e32 v22, v3
	v_bfe_i32 v3, v62, 8, 8
	v_cvt_f32_i32_e32 v26, v1
	v_pk_fma_f32 v[12:13], v[36:37], v[24:25], v[12:13] op_sel_hi:[1,0,1]
	v_pk_fma_f32 v[10:11], v[48:49], v[24:25], v[10:11] op_sel_hi:[1,0,1]
	v_cvt_f32_i32_e32 v43, v52
	v_cvt_f32_i32_e32 v53, v73
	;; [unrolled: 1-line block ×3, first 2 shown]
	v_bfe_i32 v1, v62, 16, 8
	v_cvt_f32_i32_e32 v28, v3
	v_pk_fma_f32 v[12:13], v[38:39], v[26:27], v[12:13] op_sel_hi:[1,0,1]
	v_pk_fma_f32 v[10:11], v[50:51], v[26:27], v[10:11] op_sel_hi:[1,0,1]
	v_cvt_f32_i32_e32 v42, v70
	v_cvt_f32_i32_e32 v54, v76
	v_ashrrev_i32_e32 v3, 24, v62
	v_cvt_f32_i32_e32 v26, v1
	v_pk_fma_f32 v[12:13], v[40:41], v[28:29], v[12:13] op_sel_hi:[1,0,1]
	v_pk_fma_f32 v[10:11], v[52:53], v[28:29], v[10:11] op_sel_hi:[1,0,1]
	v_cvt_f32_i32_e32 v27, v89
	v_cvt_f32_i32_e32 v59, v79
	v_cvt_f32_i32_e32 v58, v80
	s_wait_loadcnt 0x0
	v_bfe_i32 v1, v63, 0, 8
	v_cvt_f32_i32_e32 v28, v3
	v_pk_fma_f32 v[12:13], v[42:43], v[26:27], v[12:13] op_sel_hi:[1,0,1]
	v_pk_fma_f32 v[10:11], v[54:55], v[26:27], v[10:11] op_sel_hi:[1,0,1]
	v_cvt_f32_i32_e32 v17, v81
	v_cvt_f32_i32_e32 v16, v82
	;; [unrolled: 1-line block ×4, first 2 shown]
	v_bfe_i32 v3, v63, 8, 8
	v_cvt_f32_i32_e32 v30, v1
	v_pk_fma_f32 v[12:13], v[56:57], v[28:29], v[12:13] op_sel_hi:[1,0,1]
	v_pk_fma_f32 v[10:11], v[58:59], v[28:29], v[10:11] op_sel_hi:[1,0,1]
	v_cvt_f32_i32_e32 v18, v84
	v_cvt_f32_i32_e32 v26, v90
	v_bfe_i32 v1, v63, 16, 8
	v_cvt_f32_i32_e32 v32, v3
	v_pk_fma_f32 v[12:13], v[16:17], v[30:31], v[12:13] op_sel_hi:[1,0,1]
	v_pk_fma_f32 v[10:11], v[24:25], v[30:31], v[10:11] op_sel_hi:[1,0,1]
	v_cvt_f32_i32_e32 v21, v85
	v_cvt_f32_i32_e32 v20, v86
	;; [unrolled: 1-line block ×4, first 2 shown]
	v_ashrrev_i32_e32 v3, 24, v63
	v_cvt_f32_i32_e32 v16, v1
	v_pk_fma_f32 v[12:13], v[18:19], v[32:33], v[12:13] op_sel_hi:[1,0,1]
	v_pk_fma_f32 v[10:11], v[26:27], v[32:33], v[10:11] op_sel_hi:[1,0,1]
	v_cvt_f32_i32_e32 v19, v93
	v_cvt_f32_i32_e32 v18, v94
	;; [unrolled: 1-line block ×3, first 2 shown]
	v_pk_fma_f32 v[12:13], v[20:21], v[16:17], v[12:13] op_sel_hi:[1,0,1]
	v_pk_fma_f32 v[10:11], v[28:29], v[16:17], v[10:11] op_sel_hi:[1,0,1]
	s_delay_alu instid0(VALU_DEP_2) | instskip(NEXT) | instid1(VALU_DEP_2)
	v_pk_fma_f32 v[12:13], v[22:23], v[24:25], v[12:13] op_sel_hi:[1,0,1]
	v_pk_fma_f32 v[10:11], v[18:19], v[24:25], v[10:11] op_sel_hi:[1,0,1]
	s_and_not1_b32 exec_lo, exec_lo, s6
	s_cbranch_execnz .LBB81_33
; %bb.34:
	s_or_b32 exec_lo, exec_lo, s6
.LBB81_35:
	s_delay_alu instid0(SALU_CYCLE_1)
	s_or_b32 exec_lo, exec_lo, s2
.LBB81_36:
	s_delay_alu instid0(SALU_CYCLE_1)
	s_or_b32 exec_lo, exec_lo, s3
.LBB81_37:
	v_mbcnt_lo_u32_b32 v1, -1, 0
	s_mov_b32 s2, -1
	s_delay_alu instid0(VALU_DEP_1) | instskip(NEXT) | instid1(VALU_DEP_1)
	v_xor_b32_e32 v3, 4, v1
	v_cmp_gt_i32_e32 vcc_lo, 32, v3
	v_cndmask_b32_e32 v3, v1, v3, vcc_lo
	s_delay_alu instid0(VALU_DEP_1)
	v_lshlrev_b32_e32 v3, 2, v3
	ds_bpermute_b32 v4, v3, v12
	ds_bpermute_b32 v5, v3, v13
	;; [unrolled: 1-line block ×4, first 2 shown]
	v_xor_b32_e32 v3, 2, v1
	s_delay_alu instid0(VALU_DEP_1) | instskip(SKIP_1) | instid1(VALU_DEP_1)
	v_cmp_gt_i32_e32 vcc_lo, 32, v3
	v_cndmask_b32_e32 v3, v1, v3, vcc_lo
	v_lshlrev_b32_e32 v3, 2, v3
	s_wait_dscnt 0x2
	v_pk_add_f32 v[4:5], v[12:13], v[4:5]
	s_wait_dscnt 0x0
	v_pk_add_f32 v[6:7], v[10:11], v[6:7]
	ds_bpermute_b32 v8, v3, v4
	ds_bpermute_b32 v9, v3, v5
	;; [unrolled: 1-line block ×4, first 2 shown]
	v_xor_b32_e32 v3, 1, v1
	s_delay_alu instid0(VALU_DEP_1) | instskip(SKIP_2) | instid1(VALU_DEP_2)
	v_cmp_gt_i32_e32 vcc_lo, 32, v3
	v_cndmask_b32_e32 v1, v1, v3, vcc_lo
	v_cmp_eq_u32_e32 vcc_lo, 7, v0
	v_lshlrev_b32_e32 v1, 2, v1
	s_wait_dscnt 0x2
	v_pk_add_f32 v[4:5], v[4:5], v[8:9]
	s_wait_dscnt 0x0
	v_pk_add_f32 v[6:7], v[6:7], v[10:11]
	ds_bpermute_b32 v10, v1, v4
	ds_bpermute_b32 v11, v1, v5
	;; [unrolled: 1-line block ×4, first 2 shown]
	s_and_b32 exec_lo, exec_lo, vcc_lo
	s_cbranch_execz .LBB81_10
; %bb.38:
	s_load_b64 s[0:1], s[0:1], 0x50
	s_wait_dscnt 0x2
	v_pk_add_f32 v[4:5], v[4:5], v[10:11]
	s_wait_dscnt 0x0
	v_pk_add_f32 v[0:1], v[6:7], v[8:9]
	v_lshlrev_b32_e32 v2, 2, v2
	s_cmp_eq_f32 s14, 0
	s_cbranch_scc0 .LBB81_40
; %bb.39:
	s_delay_alu instid0(VALU_DEP_1)
	v_ashrrev_i32_e32 v3, 31, v2
	v_pk_mul_f32 v[6:7], s[12:13], v[4:5] op_sel_hi:[0,1]
	v_pk_mul_f32 v[8:9], s[12:13], v[0:1] op_sel_hi:[0,1]
	s_mov_b32 s2, 0
	s_wait_kmcnt 0x0
	v_lshl_add_u64 v[10:11], v[2:3], 2, s[0:1]
	global_store_b128 v[10:11], v[6:9], off
.LBB81_40:
	s_and_not1_b32 vcc_lo, exec_lo, s2
	s_cbranch_vccnz .LBB81_10
; %bb.41:
	v_ashrrev_i32_e32 v3, 31, v2
	s_wait_kmcnt 0x0
	s_delay_alu instid0(VALU_DEP_1)
	v_lshl_add_u64 v[10:11], v[2:3], 2, s[0:1]
	v_pk_mul_f32 v[2:3], s[12:13], v[4:5] op_sel_hi:[0,1]
	v_pk_mul_f32 v[4:5], s[12:13], v[0:1] op_sel_hi:[0,1]
	global_load_b128 v[6:9], v[10:11], off
	s_wait_loadcnt 0x0
	v_pk_fma_f32 v[0:1], s[14:15], v[6:7], v[2:3] op_sel_hi:[0,1,1]
	v_pk_fma_f32 v[2:3], s[14:15], v[8:9], v[4:5] op_sel_hi:[0,1,1]
	global_store_b128 v[10:11], v[0:3], off
	s_sendmsg sendmsg(MSG_DEALLOC_VGPRS)
	s_endpgm
	.section	.rodata,"a",@progbits
	.p2align	6, 0x0
	.amdhsa_kernel _ZN9rocsparseL18bsrxmvn_4x4_kernelILj128ELj8EfliaafEEvT3_20rocsparse_direction_NS_24const_host_device_scalarIT1_EES1_PKS1_PKT2_SA_S7_PKT4_PKT5_S5_PT6_21rocsparse_index_base_b
		.amdhsa_group_segment_fixed_size 0
		.amdhsa_private_segment_fixed_size 0
		.amdhsa_kernarg_size 96
		.amdhsa_user_sgpr_count 2
		.amdhsa_user_sgpr_dispatch_ptr 0
		.amdhsa_user_sgpr_queue_ptr 0
		.amdhsa_user_sgpr_kernarg_segment_ptr 1
		.amdhsa_user_sgpr_dispatch_id 0
		.amdhsa_user_sgpr_kernarg_preload_length 0
		.amdhsa_user_sgpr_kernarg_preload_offset 0
		.amdhsa_user_sgpr_private_segment_size 0
		.amdhsa_wavefront_size32 1
		.amdhsa_uses_dynamic_stack 0
		.amdhsa_enable_private_segment 0
		.amdhsa_system_sgpr_workgroup_id_x 1
		.amdhsa_system_sgpr_workgroup_id_y 0
		.amdhsa_system_sgpr_workgroup_id_z 0
		.amdhsa_system_sgpr_workgroup_info 0
		.amdhsa_system_vgpr_workitem_id 0
		.amdhsa_next_free_vgpr 103
		.amdhsa_next_free_sgpr 18
		.amdhsa_named_barrier_count 0
		.amdhsa_reserve_vcc 1
		.amdhsa_float_round_mode_32 0
		.amdhsa_float_round_mode_16_64 0
		.amdhsa_float_denorm_mode_32 3
		.amdhsa_float_denorm_mode_16_64 3
		.amdhsa_fp16_overflow 0
		.amdhsa_memory_ordered 1
		.amdhsa_forward_progress 1
		.amdhsa_inst_pref_size 41
		.amdhsa_round_robin_scheduling 0
		.amdhsa_exception_fp_ieee_invalid_op 0
		.amdhsa_exception_fp_denorm_src 0
		.amdhsa_exception_fp_ieee_div_zero 0
		.amdhsa_exception_fp_ieee_overflow 0
		.amdhsa_exception_fp_ieee_underflow 0
		.amdhsa_exception_fp_ieee_inexact 0
		.amdhsa_exception_int_div_zero 0
	.end_amdhsa_kernel
	.section	.text._ZN9rocsparseL18bsrxmvn_4x4_kernelILj128ELj8EfliaafEEvT3_20rocsparse_direction_NS_24const_host_device_scalarIT1_EES1_PKS1_PKT2_SA_S7_PKT4_PKT5_S5_PT6_21rocsparse_index_base_b,"axG",@progbits,_ZN9rocsparseL18bsrxmvn_4x4_kernelILj128ELj8EfliaafEEvT3_20rocsparse_direction_NS_24const_host_device_scalarIT1_EES1_PKS1_PKT2_SA_S7_PKT4_PKT5_S5_PT6_21rocsparse_index_base_b,comdat
.Lfunc_end81:
	.size	_ZN9rocsparseL18bsrxmvn_4x4_kernelILj128ELj8EfliaafEEvT3_20rocsparse_direction_NS_24const_host_device_scalarIT1_EES1_PKS1_PKT2_SA_S7_PKT4_PKT5_S5_PT6_21rocsparse_index_base_b, .Lfunc_end81-_ZN9rocsparseL18bsrxmvn_4x4_kernelILj128ELj8EfliaafEEvT3_20rocsparse_direction_NS_24const_host_device_scalarIT1_EES1_PKS1_PKT2_SA_S7_PKT4_PKT5_S5_PT6_21rocsparse_index_base_b
                                        ; -- End function
	.set _ZN9rocsparseL18bsrxmvn_4x4_kernelILj128ELj8EfliaafEEvT3_20rocsparse_direction_NS_24const_host_device_scalarIT1_EES1_PKS1_PKT2_SA_S7_PKT4_PKT5_S5_PT6_21rocsparse_index_base_b.num_vgpr, 103
	.set _ZN9rocsparseL18bsrxmvn_4x4_kernelILj128ELj8EfliaafEEvT3_20rocsparse_direction_NS_24const_host_device_scalarIT1_EES1_PKS1_PKT2_SA_S7_PKT4_PKT5_S5_PT6_21rocsparse_index_base_b.num_agpr, 0
	.set _ZN9rocsparseL18bsrxmvn_4x4_kernelILj128ELj8EfliaafEEvT3_20rocsparse_direction_NS_24const_host_device_scalarIT1_EES1_PKS1_PKT2_SA_S7_PKT4_PKT5_S5_PT6_21rocsparse_index_base_b.numbered_sgpr, 18
	.set _ZN9rocsparseL18bsrxmvn_4x4_kernelILj128ELj8EfliaafEEvT3_20rocsparse_direction_NS_24const_host_device_scalarIT1_EES1_PKS1_PKT2_SA_S7_PKT4_PKT5_S5_PT6_21rocsparse_index_base_b.num_named_barrier, 0
	.set _ZN9rocsparseL18bsrxmvn_4x4_kernelILj128ELj8EfliaafEEvT3_20rocsparse_direction_NS_24const_host_device_scalarIT1_EES1_PKS1_PKT2_SA_S7_PKT4_PKT5_S5_PT6_21rocsparse_index_base_b.private_seg_size, 0
	.set _ZN9rocsparseL18bsrxmvn_4x4_kernelILj128ELj8EfliaafEEvT3_20rocsparse_direction_NS_24const_host_device_scalarIT1_EES1_PKS1_PKT2_SA_S7_PKT4_PKT5_S5_PT6_21rocsparse_index_base_b.uses_vcc, 1
	.set _ZN9rocsparseL18bsrxmvn_4x4_kernelILj128ELj8EfliaafEEvT3_20rocsparse_direction_NS_24const_host_device_scalarIT1_EES1_PKS1_PKT2_SA_S7_PKT4_PKT5_S5_PT6_21rocsparse_index_base_b.uses_flat_scratch, 0
	.set _ZN9rocsparseL18bsrxmvn_4x4_kernelILj128ELj8EfliaafEEvT3_20rocsparse_direction_NS_24const_host_device_scalarIT1_EES1_PKS1_PKT2_SA_S7_PKT4_PKT5_S5_PT6_21rocsparse_index_base_b.has_dyn_sized_stack, 0
	.set _ZN9rocsparseL18bsrxmvn_4x4_kernelILj128ELj8EfliaafEEvT3_20rocsparse_direction_NS_24const_host_device_scalarIT1_EES1_PKS1_PKT2_SA_S7_PKT4_PKT5_S5_PT6_21rocsparse_index_base_b.has_recursion, 0
	.set _ZN9rocsparseL18bsrxmvn_4x4_kernelILj128ELj8EfliaafEEvT3_20rocsparse_direction_NS_24const_host_device_scalarIT1_EES1_PKS1_PKT2_SA_S7_PKT4_PKT5_S5_PT6_21rocsparse_index_base_b.has_indirect_call, 0
	.section	.AMDGPU.csdata,"",@progbits
; Kernel info:
; codeLenInByte = 5184
; TotalNumSgprs: 20
; NumVgprs: 103
; ScratchSize: 0
; MemoryBound: 0
; FloatMode: 240
; IeeeMode: 1
; LDSByteSize: 0 bytes/workgroup (compile time only)
; SGPRBlocks: 0
; VGPRBlocks: 6
; NumSGPRsForWavesPerEU: 20
; NumVGPRsForWavesPerEU: 103
; NamedBarCnt: 0
; Occupancy: 9
; WaveLimiterHint : 1
; COMPUTE_PGM_RSRC2:SCRATCH_EN: 0
; COMPUTE_PGM_RSRC2:USER_SGPR: 2
; COMPUTE_PGM_RSRC2:TRAP_HANDLER: 0
; COMPUTE_PGM_RSRC2:TGID_X_EN: 1
; COMPUTE_PGM_RSRC2:TGID_Y_EN: 0
; COMPUTE_PGM_RSRC2:TGID_Z_EN: 0
; COMPUTE_PGM_RSRC2:TIDIG_COMP_CNT: 0
	.section	.text._ZN9rocsparseL18bsrxmvn_4x4_kernelILj128ELj16EfliaafEEvT3_20rocsparse_direction_NS_24const_host_device_scalarIT1_EES1_PKS1_PKT2_SA_S7_PKT4_PKT5_S5_PT6_21rocsparse_index_base_b,"axG",@progbits,_ZN9rocsparseL18bsrxmvn_4x4_kernelILj128ELj16EfliaafEEvT3_20rocsparse_direction_NS_24const_host_device_scalarIT1_EES1_PKS1_PKT2_SA_S7_PKT4_PKT5_S5_PT6_21rocsparse_index_base_b,comdat
	.globl	_ZN9rocsparseL18bsrxmvn_4x4_kernelILj128ELj16EfliaafEEvT3_20rocsparse_direction_NS_24const_host_device_scalarIT1_EES1_PKS1_PKT2_SA_S7_PKT4_PKT5_S5_PT6_21rocsparse_index_base_b ; -- Begin function _ZN9rocsparseL18bsrxmvn_4x4_kernelILj128ELj16EfliaafEEvT3_20rocsparse_direction_NS_24const_host_device_scalarIT1_EES1_PKS1_PKT2_SA_S7_PKT4_PKT5_S5_PT6_21rocsparse_index_base_b
	.p2align	8
	.type	_ZN9rocsparseL18bsrxmvn_4x4_kernelILj128ELj16EfliaafEEvT3_20rocsparse_direction_NS_24const_host_device_scalarIT1_EES1_PKS1_PKT2_SA_S7_PKT4_PKT5_S5_PT6_21rocsparse_index_base_b,@function
_ZN9rocsparseL18bsrxmvn_4x4_kernelILj128ELj16EfliaafEEvT3_20rocsparse_direction_NS_24const_host_device_scalarIT1_EES1_PKS1_PKT2_SA_S7_PKT4_PKT5_S5_PT6_21rocsparse_index_base_b: ; @_ZN9rocsparseL18bsrxmvn_4x4_kernelILj128ELj16EfliaafEEvT3_20rocsparse_direction_NS_24const_host_device_scalarIT1_EES1_PKS1_PKT2_SA_S7_PKT4_PKT5_S5_PT6_21rocsparse_index_base_b
; %bb.0:
	s_clause 0x2
	s_load_b64 s[16:17], s[0:1], 0x58
	s_load_b64 s[12:13], s[0:1], 0x8
	;; [unrolled: 1-line block ×3, first 2 shown]
	s_wait_kmcnt 0x0
	s_bitcmp1_b32 s17, 0
	s_cselect_b32 s2, -1, 0
	s_delay_alu instid0(SALU_CYCLE_1)
	s_and_b32 vcc_lo, exec_lo, s2
	s_xor_b32 s2, s2, -1
	s_cbranch_vccnz .LBB82_2
; %bb.1:
	s_load_b32 s12, s[12:13], 0x0
.LBB82_2:
	s_and_not1_b32 vcc_lo, exec_lo, s2
	s_cbranch_vccnz .LBB82_4
; %bb.3:
	s_load_b32 s14, s[14:15], 0x0
.LBB82_4:
	s_wait_kmcnt 0x0
	s_cmp_neq_f32 s12, 0
	s_mov_b32 s6, 0
	s_cselect_b32 s2, -1, 0
	s_cmp_neq_f32 s14, 1.0
	s_cselect_b32 s3, -1, 0
	s_delay_alu instid0(SALU_CYCLE_1) | instskip(NEXT) | instid1(SALU_CYCLE_1)
	s_or_b32 s2, s2, s3
	s_and_not1_b32 vcc_lo, exec_lo, s2
	s_cbranch_vccnz .LBB82_10
; %bb.5:
	s_clause 0x1
	s_load_b64 s[4:5], s[0:1], 0x18
	s_load_b64 s[2:3], s[0:1], 0x0
	s_bfe_u32 s7, ttmp6, 0x4000c
	s_and_b32 s8, ttmp6, 15
	s_add_co_i32 s7, s7, 1
	s_getreg_b32 s9, hwreg(HW_REG_IB_STS2, 6, 4)
	s_mul_i32 s7, ttmp9, s7
	v_lshrrev_b32_e32 v1, 4, v0
	s_add_co_i32 s8, s8, s7
	s_cmp_eq_u32 s9, 0
	s_cselect_b32 s7, ttmp9, s8
	s_delay_alu instid0(VALU_DEP_1) | instid1(SALU_CYCLE_1)
	v_lshl_or_b32 v2, s7, 3, v1
	s_wait_kmcnt 0x0
	s_cmp_lg_u64 s[4:5], 0
	s_cbranch_scc0 .LBB82_11
; %bb.6:
	s_load_b32 s6, s[0:1], 0x10
	s_mov_b32 s7, 0
                                        ; implicit-def: $vgpr1
	s_wait_kmcnt 0x0
	v_cmp_gt_i32_e32 vcc_lo, s6, v2
	s_mov_b32 s6, 0
	s_and_saveexec_b32 s8, vcc_lo
	s_delay_alu instid0(SALU_CYCLE_1)
	s_xor_b32 s8, exec_lo, s8
	s_cbranch_execz .LBB82_8
; %bb.7:
	global_load_b32 v1, v2, s[4:5] scale_offset
	s_mov_b32 s6, exec_lo
	s_wait_loadcnt 0x0
	v_subrev_nc_u32_e32 v1, s16, v1
.LBB82_8:
	s_or_b32 exec_lo, exec_lo, s8
	s_delay_alu instid0(SALU_CYCLE_1)
	s_and_b32 vcc_lo, exec_lo, s7
	s_cbranch_vccz .LBB82_12
.LBB82_9:
	v_cmp_gt_i32_e32 vcc_lo, s2, v2
	s_and_not1_b32 s2, s6, exec_lo
	s_and_b32 s4, vcc_lo, exec_lo
	s_delay_alu instid0(SALU_CYCLE_1) | instskip(NEXT) | instid1(SALU_CYCLE_1)
	s_or_b32 s6, s2, s4
	s_and_saveexec_b32 s2, s6
	s_cbranch_execnz .LBB82_13
.LBB82_10:
	s_sendmsg sendmsg(MSG_DEALLOC_VGPRS)
	s_endpgm
.LBB82_11:
                                        ; implicit-def: $vgpr1
	s_cbranch_execnz .LBB82_9
.LBB82_12:
	s_delay_alu instid0(VALU_DEP_1)
	v_mov_b32_e32 v2, v1
	s_and_saveexec_b32 s2, s6
	s_cbranch_execz .LBB82_10
.LBB82_13:
	s_load_b256 s[4:11], s[0:1], 0x20
	s_mov_b32 s17, 0
	v_dual_mov_b32 v1, 0 :: v_dual_bitop2_b32 v0, 15, v0 bitop3:0x40
	s_wait_kmcnt 0x0
	s_cmp_eq_u64 s[6:7], 0
	global_load_b64 v[14:15], v2, s[4:5] scale_offset
	s_cselect_b32 vcc_lo, -1, 0
	v_ashrrev_i32_e32 v3, 31, v2
	s_cmp_eq_u32 s3, 1
	s_delay_alu instid0(VALU_DEP_1) | instskip(NEXT) | instid1(VALU_DEP_1)
	v_lshlrev_b64_e32 v[4:5], 3, v[2:3]
	v_add_nc_u64_e32 v[6:7], s[4:5], v[4:5]
	v_add_nc_u64_e32 v[4:5], s[6:7], v[4:5]
	s_wait_xcnt 0x0
	s_load_b64 s[4:5], s[0:1], 0x40
	s_delay_alu instid0(VALU_DEP_2) | instskip(NEXT) | instid1(VALU_DEP_1)
	v_add_nc_u64_e32 v[6:7], 8, v[6:7]
	v_dual_cndmask_b32 v5, v5, v7 :: v_dual_cndmask_b32 v4, v4, v6
	global_load_b64 v[4:5], v[4:5], off
	s_wait_loadcnt 0x1
	v_sub_nc_u64_e64 v[6:7], v[14:15], s[16:17]
	s_delay_alu instid0(VALU_DEP_1) | instskip(NEXT) | instid1(VALU_DEP_1)
	v_add_nc_u64_e32 v[6:7], v[6:7], v[0:1]
	v_lshl_add_u64 v[8:9], v[6:7], 4, s[10:11]
	s_wait_loadcnt 0x0
	v_sub_nc_u64_e64 v[4:5], v[4:5], s[16:17]
	s_delay_alu instid0(VALU_DEP_1)
	v_cmp_lt_i64_e64 s2, v[6:7], v[4:5]
	s_cbranch_scc1 .LBB82_25
; %bb.14:
	v_dual_mov_b32 v13, v1 :: v_dual_mov_b32 v12, v1
	v_dual_mov_b32 v11, v1 :: v_dual_mov_b32 v10, v1
	s_and_saveexec_b32 s3, s2
	s_cbranch_execz .LBB82_24
; %bb.15:
	v_dual_mov_b32 v11, v1 :: v_dual_bitop2_b32 v10, 16, v0 bitop3:0x54
	v_sub_nc_u64_e32 v[12:13], s[16:17], v[0:1]
	v_not_b32_e32 v17, v15
	v_not_b32_e32 v16, v14
	v_mov_b64_e32 v[18:19], v[8:9]
	v_sub_nc_u64_e64 v[10:11], v[10:11], s[16:17]
	s_delay_alu instid0(VALU_DEP_3) | instskip(SKIP_1) | instid1(VALU_DEP_3)
	v_add_nc_u64_e32 v[12:13], v[12:13], v[16:17]
	v_mov_b64_e32 v[16:17], v[6:7]
	v_add_nc_u64_e32 v[10:11], v[10:11], v[14:15]
	s_delay_alu instid0(VALU_DEP_1) | instskip(NEXT) | instid1(VALU_DEP_1)
	v_max_i64 v[10:11], v[10:11], v[4:5]
	v_add_nc_u64_e32 v[20:21], v[12:13], v[10:11]
	s_delay_alu instid0(VALU_DEP_1) | instskip(NEXT) | instid1(VALU_DEP_1)
	v_dual_mov_b32 v11, 0 :: v_dual_bitop2_b32 v10, 48, v20 bitop3:0x40
	v_dual_mov_b32 v12, v11 :: v_dual_mov_b32 v13, v11
	s_delay_alu instid0(VALU_DEP_2)
	v_cmp_ne_u64_e32 vcc_lo, 48, v[10:11]
	v_mov_b32_e32 v10, v11
	s_and_saveexec_b32 s6, vcc_lo
	s_cbranch_execz .LBB82_19
; %bb.16:
	v_dual_lshrrev_b32 v3, 4, v20 :: v_dual_mov_b32 v13, 0
	v_mov_b64_e32 v[18:19], v[8:9]
	v_mov_b64_e32 v[16:17], v[6:7]
	v_lshl_add_u64 v[22:23], v[6:7], 2, s[8:9]
	s_delay_alu instid0(VALU_DEP_4) | instskip(SKIP_1) | instid1(VALU_DEP_1)
	v_dual_mov_b32 v10, v13 :: v_dual_add_nc_u32 v3, 1, v3
	s_mov_b32 s7, 0
	v_dual_mov_b32 v11, v13 :: v_dual_bitop2_b32 v12, 3, v3 bitop3:0x40
	s_delay_alu instid0(VALU_DEP_1)
	v_sub_nc_u64_e32 v[24:25], 0, v[12:13]
	v_mov_b32_e32 v12, v13
.LBB82_17:                              ; =>This Inner Loop Header: Depth=1
	global_load_b32 v3, v[22:23], off
	v_add_nc_u64_e32 v[24:25], 1, v[24:25]
	v_add_nc_u64_e32 v[16:17], 16, v[16:17]
	s_wait_xcnt 0x0
	v_add_nc_u64_e32 v[22:23], 64, v[22:23]
	s_delay_alu instid0(VALU_DEP_3)
	v_cmp_eq_u64_e32 vcc_lo, 0, v[24:25]
	s_or_b32 s7, vcc_lo, s7
	s_wait_loadcnt 0x0
	v_subrev_nc_u32_e32 v3, s16, v3
	global_load_b128 v[26:29], v[18:19], off
	s_wait_kmcnt 0x0
	global_load_b32 v37, v3, s[4:5] scale_offset
	s_wait_xcnt 0x1
	v_add_nc_u64_e32 v[18:19], 0x100, v[18:19]
	s_wait_loadcnt 0x1
	v_bfe_i32 v30, v26, 8, 8
	v_dual_ashrrev_i32 v35, 24, v27 :: v_dual_ashrrev_i32 v36, 24, v26
	s_wait_xcnt 0x0
	v_bfe_i32 v3, v26, 0, 8
	v_bfe_i32 v31, v27, 0, 8
	v_bfe_i32 v32, v27, 8, 8
	v_bfe_i32 v33, v27, 16, 8
	v_bfe_i32 v34, v26, 16, 8
	v_bfe_i32 v38, v28, 0, 8
	v_bfe_i32 v39, v28, 8, 8
	v_bfe_i32 v40, v29, 0, 8
	v_bfe_i32 v41, v29, 8, 8
	v_cvt_f32_i32_e32 v26, v30
	v_cvt_f32_i32_e32 v30, v36
	s_wait_loadcnt 0x0
	v_bfe_i32 v36, v37, 0, 8
	v_bfe_i32 v42, v29, 16, 8
	;; [unrolled: 1-line block ×3, first 2 shown]
	v_dual_ashrrev_i32 v44, 24, v29 :: v_dual_ashrrev_i32 v45, 24, v28
	v_cvt_f32_i32_e32 v3, v3
	v_cvt_f32_i32_e32 v46, v31
	;; [unrolled: 1-line block ×9, first 2 shown]
	v_bfe_i32 v39, v37, 8, 8
	v_cvt_f32_i32_e32 v41, v36
	v_bfe_i32 v40, v37, 16, 8
	v_cvt_f32_i32_e32 v31, v35
	v_cvt_f32_i32_e32 v35, v42
	;; [unrolled: 1-line block ×3, first 2 shown]
	v_dual_fmac_f32 v10, v3, v41 :: v_dual_fmac_f32 v11, v46, v41
	v_fmac_f32_e32 v12, v34, v41
	v_fmac_f32_e32 v13, v38, v41
	v_cvt_f32_i32_e32 v34, v43
	v_ashrrev_i32_e32 v3, 24, v37
	v_cvt_f32_i32_e32 v38, v40
	v_pk_fma_f32 v[10:11], v[26:27], v[36:37], v[10:11] op_sel_hi:[1,0,1]
	v_pk_fma_f32 v[12:13], v[32:33], v[36:37], v[12:13] op_sel_hi:[1,0,1]
	v_cvt_f32_i32_e32 v27, v44
	v_cvt_f32_i32_e32 v26, v45
	;; [unrolled: 1-line block ×3, first 2 shown]
	v_pk_fma_f32 v[10:11], v[28:29], v[38:39], v[10:11] op_sel_hi:[1,0,1]
	v_pk_fma_f32 v[12:13], v[34:35], v[38:39], v[12:13] op_sel_hi:[1,0,1]
	s_delay_alu instid0(VALU_DEP_2) | instskip(NEXT) | instid1(VALU_DEP_2)
	v_pk_fma_f32 v[10:11], v[30:31], v[32:33], v[10:11] op_sel_hi:[1,0,1]
	v_pk_fma_f32 v[12:13], v[26:27], v[32:33], v[12:13] op_sel_hi:[1,0,1]
	s_and_not1_b32 exec_lo, exec_lo, s7
	s_cbranch_execnz .LBB82_17
; %bb.18:
	s_or_b32 exec_lo, exec_lo, s7
.LBB82_19:
	s_delay_alu instid0(SALU_CYCLE_1) | instskip(NEXT) | instid1(SALU_CYCLE_1)
	s_or_b32 exec_lo, exec_lo, s6
	s_mov_b32 s6, exec_lo
	v_cmpx_lt_u64_e32 47, v[20:21]
	s_cbranch_execz .LBB82_23
; %bb.20:
	v_lshl_add_u64 v[20:21], v[16:17], 2, s[8:9]
	s_mov_b32 s7, 0
	s_delay_alu instid0(VALU_DEP_1)
	v_add_nc_u64_e32 v[20:21], 0x80, v[20:21]
.LBB82_21:                              ; =>This Inner Loop Header: Depth=1
	s_clause 0x3
	global_load_b32 v3, v[20:21], off offset:-128
	global_load_b32 v34, v[20:21], off offset:-64
	global_load_b32 v35, v[20:21], off
	global_load_b32 v36, v[20:21], off offset:64
	s_clause 0x2
	global_load_b128 v[22:25], v[18:19], off
	global_load_b128 v[26:29], v[18:19], off offset:256
	global_load_b128 v[30:33], v[18:19], off offset:512
	v_add_nc_u64_e32 v[16:17], 64, v[16:17]
	s_wait_xcnt 0x3
	v_add_nc_u64_e32 v[20:21], 0x100, v[20:21]
	s_delay_alu instid0(VALU_DEP_2)
	v_cmp_ge_i64_e32 vcc_lo, v[16:17], v[4:5]
	s_or_b32 s7, vcc_lo, s7
	s_wait_loadcnt 0x6
	v_subrev_nc_u32_e32 v3, s16, v3
	s_wait_loadcnt 0x5
	v_subrev_nc_u32_e32 v38, s16, v34
	s_wait_loadcnt 0x4
	v_subrev_nc_u32_e32 v39, s16, v35
	s_wait_loadcnt 0x3
	v_subrev_nc_u32_e32 v40, s16, v36
	s_wait_loadcnt 0x2
	v_bfe_i32 v41, v24, 0, 8
	s_wait_kmcnt 0x0
	s_clause 0x2
	global_load_b32 v69, v3, s[4:5] scale_offset
	global_load_b32 v71, v38, s[4:5] scale_offset
	;; [unrolled: 1-line block ×3, first 2 shown]
	global_load_b128 v[34:37], v[18:19], off offset:768
	global_load_b32 v73, v40, s[4:5] scale_offset
	s_wait_loadcnt 0x6
	v_bfe_i32 v51, v27, 8, 8
	v_bfe_i32 v67, v29, 0, 8
	s_wait_xcnt 0x4
	v_bfe_i32 v3, v22, 0, 8
	s_wait_xcnt 0x2
	v_bfe_i32 v39, v23, 0, 8
	v_bfe_i32 v43, v25, 0, 8
	;; [unrolled: 1-line block ×5, first 2 shown]
	s_wait_xcnt 0x0
	v_bfe_i32 v40, v23, 8, 8
	v_bfe_i32 v42, v24, 8, 8
	;; [unrolled: 1-line block ×5, first 2 shown]
	s_wait_loadcnt 0x5
	v_bfe_i32 v80, v32, 0, 8
	v_bfe_i32 v82, v32, 8, 8
	;; [unrolled: 1-line block ×3, first 2 shown]
	v_dual_ashrrev_i32 v85, 24, v33 :: v_dual_ashrrev_i32 v86, 24, v32
	v_cvt_f32_i32_e32 v3, v3
	v_cvt_f32_i32_e32 v103, v39
	;; [unrolled: 1-line block ×6, first 2 shown]
	v_bfe_i32 v45, v23, 16, 8
	v_bfe_i32 v46, v22, 16, 8
	v_dual_ashrrev_i32 v47, 24, v23 :: v_dual_ashrrev_i32 v48, 24, v22
	v_bfe_i32 v57, v31, 0, 8
	v_bfe_i32 v58, v30, 0, 8
	;; [unrolled: 1-line block ×6, first 2 shown]
	v_dual_ashrrev_i32 v63, 24, v31 :: v_dual_ashrrev_i32 v64, 24, v30
	v_bfe_i32 v30, v25, 16, 8
	v_bfe_i32 v31, v24, 16, 8
	v_dual_ashrrev_i32 v65, 24, v25 :: v_dual_ashrrev_i32 v66, 24, v24
	v_cvt_f32_i32_e32 v22, v38
	v_cvt_f32_i32_e32 v23, v40
	;; [unrolled: 1-line block ×4, first 2 shown]
	v_bfe_i32 v49, v27, 0, 8
	v_bfe_i32 v52, v26, 8, 8
	;; [unrolled: 1-line block ×3, first 2 shown]
	v_dual_ashrrev_i32 v55, 24, v27 :: v_dual_ashrrev_i32 v56, 24, v26
	v_bfe_i32 v74, v28, 8, 8
	v_bfe_i32 v75, v29, 16, 8
	;; [unrolled: 1-line block ×3, first 2 shown]
	v_dual_ashrrev_i32 v77, 24, v29 :: v_dual_ashrrev_i32 v78, 24, v28
	v_cvt_f32_i32_e32 v27, v45
	v_cvt_f32_i32_e32 v26, v46
	;; [unrolled: 1-line block ×4, first 2 shown]
	v_bfe_i32 v79, v33, 0, 8
	v_bfe_i32 v81, v33, 8, 8
	;; [unrolled: 1-line block ×3, first 2 shown]
	v_cvt_f32_i32_e32 v31, v47
	v_cvt_f32_i32_e32 v30, v48
	;; [unrolled: 1-line block ×26, first 2 shown]
	v_add_nc_u64_e32 v[18:19], 0x400, v[18:19]
	s_wait_loadcnt 0x4
	v_bfe_i32 v68, v69, 8, 8
	s_wait_loadcnt 0x1
	v_bfe_i32 v88, v35, 0, 8
	v_bfe_i32 v89, v35, 8, 8
	;; [unrolled: 1-line block ×3, first 2 shown]
	v_dual_ashrrev_i32 v93, 24, v35 :: v_dual_ashrrev_i32 v94, 24, v34
	v_cvt_f32_i32_e32 v35, v51
	v_cvt_f32_i32_e32 v51, v67
	v_bfe_i32 v67, v69, 0, 8
	v_bfe_i32 v96, v37, 0, 8
	;; [unrolled: 1-line block ×4, first 2 shown]
	v_dual_ashrrev_i32 v101, 24, v37 :: v_dual_ashrrev_i32 v102, 24, v36
	v_cvt_f32_i32_e32 v67, v67
	v_cvt_f32_i32_e32 v37, v53
	;; [unrolled: 1-line block ×3, first 2 shown]
	v_bfe_i32 v70, v69, 16, 8
	v_cvt_f32_i32_e32 v68, v68
	v_dual_fmac_f32 v10, v3, v67 :: v_dual_fmac_f32 v12, v104, v67
	v_dual_fmac_f32 v11, v103, v67 :: v_dual_fmac_f32 v13, v105, v67
	v_ashrrev_i32_e32 v3, 24, v69
	v_cvt_f32_i32_e32 v70, v70
	v_bfe_i32 v87, v34, 0, 8
	s_delay_alu instid0(VALU_DEP_4)
	v_pk_fma_f32 v[10:11], v[22:23], v[68:69], v[10:11] op_sel_hi:[1,0,1]
	v_pk_fma_f32 v[12:13], v[24:25], v[68:69], v[12:13] op_sel_hi:[1,0,1]
	v_bfe_i32 v25, v71, 0, 8
	v_cvt_f32_i32_e32 v24, v3
	v_bfe_i32 v3, v71, 8, 8
	v_pk_fma_f32 v[10:11], v[26:27], v[70:71], v[10:11] op_sel_hi:[1,0,1]
	v_pk_fma_f32 v[12:13], v[28:29], v[70:71], v[12:13] op_sel_hi:[1,0,1]
	v_cvt_f32_i32_e32 v26, v25
	v_bfe_i32 v27, v71, 16, 8
	v_bfe_i32 v90, v34, 8, 8
	v_pk_fma_f32 v[10:11], v[30:31], v[24:25], v[10:11] op_sel_hi:[1,0,1]
	v_pk_fma_f32 v[12:13], v[48:49], v[24:25], v[12:13] op_sel_hi:[1,0,1]
	v_bfe_i32 v92, v34, 16, 8
	v_cvt_f32_i32_e32 v34, v52
	v_cvt_f32_i32_e32 v52, v74
	;; [unrolled: 1-line block ×3, first 2 shown]
	v_pk_fma_f32 v[10:11], v[32:33], v[26:27], v[10:11] op_sel_hi:[1,0,1]
	v_pk_fma_f32 v[12:13], v[50:51], v[26:27], v[12:13] op_sel_hi:[1,0,1]
	v_bfe_i32 v95, v36, 0, 8
	v_bfe_i32 v98, v36, 8, 8
	;; [unrolled: 1-line block ×3, first 2 shown]
	v_cvt_f32_i32_e32 v36, v54
	v_cvt_f32_i32_e32 v54, v76
	v_ashrrev_i32_e32 v3, 24, v71
	v_cvt_f32_i32_e32 v26, v27
	v_pk_fma_f32 v[10:11], v[34:35], v[28:29], v[10:11] op_sel_hi:[1,0,1]
	v_pk_fma_f32 v[12:13], v[52:53], v[28:29], v[12:13] op_sel_hi:[1,0,1]
	v_cvt_f32_i32_e32 v27, v93
	v_bfe_i32 v29, v72, 0, 8
	v_cvt_f32_i32_e32 v28, v3
	v_bfe_i32 v3, v72, 8, 8
	v_bfe_i32 v31, v72, 16, 8
	v_pk_fma_f32 v[10:11], v[36:37], v[26:27], v[10:11] op_sel_hi:[1,0,1]
	v_pk_fma_f32 v[12:13], v[54:55], v[26:27], v[12:13] op_sel_hi:[1,0,1]
	v_cvt_f32_i32_e32 v30, v29
	v_cvt_f32_i32_e32 v32, v3
	v_ashrrev_i32_e32 v3, 24, v72
	v_pk_fma_f32 v[10:11], v[38:39], v[28:29], v[10:11] op_sel_hi:[1,0,1]
	v_pk_fma_f32 v[12:13], v[56:57], v[28:29], v[12:13] op_sel_hi:[1,0,1]
	v_cvt_f32_i32_e32 v66, v87
	v_cvt_f32_i32_e32 v67, v88
	v_cvt_f32_i32_e32 v28, v95
	v_pk_fma_f32 v[10:11], v[40:41], v[30:31], v[10:11] op_sel_hi:[1,0,1]
	v_pk_fma_f32 v[12:13], v[58:59], v[30:31], v[12:13] op_sel_hi:[1,0,1]
	v_cvt_f32_i32_e32 v30, v31
	v_cvt_f32_i32_e32 v31, v97
	;; [unrolled: 1-line block ×3, first 2 shown]
	v_pk_fma_f32 v[10:11], v[42:43], v[32:33], v[10:11] op_sel_hi:[1,0,1]
	v_pk_fma_f32 v[12:13], v[60:61], v[32:33], v[12:13] op_sel_hi:[1,0,1]
	s_wait_loadcnt 0x0
	v_bfe_i32 v33, v73, 0, 8
	v_cvt_f32_i32_e32 v32, v3
	v_bfe_i32 v3, v73, 8, 8
	v_pk_fma_f32 v[10:11], v[44:45], v[30:31], v[10:11] op_sel_hi:[1,0,1]
	v_pk_fma_f32 v[12:13], v[62:63], v[30:31], v[12:13] op_sel_hi:[1,0,1]
	v_cvt_f32_i32_e32 v34, v33
	v_bfe_i32 v35, v73, 16, 8
	v_cvt_f32_i32_e32 v23, v89
	v_pk_fma_f32 v[10:11], v[46:47], v[32:33], v[10:11] op_sel_hi:[1,0,1]
	v_pk_fma_f32 v[12:13], v[64:65], v[32:33], v[12:13] op_sel_hi:[1,0,1]
	v_cvt_f32_i32_e32 v22, v90
	v_cvt_f32_i32_e32 v30, v98
	;; [unrolled: 1-line block ×3, first 2 shown]
	v_pk_fma_f32 v[10:11], v[66:67], v[34:35], v[10:11] op_sel_hi:[1,0,1]
	v_pk_fma_f32 v[12:13], v[28:29], v[34:35], v[12:13] op_sel_hi:[1,0,1]
	v_cvt_f32_i32_e32 v25, v91
	v_cvt_f32_i32_e32 v24, v92
	;; [unrolled: 1-line block ×4, first 2 shown]
	v_ashrrev_i32_e32 v3, 24, v73
	v_cvt_f32_i32_e32 v28, v35
	v_pk_fma_f32 v[10:11], v[22:23], v[36:37], v[10:11] op_sel_hi:[1,0,1]
	v_pk_fma_f32 v[12:13], v[30:31], v[36:37], v[12:13] op_sel_hi:[1,0,1]
	v_cvt_f32_i32_e32 v26, v94
	v_cvt_f32_i32_e32 v23, v101
	;; [unrolled: 1-line block ×4, first 2 shown]
	v_pk_fma_f32 v[10:11], v[24:25], v[28:29], v[10:11] op_sel_hi:[1,0,1]
	v_pk_fma_f32 v[12:13], v[32:33], v[28:29], v[12:13] op_sel_hi:[1,0,1]
	s_delay_alu instid0(VALU_DEP_2) | instskip(NEXT) | instid1(VALU_DEP_2)
	v_pk_fma_f32 v[10:11], v[26:27], v[30:31], v[10:11] op_sel_hi:[1,0,1]
	v_pk_fma_f32 v[12:13], v[22:23], v[30:31], v[12:13] op_sel_hi:[1,0,1]
	s_and_not1_b32 exec_lo, exec_lo, s7
	s_cbranch_execnz .LBB82_21
; %bb.22:
	s_or_b32 exec_lo, exec_lo, s7
.LBB82_23:
	s_delay_alu instid0(SALU_CYCLE_1)
	s_or_b32 exec_lo, exec_lo, s6
.LBB82_24:
	s_delay_alu instid0(SALU_CYCLE_1)
	s_or_b32 exec_lo, exec_lo, s3
	s_cbranch_execz .LBB82_26
	s_branch .LBB82_37
.LBB82_25:
                                        ; implicit-def: $vgpr13
                                        ; implicit-def: $vgpr11
.LBB82_26:
	v_dual_mov_b32 v13, 0 :: v_dual_mov_b32 v12, 0
	v_dual_mov_b32 v11, 0 :: v_dual_mov_b32 v10, 0
	s_and_saveexec_b32 s3, s2
	s_cbranch_execz .LBB82_36
; %bb.27:
	v_dual_mov_b32 v11, v1 :: v_dual_bitop2_b32 v10, 16, v0 bitop3:0x54
	v_sub_nc_u64_e32 v[12:13], s[16:17], v[0:1]
	s_delay_alu instid0(VALU_DEP_2) | instskip(NEXT) | instid1(VALU_DEP_1)
	v_sub_nc_u64_e64 v[10:11], v[10:11], s[16:17]
	v_add_nc_u64_e32 v[10:11], v[10:11], v[14:15]
	v_not_b32_e32 v15, v15
	v_not_b32_e32 v14, v14
	s_delay_alu instid0(VALU_DEP_1) | instskip(NEXT) | instid1(VALU_DEP_4)
	v_add_nc_u64_e32 v[12:13], v[12:13], v[14:15]
	v_max_i64 v[10:11], v[10:11], v[4:5]
	s_delay_alu instid0(VALU_DEP_1) | instskip(SKIP_2) | instid1(VALU_DEP_2)
	v_add_nc_u64_e32 v[16:17], v[12:13], v[10:11]
	v_mov_b32_e32 v12, 0
	v_mov_b64_e32 v[10:11], 0
	v_dual_mov_b32 v15, v12 :: v_dual_bitop2_b32 v14, 48, v16 bitop3:0x40
	s_delay_alu instid0(VALU_DEP_1)
	v_cmp_ne_u64_e32 vcc_lo, 48, v[14:15]
	v_mov_b64_e32 v[14:15], 0
	s_and_saveexec_b32 s2, vcc_lo
	s_cbranch_execz .LBB82_31
; %bb.28:
	v_dual_lshrrev_b32 v1, 4, v16 :: v_dual_mov_b32 v11, v12
	v_lshl_add_u64 v[14:15], v[6:7], 2, s[8:9]
	s_mov_b32 s6, 0
	s_delay_alu instid0(VALU_DEP_2) | instskip(NEXT) | instid1(VALU_DEP_1)
	v_dual_mov_b32 v13, v12 :: v_dual_add_nc_u32 v1, 1, v1
	v_and_b32_e32 v10, 3, v1
	s_delay_alu instid0(VALU_DEP_1)
	v_sub_nc_u64_e32 v[18:19], 0, v[10:11]
	v_mov_b32_e32 v10, v12
.LBB82_29:                              ; =>This Inner Loop Header: Depth=1
	global_load_b32 v1, v[14:15], off
	v_add_nc_u64_e32 v[18:19], 1, v[18:19]
	v_add_nc_u64_e32 v[6:7], 16, v[6:7]
	s_wait_xcnt 0x0
	v_add_nc_u64_e32 v[14:15], 64, v[14:15]
	s_delay_alu instid0(VALU_DEP_3)
	v_cmp_eq_u64_e32 vcc_lo, 0, v[18:19]
	s_or_b32 s6, vcc_lo, s6
	s_wait_loadcnt 0x0
	v_subrev_nc_u32_e32 v1, s16, v1
	global_load_b128 v[20:23], v[8:9], off
	s_wait_kmcnt 0x0
	global_load_b32 v3, v1, s[4:5] scale_offset
	s_wait_xcnt 0x1
	v_add_nc_u64_e32 v[8:9], 0x100, v[8:9]
	s_wait_loadcnt 0x1
	s_wait_xcnt 0x0
	v_bfe_i32 v1, v20, 8, 8
	v_bfe_i32 v24, v20, 0, 8
	v_dual_ashrrev_i32 v25, 24, v20 :: v_dual_ashrrev_i32 v29, 24, v21
	v_bfe_i32 v26, v20, 16, 8
	v_bfe_i32 v27, v21, 8, 8
	;; [unrolled: 1-line block ×8, first 2 shown]
	v_dual_ashrrev_i32 v35, 24, v22 :: v_dual_ashrrev_i32 v37, 24, v23
	v_cvt_f32_i32_e32 v21, v1
	s_wait_loadcnt 0x0
	v_bfe_i32 v1, v3, 0, 8
	v_bfe_i32 v36, v22, 16, 8
	;; [unrolled: 1-line block ×3, first 2 shown]
	v_cvt_f32_i32_e32 v20, v24
	v_cvt_f32_i32_e32 v23, v25
	v_cvt_f32_i32_e32 v22, v26
	v_cvt_f32_i32_e32 v25, v27
	v_cvt_f32_i32_e32 v24, v28
	v_cvt_f32_i32_e32 v27, v29
	v_cvt_f32_i32_e32 v26, v30
	v_cvt_f32_i32_e32 v29, v31
	v_cvt_f32_i32_e32 v28, v32
	v_cvt_f32_i32_e32 v31, v33
	v_cvt_f32_i32_e32 v30, v34
	v_bfe_i32 v34, v3, 8, 8
	v_cvt_f32_i32_e32 v32, v1
	v_cvt_f32_i32_e32 v33, v35
	v_bfe_i32 v1, v3, 16, 8
	v_ashrrev_i32_e32 v3, 24, v3
	v_cvt_f32_i32_e32 v34, v34
	s_delay_alu instid0(VALU_DEP_4)
	v_pk_fma_f32 v[10:11], v[20:21], v[32:33], v[10:11] op_sel_hi:[1,0,1]
	v_pk_fma_f32 v[12:13], v[22:23], v[32:33], v[12:13] op_sel_hi:[1,0,1]
	v_cvt_f32_i32_e32 v32, v36
	v_cvt_f32_i32_e32 v20, v1
	;; [unrolled: 1-line block ×3, first 2 shown]
	v_pk_fma_f32 v[10:11], v[24:25], v[34:35], v[10:11] op_sel_hi:[1,0,1]
	v_pk_fma_f32 v[12:13], v[26:27], v[34:35], v[12:13] op_sel_hi:[1,0,1]
	v_cvt_f32_i32_e32 v22, v38
	v_cvt_f32_i32_e32 v24, v3
	s_delay_alu instid0(VALU_DEP_4) | instskip(NEXT) | instid1(VALU_DEP_4)
	v_pk_fma_f32 v[10:11], v[28:29], v[20:21], v[10:11] op_sel_hi:[1,0,1]
	v_pk_fma_f32 v[12:13], v[32:33], v[20:21], v[12:13] op_sel_hi:[1,0,1]
	s_delay_alu instid0(VALU_DEP_2) | instskip(NEXT) | instid1(VALU_DEP_2)
	v_pk_fma_f32 v[10:11], v[30:31], v[24:25], v[10:11] op_sel_hi:[1,0,1]
	v_pk_fma_f32 v[12:13], v[22:23], v[24:25], v[12:13] op_sel_hi:[1,0,1]
	s_and_not1_b32 exec_lo, exec_lo, s6
	s_cbranch_execnz .LBB82_29
; %bb.30:
	s_or_b32 exec_lo, exec_lo, s6
	s_delay_alu instid0(VALU_DEP_1)
	v_mov_b64_e32 v[14:15], v[12:13]
.LBB82_31:
	s_or_b32 exec_lo, exec_lo, s2
	s_delay_alu instid0(SALU_CYCLE_1)
	s_mov_b32 s2, exec_lo
	v_cmpx_lt_u64_e32 47, v[16:17]
	s_cbranch_execz .LBB82_35
; %bb.32:
	v_lshl_add_u64 v[12:13], v[6:7], 2, s[8:9]
	s_mov_b32 s6, 0
	s_delay_alu instid0(VALU_DEP_1)
	v_add_nc_u64_e32 v[12:13], 0x80, v[12:13]
.LBB82_33:                              ; =>This Inner Loop Header: Depth=1
	s_clause 0x3
	global_load_b32 v1, v[12:13], off offset:-128
	global_load_b32 v3, v[12:13], off offset:-64
	global_load_b32 v28, v[12:13], off
	global_load_b32 v29, v[12:13], off offset:64
	s_clause 0x2
	global_load_b128 v[16:19], v[8:9], off
	global_load_b128 v[20:23], v[8:9], off offset:256
	global_load_b128 v[24:27], v[8:9], off offset:512
	v_add_nc_u64_e32 v[6:7], 64, v[6:7]
	s_wait_xcnt 0x3
	v_add_nc_u64_e32 v[12:13], 0x100, v[12:13]
	s_delay_alu instid0(VALU_DEP_2)
	v_cmp_ge_i64_e32 vcc_lo, v[6:7], v[4:5]
	s_or_b32 s6, vcc_lo, s6
	s_wait_loadcnt 0x6
	v_subrev_nc_u32_e32 v1, s16, v1
	s_wait_loadcnt 0x5
	v_subrev_nc_u32_e32 v3, s16, v3
	;; [unrolled: 2-line block ×4, first 2 shown]
	s_wait_loadcnt 0x2
	v_bfe_i32 v34, v17, 8, 8
	s_wait_kmcnt 0x0
	s_clause 0x2
	global_load_b32 v60, v1, s[4:5] scale_offset
	global_load_b32 v61, v3, s[4:5] scale_offset
	global_load_b32 v62, v32, s[4:5] scale_offset
	global_load_b128 v[28:31], v[8:9], off offset:768
	global_load_b32 v63, v33, s[4:5] scale_offset
	s_wait_xcnt 0x4
	v_bfe_i32 v1, v16, 8, 8
	s_wait_xcnt 0x3
	v_bfe_i32 v3, v16, 0, 8
	s_wait_xcnt 0x2
	v_dual_ashrrev_i32 v32, 24, v16 :: v_dual_ashrrev_i32 v36, 24, v17
	v_bfe_i32 v35, v17, 0, 8
	v_bfe_i32 v37, v17, 16, 8
	v_cvt_f32_i32_e32 v17, v1
	s_wait_xcnt 0x0
	v_bfe_i32 v33, v16, 16, 8
	v_bfe_i32 v38, v18, 8, 8
	;; [unrolled: 1-line block ×5, first 2 shown]
	v_dual_ashrrev_i32 v55, 24, v18 :: v_dual_ashrrev_i32 v57, 24, v19
	v_bfe_i32 v56, v18, 16, 8
	v_bfe_i32 v19, v19, 16, 8
	v_cvt_f32_i32_e32 v16, v3
	s_wait_loadcnt 0x6
	v_bfe_i32 v42, v20, 8, 8
	v_bfe_i32 v43, v20, 0, 8
	;; [unrolled: 1-line block ×8, first 2 shown]
	s_wait_loadcnt 0x5
	v_bfe_i32 v54, v26, 8, 8
	v_dual_ashrrev_i32 v58, 24, v20 :: v_dual_ashrrev_i32 v64, 24, v21
	v_bfe_i32 v59, v20, 16, 8
	v_bfe_i32 v65, v21, 16, 8
	v_dual_ashrrev_i32 v66, 24, v22 :: v_dual_ashrrev_i32 v68, 24, v23
	v_bfe_i32 v67, v22, 16, 8
	v_bfe_i32 v69, v23, 16, 8
	;; [unrolled: 1-line block ×3, first 2 shown]
	v_dual_ashrrev_i32 v77, 24, v26 :: v_dual_ashrrev_i32 v79, 24, v27
	v_bfe_i32 v78, v26, 16, 8
	v_cvt_f32_i32_e32 v21, v38
	v_cvt_f32_i32_e32 v20, v39
	;; [unrolled: 1-line block ×5, first 2 shown]
	v_bfe_i32 v50, v24, 8, 8
	v_bfe_i32 v51, v24, 0, 8
	;; [unrolled: 1-line block ×6, first 2 shown]
	v_dual_ashrrev_i32 v73, 24, v24 :: v_dual_ashrrev_i32 v75, 24, v25
	v_bfe_i32 v74, v24, 16, 8
	v_bfe_i32 v76, v25, 16, 8
	;; [unrolled: 1-line block ×3, first 2 shown]
	v_cvt_f32_i32_e32 v25, v40
	v_cvt_f32_i32_e32 v24, v41
	;; [unrolled: 1-line block ×14, first 2 shown]
	v_add_nc_u64_e32 v[8:9], 0x400, v[8:9]
	s_wait_loadcnt 0x4
	v_bfe_i32 v1, v60, 0, 8
	s_wait_loadcnt 0x1
	v_dual_ashrrev_i32 v83, 24, v28 :: v_dual_ashrrev_i32 v89, 24, v29
	s_delay_alu instid0(VALU_DEP_2)
	v_cvt_f32_i32_e32 v18, v1
	v_bfe_i32 v81, v28, 8, 8
	v_bfe_i32 v82, v28, 0, 8
	;; [unrolled: 1-line block ×4, first 2 shown]
	v_pk_fma_f32 v[10:11], v[16:17], v[18:19], v[10:11] op_sel_hi:[1,0,1]
	v_cvt_f32_i32_e32 v17, v32
	v_cvt_f32_i32_e32 v16, v33
	v_bfe_i32 v86, v29, 0, 8
	v_bfe_i32 v1, v30, 8, 8
	;; [unrolled: 1-line block ×4, first 2 shown]
	v_pk_fma_f32 v[14:15], v[16:17], v[18:19], v[14:15] op_sel_hi:[1,0,1]
	v_bfe_i32 v18, v60, 8, 8
	v_cvt_f32_i32_e32 v17, v34
	v_cvt_f32_i32_e32 v16, v35
	;; [unrolled: 1-line block ×5, first 2 shown]
	v_bfe_i32 v64, v61, 0, 8
	v_bfe_i32 v88, v31, 0, 8
	;; [unrolled: 1-line block ×3, first 2 shown]
	v_dual_ashrrev_i32 v91, 24, v30 :: v_dual_ashrrev_i32 v93, 24, v31
	v_pk_fma_f32 v[10:11], v[16:17], v[18:19], v[10:11] op_sel_hi:[1,0,1]
	v_cvt_f32_i32_e32 v17, v36
	v_cvt_f32_i32_e32 v16, v37
	v_bfe_i32 v92, v30, 16, 8
	v_bfe_i32 v94, v31, 16, 8
	v_cvt_f32_i32_e32 v29, v42
	v_cvt_f32_i32_e32 v28, v43
	v_pk_fma_f32 v[14:15], v[16:17], v[18:19], v[14:15] op_sel_hi:[1,0,1]
	v_bfe_i32 v18, v60, 16, 8
	v_ashrrev_i32_e32 v60, 24, v60
	v_cvt_f32_i32_e32 v19, v83
	v_cvt_f32_i32_e32 v31, v58
	;; [unrolled: 1-line block ×8, first 2 shown]
	v_pk_fma_f32 v[10:11], v[20:21], v[18:19], v[10:11] op_sel_hi:[1,0,1]
	v_cvt_f32_i32_e32 v20, v60
	v_pk_fma_f32 v[14:15], v[22:23], v[18:19], v[14:15] op_sel_hi:[1,0,1]
	v_bfe_i32 v23, v61, 8, 8
	v_cvt_f32_i32_e32 v22, v64
	v_cvt_f32_i32_e32 v37, v48
	v_pk_fma_f32 v[10:11], v[24:25], v[20:21], v[10:11] op_sel_hi:[1,0,1]
	v_pk_fma_f32 v[14:15], v[26:27], v[20:21], v[14:15] op_sel_hi:[1,0,1]
	v_bfe_i32 v25, v61, 16, 8
	v_cvt_f32_i32_e32 v24, v23
	v_cvt_f32_i32_e32 v36, v49
	v_pk_fma_f32 v[10:11], v[28:29], v[22:23], v[10:11] op_sel_hi:[1,0,1]
	v_pk_fma_f32 v[14:15], v[30:31], v[22:23], v[14:15] op_sel_hi:[1,0,1]
	v_cvt_f32_i32_e32 v49, v66
	v_cvt_f32_i32_e32 v48, v67
	v_ashrrev_i32_e32 v26, 24, v61
	v_cvt_f32_i32_e32 v22, v25
	v_pk_fma_f32 v[10:11], v[32:33], v[24:25], v[10:11] op_sel_hi:[1,0,1]
	v_pk_fma_f32 v[14:15], v[46:47], v[24:25], v[14:15] op_sel_hi:[1,0,1]
	v_cvt_f32_i32_e32 v23, v1
	v_bfe_i32 v1, v62, 0, 8
	v_cvt_f32_i32_e32 v24, v26
	v_cvt_f32_i32_e32 v43, v54
	;; [unrolled: 1-line block ×3, first 2 shown]
	v_pk_fma_f32 v[10:11], v[34:35], v[22:23], v[10:11] op_sel_hi:[1,0,1]
	v_pk_fma_f32 v[14:15], v[48:49], v[22:23], v[14:15] op_sel_hi:[1,0,1]
	v_cvt_f32_i32_e32 v22, v3
	v_bfe_i32 v3, v62, 8, 8
	v_cvt_f32_i32_e32 v26, v1
	v_pk_fma_f32 v[10:11], v[36:37], v[24:25], v[10:11] op_sel_hi:[1,0,1]
	v_pk_fma_f32 v[14:15], v[50:51], v[24:25], v[14:15] op_sel_hi:[1,0,1]
	v_bfe_i32 v1, v62, 16, 8
	v_cvt_f32_i32_e32 v28, v3
	v_cvt_f32_i32_e32 v42, v70
	v_pk_fma_f32 v[10:11], v[38:39], v[26:27], v[10:11] op_sel_hi:[1,0,1]
	v_pk_fma_f32 v[14:15], v[52:53], v[26:27], v[14:15] op_sel_hi:[1,0,1]
	v_ashrrev_i32_e32 v3, 24, v62
	v_cvt_f32_i32_e32 v26, v1
	v_cvt_f32_i32_e32 v27, v89
	v_pk_fma_f32 v[10:11], v[40:41], v[28:29], v[10:11] op_sel_hi:[1,0,1]
	v_pk_fma_f32 v[14:15], v[54:55], v[28:29], v[14:15] op_sel_hi:[1,0,1]
	v_cvt_f32_i32_e32 v45, v71
	v_cvt_f32_i32_e32 v44, v72
	;; [unrolled: 1-line block ×4, first 2 shown]
	s_wait_loadcnt 0x0
	v_bfe_i32 v1, v63, 0, 8
	v_cvt_f32_i32_e32 v28, v3
	v_pk_fma_f32 v[10:11], v[42:43], v[26:27], v[10:11] op_sel_hi:[1,0,1]
	v_pk_fma_f32 v[14:15], v[56:57], v[26:27], v[14:15] op_sel_hi:[1,0,1]
	v_cvt_f32_i32_e32 v17, v81
	v_cvt_f32_i32_e32 v16, v82
	v_cvt_f32_i32_e32 v18, v84
	v_bfe_i32 v3, v63, 8, 8
	v_cvt_f32_i32_e32 v30, v1
	v_pk_fma_f32 v[10:11], v[44:45], v[28:29], v[10:11] op_sel_hi:[1,0,1]
	v_pk_fma_f32 v[14:15], v[58:59], v[28:29], v[14:15] op_sel_hi:[1,0,1]
	v_cvt_f32_i32_e32 v21, v85
	v_cvt_f32_i32_e32 v20, v86
	;; [unrolled: 1-line block ×3, first 2 shown]
	v_bfe_i32 v1, v63, 16, 8
	v_cvt_f32_i32_e32 v32, v3
	v_pk_fma_f32 v[10:11], v[16:17], v[30:31], v[10:11] op_sel_hi:[1,0,1]
	v_pk_fma_f32 v[14:15], v[18:19], v[30:31], v[14:15] op_sel_hi:[1,0,1]
	v_cvt_f32_i32_e32 v29, v91
	v_cvt_f32_i32_e32 v28, v92
	v_ashrrev_i32_e32 v3, 24, v63
	v_cvt_f32_i32_e32 v16, v1
	v_pk_fma_f32 v[10:11], v[20:21], v[32:33], v[10:11] op_sel_hi:[1,0,1]
	v_pk_fma_f32 v[14:15], v[26:27], v[32:33], v[14:15] op_sel_hi:[1,0,1]
	v_cvt_f32_i32_e32 v25, v87
	v_cvt_f32_i32_e32 v24, v88
	v_cvt_f32_i32_e32 v19, v93
	v_cvt_f32_i32_e32 v18, v94
	v_cvt_f32_i32_e32 v20, v3
	v_pk_fma_f32 v[10:11], v[22:23], v[16:17], v[10:11] op_sel_hi:[1,0,1]
	v_pk_fma_f32 v[14:15], v[28:29], v[16:17], v[14:15] op_sel_hi:[1,0,1]
	s_delay_alu instid0(VALU_DEP_2) | instskip(NEXT) | instid1(VALU_DEP_2)
	v_pk_fma_f32 v[10:11], v[24:25], v[20:21], v[10:11] op_sel_hi:[1,0,1]
	v_pk_fma_f32 v[14:15], v[18:19], v[20:21], v[14:15] op_sel_hi:[1,0,1]
	s_and_not1_b32 exec_lo, exec_lo, s6
	s_cbranch_execnz .LBB82_33
; %bb.34:
	s_or_b32 exec_lo, exec_lo, s6
	s_delay_alu instid0(VALU_DEP_1)
	v_dual_mov_b32 v13, v15 :: v_dual_mov_b32 v12, v14
.LBB82_35:
	s_or_b32 exec_lo, exec_lo, s2
.LBB82_36:
	s_delay_alu instid0(SALU_CYCLE_1)
	s_or_b32 exec_lo, exec_lo, s3
.LBB82_37:
	v_mbcnt_lo_u32_b32 v1, -1, 0
	s_mov_b32 s2, -1
	s_delay_alu instid0(VALU_DEP_1) | instskip(NEXT) | instid1(VALU_DEP_1)
	v_xor_b32_e32 v3, 8, v1
	v_cmp_gt_i32_e32 vcc_lo, 32, v3
	v_cndmask_b32_e32 v3, v1, v3, vcc_lo
	s_delay_alu instid0(VALU_DEP_1)
	v_lshlrev_b32_e32 v3, 2, v3
	ds_bpermute_b32 v4, v3, v10
	ds_bpermute_b32 v5, v3, v11
	;; [unrolled: 1-line block ×4, first 2 shown]
	v_xor_b32_e32 v3, 4, v1
	s_delay_alu instid0(VALU_DEP_1) | instskip(SKIP_1) | instid1(VALU_DEP_1)
	v_cmp_gt_i32_e32 vcc_lo, 32, v3
	v_cndmask_b32_e32 v3, v1, v3, vcc_lo
	v_lshlrev_b32_e32 v3, 2, v3
	s_wait_dscnt 0x2
	v_pk_add_f32 v[4:5], v[10:11], v[4:5]
	s_wait_dscnt 0x0
	v_pk_add_f32 v[6:7], v[12:13], v[6:7]
	ds_bpermute_b32 v8, v3, v4
	ds_bpermute_b32 v9, v3, v5
	;; [unrolled: 1-line block ×4, first 2 shown]
	v_xor_b32_e32 v3, 2, v1
	s_delay_alu instid0(VALU_DEP_1) | instskip(SKIP_1) | instid1(VALU_DEP_1)
	v_cmp_gt_i32_e32 vcc_lo, 32, v3
	v_cndmask_b32_e32 v3, v1, v3, vcc_lo
	v_lshlrev_b32_e32 v3, 2, v3
	s_wait_dscnt 0x2
	v_pk_add_f32 v[4:5], v[4:5], v[8:9]
	s_wait_dscnt 0x0
	v_pk_add_f32 v[6:7], v[6:7], v[10:11]
	ds_bpermute_b32 v8, v3, v4
	ds_bpermute_b32 v9, v3, v5
	;; [unrolled: 1-line block ×4, first 2 shown]
	v_xor_b32_e32 v3, 1, v1
	s_delay_alu instid0(VALU_DEP_1) | instskip(SKIP_2) | instid1(VALU_DEP_2)
	v_cmp_gt_i32_e32 vcc_lo, 32, v3
	v_cndmask_b32_e32 v1, v1, v3, vcc_lo
	v_cmp_eq_u32_e32 vcc_lo, 15, v0
	v_lshlrev_b32_e32 v1, 2, v1
	s_wait_dscnt 0x2
	v_pk_add_f32 v[4:5], v[4:5], v[8:9]
	s_wait_dscnt 0x0
	v_pk_add_f32 v[6:7], v[6:7], v[10:11]
	ds_bpermute_b32 v10, v1, v4
	ds_bpermute_b32 v11, v1, v5
	;; [unrolled: 1-line block ×4, first 2 shown]
	s_and_b32 exec_lo, exec_lo, vcc_lo
	s_cbranch_execz .LBB82_10
; %bb.38:
	s_load_b64 s[0:1], s[0:1], 0x50
	s_wait_dscnt 0x2
	v_pk_add_f32 v[4:5], v[4:5], v[10:11]
	s_wait_dscnt 0x0
	v_pk_add_f32 v[0:1], v[6:7], v[8:9]
	v_lshlrev_b32_e32 v2, 2, v2
	s_cmp_eq_f32 s14, 0
	s_cbranch_scc0 .LBB82_40
; %bb.39:
	s_delay_alu instid0(VALU_DEP_1)
	v_ashrrev_i32_e32 v3, 31, v2
	v_pk_mul_f32 v[6:7], s[12:13], v[4:5] op_sel_hi:[0,1]
	v_pk_mul_f32 v[8:9], s[12:13], v[0:1] op_sel_hi:[0,1]
	s_mov_b32 s2, 0
	s_wait_kmcnt 0x0
	v_lshl_add_u64 v[10:11], v[2:3], 2, s[0:1]
	global_store_b128 v[10:11], v[6:9], off
.LBB82_40:
	s_and_not1_b32 vcc_lo, exec_lo, s2
	s_cbranch_vccnz .LBB82_10
; %bb.41:
	v_ashrrev_i32_e32 v3, 31, v2
	s_wait_kmcnt 0x0
	s_delay_alu instid0(VALU_DEP_1)
	v_lshl_add_u64 v[10:11], v[2:3], 2, s[0:1]
	v_pk_mul_f32 v[2:3], s[12:13], v[4:5] op_sel_hi:[0,1]
	v_pk_mul_f32 v[4:5], s[12:13], v[0:1] op_sel_hi:[0,1]
	global_load_b128 v[6:9], v[10:11], off
	s_wait_loadcnt 0x0
	v_pk_fma_f32 v[0:1], s[14:15], v[6:7], v[2:3] op_sel_hi:[0,1,1]
	v_pk_fma_f32 v[2:3], s[14:15], v[8:9], v[4:5] op_sel_hi:[0,1,1]
	global_store_b128 v[10:11], v[0:3], off
	s_sendmsg sendmsg(MSG_DEALLOC_VGPRS)
	s_endpgm
	.section	.rodata,"a",@progbits
	.p2align	6, 0x0
	.amdhsa_kernel _ZN9rocsparseL18bsrxmvn_4x4_kernelILj128ELj16EfliaafEEvT3_20rocsparse_direction_NS_24const_host_device_scalarIT1_EES1_PKS1_PKT2_SA_S7_PKT4_PKT5_S5_PT6_21rocsparse_index_base_b
		.amdhsa_group_segment_fixed_size 0
		.amdhsa_private_segment_fixed_size 0
		.amdhsa_kernarg_size 96
		.amdhsa_user_sgpr_count 2
		.amdhsa_user_sgpr_dispatch_ptr 0
		.amdhsa_user_sgpr_queue_ptr 0
		.amdhsa_user_sgpr_kernarg_segment_ptr 1
		.amdhsa_user_sgpr_dispatch_id 0
		.amdhsa_user_sgpr_kernarg_preload_length 0
		.amdhsa_user_sgpr_kernarg_preload_offset 0
		.amdhsa_user_sgpr_private_segment_size 0
		.amdhsa_wavefront_size32 1
		.amdhsa_uses_dynamic_stack 0
		.amdhsa_enable_private_segment 0
		.amdhsa_system_sgpr_workgroup_id_x 1
		.amdhsa_system_sgpr_workgroup_id_y 0
		.amdhsa_system_sgpr_workgroup_id_z 0
		.amdhsa_system_sgpr_workgroup_info 0
		.amdhsa_system_vgpr_workitem_id 0
		.amdhsa_next_free_vgpr 106
		.amdhsa_next_free_sgpr 18
		.amdhsa_named_barrier_count 0
		.amdhsa_reserve_vcc 1
		.amdhsa_float_round_mode_32 0
		.amdhsa_float_round_mode_16_64 0
		.amdhsa_float_denorm_mode_32 3
		.amdhsa_float_denorm_mode_16_64 3
		.amdhsa_fp16_overflow 0
		.amdhsa_memory_ordered 1
		.amdhsa_forward_progress 1
		.amdhsa_inst_pref_size 42
		.amdhsa_round_robin_scheduling 0
		.amdhsa_exception_fp_ieee_invalid_op 0
		.amdhsa_exception_fp_denorm_src 0
		.amdhsa_exception_fp_ieee_div_zero 0
		.amdhsa_exception_fp_ieee_overflow 0
		.amdhsa_exception_fp_ieee_underflow 0
		.amdhsa_exception_fp_ieee_inexact 0
		.amdhsa_exception_int_div_zero 0
	.end_amdhsa_kernel
	.section	.text._ZN9rocsparseL18bsrxmvn_4x4_kernelILj128ELj16EfliaafEEvT3_20rocsparse_direction_NS_24const_host_device_scalarIT1_EES1_PKS1_PKT2_SA_S7_PKT4_PKT5_S5_PT6_21rocsparse_index_base_b,"axG",@progbits,_ZN9rocsparseL18bsrxmvn_4x4_kernelILj128ELj16EfliaafEEvT3_20rocsparse_direction_NS_24const_host_device_scalarIT1_EES1_PKS1_PKT2_SA_S7_PKT4_PKT5_S5_PT6_21rocsparse_index_base_b,comdat
.Lfunc_end82:
	.size	_ZN9rocsparseL18bsrxmvn_4x4_kernelILj128ELj16EfliaafEEvT3_20rocsparse_direction_NS_24const_host_device_scalarIT1_EES1_PKS1_PKT2_SA_S7_PKT4_PKT5_S5_PT6_21rocsparse_index_base_b, .Lfunc_end82-_ZN9rocsparseL18bsrxmvn_4x4_kernelILj128ELj16EfliaafEEvT3_20rocsparse_direction_NS_24const_host_device_scalarIT1_EES1_PKS1_PKT2_SA_S7_PKT4_PKT5_S5_PT6_21rocsparse_index_base_b
                                        ; -- End function
	.set _ZN9rocsparseL18bsrxmvn_4x4_kernelILj128ELj16EfliaafEEvT3_20rocsparse_direction_NS_24const_host_device_scalarIT1_EES1_PKS1_PKT2_SA_S7_PKT4_PKT5_S5_PT6_21rocsparse_index_base_b.num_vgpr, 106
	.set _ZN9rocsparseL18bsrxmvn_4x4_kernelILj128ELj16EfliaafEEvT3_20rocsparse_direction_NS_24const_host_device_scalarIT1_EES1_PKS1_PKT2_SA_S7_PKT4_PKT5_S5_PT6_21rocsparse_index_base_b.num_agpr, 0
	.set _ZN9rocsparseL18bsrxmvn_4x4_kernelILj128ELj16EfliaafEEvT3_20rocsparse_direction_NS_24const_host_device_scalarIT1_EES1_PKS1_PKT2_SA_S7_PKT4_PKT5_S5_PT6_21rocsparse_index_base_b.numbered_sgpr, 18
	.set _ZN9rocsparseL18bsrxmvn_4x4_kernelILj128ELj16EfliaafEEvT3_20rocsparse_direction_NS_24const_host_device_scalarIT1_EES1_PKS1_PKT2_SA_S7_PKT4_PKT5_S5_PT6_21rocsparse_index_base_b.num_named_barrier, 0
	.set _ZN9rocsparseL18bsrxmvn_4x4_kernelILj128ELj16EfliaafEEvT3_20rocsparse_direction_NS_24const_host_device_scalarIT1_EES1_PKS1_PKT2_SA_S7_PKT4_PKT5_S5_PT6_21rocsparse_index_base_b.private_seg_size, 0
	.set _ZN9rocsparseL18bsrxmvn_4x4_kernelILj128ELj16EfliaafEEvT3_20rocsparse_direction_NS_24const_host_device_scalarIT1_EES1_PKS1_PKT2_SA_S7_PKT4_PKT5_S5_PT6_21rocsparse_index_base_b.uses_vcc, 1
	.set _ZN9rocsparseL18bsrxmvn_4x4_kernelILj128ELj16EfliaafEEvT3_20rocsparse_direction_NS_24const_host_device_scalarIT1_EES1_PKS1_PKT2_SA_S7_PKT4_PKT5_S5_PT6_21rocsparse_index_base_b.uses_flat_scratch, 0
	.set _ZN9rocsparseL18bsrxmvn_4x4_kernelILj128ELj16EfliaafEEvT3_20rocsparse_direction_NS_24const_host_device_scalarIT1_EES1_PKS1_PKT2_SA_S7_PKT4_PKT5_S5_PT6_21rocsparse_index_base_b.has_dyn_sized_stack, 0
	.set _ZN9rocsparseL18bsrxmvn_4x4_kernelILj128ELj16EfliaafEEvT3_20rocsparse_direction_NS_24const_host_device_scalarIT1_EES1_PKS1_PKT2_SA_S7_PKT4_PKT5_S5_PT6_21rocsparse_index_base_b.has_recursion, 0
	.set _ZN9rocsparseL18bsrxmvn_4x4_kernelILj128ELj16EfliaafEEvT3_20rocsparse_direction_NS_24const_host_device_scalarIT1_EES1_PKS1_PKT2_SA_S7_PKT4_PKT5_S5_PT6_21rocsparse_index_base_b.has_indirect_call, 0
	.section	.AMDGPU.csdata,"",@progbits
; Kernel info:
; codeLenInByte = 5280
; TotalNumSgprs: 20
; NumVgprs: 106
; ScratchSize: 0
; MemoryBound: 0
; FloatMode: 240
; IeeeMode: 1
; LDSByteSize: 0 bytes/workgroup (compile time only)
; SGPRBlocks: 0
; VGPRBlocks: 6
; NumSGPRsForWavesPerEU: 20
; NumVGPRsForWavesPerEU: 106
; NamedBarCnt: 0
; Occupancy: 9
; WaveLimiterHint : 1
; COMPUTE_PGM_RSRC2:SCRATCH_EN: 0
; COMPUTE_PGM_RSRC2:USER_SGPR: 2
; COMPUTE_PGM_RSRC2:TRAP_HANDLER: 0
; COMPUTE_PGM_RSRC2:TGID_X_EN: 1
; COMPUTE_PGM_RSRC2:TGID_Y_EN: 0
; COMPUTE_PGM_RSRC2:TGID_Z_EN: 0
; COMPUTE_PGM_RSRC2:TIDIG_COMP_CNT: 0
	.section	.text._ZN9rocsparseL18bsrxmvn_4x4_kernelILj128ELj32EfliaafEEvT3_20rocsparse_direction_NS_24const_host_device_scalarIT1_EES1_PKS1_PKT2_SA_S7_PKT4_PKT5_S5_PT6_21rocsparse_index_base_b,"axG",@progbits,_ZN9rocsparseL18bsrxmvn_4x4_kernelILj128ELj32EfliaafEEvT3_20rocsparse_direction_NS_24const_host_device_scalarIT1_EES1_PKS1_PKT2_SA_S7_PKT4_PKT5_S5_PT6_21rocsparse_index_base_b,comdat
	.globl	_ZN9rocsparseL18bsrxmvn_4x4_kernelILj128ELj32EfliaafEEvT3_20rocsparse_direction_NS_24const_host_device_scalarIT1_EES1_PKS1_PKT2_SA_S7_PKT4_PKT5_S5_PT6_21rocsparse_index_base_b ; -- Begin function _ZN9rocsparseL18bsrxmvn_4x4_kernelILj128ELj32EfliaafEEvT3_20rocsparse_direction_NS_24const_host_device_scalarIT1_EES1_PKS1_PKT2_SA_S7_PKT4_PKT5_S5_PT6_21rocsparse_index_base_b
	.p2align	8
	.type	_ZN9rocsparseL18bsrxmvn_4x4_kernelILj128ELj32EfliaafEEvT3_20rocsparse_direction_NS_24const_host_device_scalarIT1_EES1_PKS1_PKT2_SA_S7_PKT4_PKT5_S5_PT6_21rocsparse_index_base_b,@function
_ZN9rocsparseL18bsrxmvn_4x4_kernelILj128ELj32EfliaafEEvT3_20rocsparse_direction_NS_24const_host_device_scalarIT1_EES1_PKS1_PKT2_SA_S7_PKT4_PKT5_S5_PT6_21rocsparse_index_base_b: ; @_ZN9rocsparseL18bsrxmvn_4x4_kernelILj128ELj32EfliaafEEvT3_20rocsparse_direction_NS_24const_host_device_scalarIT1_EES1_PKS1_PKT2_SA_S7_PKT4_PKT5_S5_PT6_21rocsparse_index_base_b
; %bb.0:
	s_clause 0x2
	s_load_b64 s[16:17], s[0:1], 0x58
	s_load_b64 s[12:13], s[0:1], 0x8
	;; [unrolled: 1-line block ×3, first 2 shown]
	s_wait_kmcnt 0x0
	s_bitcmp1_b32 s17, 0
	s_cselect_b32 s2, -1, 0
	s_delay_alu instid0(SALU_CYCLE_1)
	s_and_b32 vcc_lo, exec_lo, s2
	s_xor_b32 s2, s2, -1
	s_cbranch_vccnz .LBB83_2
; %bb.1:
	s_load_b32 s12, s[12:13], 0x0
.LBB83_2:
	s_and_not1_b32 vcc_lo, exec_lo, s2
	s_cbranch_vccnz .LBB83_4
; %bb.3:
	s_load_b32 s14, s[14:15], 0x0
.LBB83_4:
	s_wait_kmcnt 0x0
	s_cmp_neq_f32 s12, 0
	s_mov_b32 s6, 0
	s_cselect_b32 s2, -1, 0
	s_cmp_neq_f32 s14, 1.0
	s_cselect_b32 s3, -1, 0
	s_delay_alu instid0(SALU_CYCLE_1) | instskip(NEXT) | instid1(SALU_CYCLE_1)
	s_or_b32 s2, s2, s3
	s_and_not1_b32 vcc_lo, exec_lo, s2
	s_cbranch_vccnz .LBB83_10
; %bb.5:
	s_clause 0x1
	s_load_b64 s[4:5], s[0:1], 0x18
	s_load_b64 s[2:3], s[0:1], 0x0
	s_bfe_u32 s7, ttmp6, 0x4000c
	s_and_b32 s8, ttmp6, 15
	s_add_co_i32 s7, s7, 1
	s_getreg_b32 s9, hwreg(HW_REG_IB_STS2, 6, 4)
	s_mul_i32 s7, ttmp9, s7
	v_lshrrev_b32_e32 v1, 5, v0
	s_add_co_i32 s8, s8, s7
	s_cmp_eq_u32 s9, 0
	s_cselect_b32 s7, ttmp9, s8
	s_delay_alu instid0(VALU_DEP_1) | instid1(SALU_CYCLE_1)
	v_lshl_or_b32 v2, s7, 2, v1
	s_wait_kmcnt 0x0
	s_cmp_lg_u64 s[4:5], 0
	s_cbranch_scc0 .LBB83_11
; %bb.6:
	s_load_b32 s6, s[0:1], 0x10
	s_mov_b32 s7, 0
                                        ; implicit-def: $vgpr1
	s_wait_kmcnt 0x0
	v_cmp_gt_i32_e32 vcc_lo, s6, v2
	s_mov_b32 s6, 0
	s_and_saveexec_b32 s8, vcc_lo
	s_delay_alu instid0(SALU_CYCLE_1)
	s_xor_b32 s8, exec_lo, s8
	s_cbranch_execz .LBB83_8
; %bb.7:
	global_load_b32 v1, v2, s[4:5] scale_offset
	s_mov_b32 s6, exec_lo
	s_wait_loadcnt 0x0
	v_subrev_nc_u32_e32 v1, s16, v1
.LBB83_8:
	s_or_b32 exec_lo, exec_lo, s8
	s_delay_alu instid0(SALU_CYCLE_1)
	s_and_b32 vcc_lo, exec_lo, s7
	s_cbranch_vccz .LBB83_12
.LBB83_9:
	v_cmp_gt_i32_e32 vcc_lo, s2, v2
	s_and_not1_b32 s2, s6, exec_lo
	s_and_b32 s4, vcc_lo, exec_lo
	s_delay_alu instid0(SALU_CYCLE_1) | instskip(NEXT) | instid1(SALU_CYCLE_1)
	s_or_b32 s6, s2, s4
	s_and_saveexec_b32 s2, s6
	s_cbranch_execnz .LBB83_13
.LBB83_10:
	s_sendmsg sendmsg(MSG_DEALLOC_VGPRS)
	s_endpgm
.LBB83_11:
                                        ; implicit-def: $vgpr1
	s_cbranch_execnz .LBB83_9
.LBB83_12:
	s_delay_alu instid0(VALU_DEP_1)
	v_mov_b32_e32 v2, v1
	s_and_saveexec_b32 s2, s6
	s_cbranch_execz .LBB83_10
.LBB83_13:
	s_load_b256 s[4:11], s[0:1], 0x20
	s_mov_b32 s17, 0
	v_dual_mov_b32 v1, 0 :: v_dual_bitop2_b32 v0, 31, v0 bitop3:0x40
	s_wait_kmcnt 0x0
	s_cmp_eq_u64 s[6:7], 0
	global_load_b64 v[14:15], v2, s[4:5] scale_offset
	s_cselect_b32 vcc_lo, -1, 0
	v_ashrrev_i32_e32 v3, 31, v2
	s_cmp_eq_u32 s3, 1
	s_delay_alu instid0(VALU_DEP_1) | instskip(NEXT) | instid1(VALU_DEP_1)
	v_lshlrev_b64_e32 v[4:5], 3, v[2:3]
	v_add_nc_u64_e32 v[6:7], s[4:5], v[4:5]
	v_add_nc_u64_e32 v[4:5], s[6:7], v[4:5]
	s_wait_xcnt 0x0
	s_load_b64 s[4:5], s[0:1], 0x40
	s_delay_alu instid0(VALU_DEP_2) | instskip(NEXT) | instid1(VALU_DEP_1)
	v_add_nc_u64_e32 v[6:7], 8, v[6:7]
	v_dual_cndmask_b32 v5, v5, v7 :: v_dual_cndmask_b32 v4, v4, v6
	global_load_b64 v[4:5], v[4:5], off
	s_wait_loadcnt 0x1
	v_sub_nc_u64_e64 v[6:7], v[14:15], s[16:17]
	s_delay_alu instid0(VALU_DEP_1) | instskip(NEXT) | instid1(VALU_DEP_1)
	v_add_nc_u64_e32 v[6:7], v[6:7], v[0:1]
	v_lshl_add_u64 v[8:9], v[6:7], 4, s[10:11]
	s_wait_loadcnt 0x0
	v_sub_nc_u64_e64 v[4:5], v[4:5], s[16:17]
	s_delay_alu instid0(VALU_DEP_1)
	v_cmp_lt_i64_e64 s2, v[6:7], v[4:5]
	s_cbranch_scc1 .LBB83_25
; %bb.14:
	v_dual_mov_b32 v13, v1 :: v_dual_mov_b32 v12, v1
	v_dual_mov_b32 v11, v1 :: v_dual_mov_b32 v10, v1
	s_and_saveexec_b32 s3, s2
	s_cbranch_execz .LBB83_24
; %bb.15:
	v_dual_mov_b32 v11, v1 :: v_dual_bitop2_b32 v10, 32, v0 bitop3:0x54
	v_sub_nc_u64_e32 v[12:13], s[16:17], v[0:1]
	v_not_b32_e32 v17, v15
	v_not_b32_e32 v16, v14
	v_mov_b64_e32 v[18:19], v[8:9]
	v_sub_nc_u64_e64 v[10:11], v[10:11], s[16:17]
	s_delay_alu instid0(VALU_DEP_3) | instskip(SKIP_1) | instid1(VALU_DEP_3)
	v_add_nc_u64_e32 v[12:13], v[12:13], v[16:17]
	v_mov_b64_e32 v[16:17], v[6:7]
	v_add_nc_u64_e32 v[10:11], v[10:11], v[14:15]
	s_delay_alu instid0(VALU_DEP_1) | instskip(NEXT) | instid1(VALU_DEP_1)
	v_max_i64 v[10:11], v[10:11], v[4:5]
	v_add_nc_u64_e32 v[20:21], v[12:13], v[10:11]
	v_mov_b32_e32 v11, 0
	s_delay_alu instid0(VALU_DEP_1) | instskip(NEXT) | instid1(VALU_DEP_3)
	v_mov_b32_e32 v12, v11
	v_and_b32_e32 v10, 0x60, v20
	v_mov_b32_e32 v13, v11
	s_delay_alu instid0(VALU_DEP_2)
	v_cmp_ne_u64_e32 vcc_lo, 0x60, v[10:11]
	v_mov_b32_e32 v10, v11
	s_and_saveexec_b32 s6, vcc_lo
	s_cbranch_execz .LBB83_19
; %bb.16:
	v_dual_lshrrev_b32 v3, 5, v20 :: v_dual_mov_b32 v13, 0
	v_mov_b64_e32 v[18:19], v[8:9]
	v_mov_b64_e32 v[16:17], v[6:7]
	v_lshl_add_u64 v[22:23], v[6:7], 2, s[8:9]
	s_delay_alu instid0(VALU_DEP_4) | instskip(SKIP_1) | instid1(VALU_DEP_1)
	v_dual_mov_b32 v10, v13 :: v_dual_add_nc_u32 v3, 1, v3
	s_mov_b32 s7, 0
	v_dual_mov_b32 v11, v13 :: v_dual_bitop2_b32 v12, 3, v3 bitop3:0x40
	s_delay_alu instid0(VALU_DEP_1)
	v_sub_nc_u64_e32 v[24:25], 0, v[12:13]
	v_mov_b32_e32 v12, v13
.LBB83_17:                              ; =>This Inner Loop Header: Depth=1
	global_load_b32 v3, v[22:23], off
	v_add_nc_u64_e32 v[24:25], 1, v[24:25]
	v_add_nc_u64_e32 v[16:17], 32, v[16:17]
	s_wait_xcnt 0x0
	v_add_nc_u64_e32 v[22:23], 0x80, v[22:23]
	s_delay_alu instid0(VALU_DEP_3)
	v_cmp_eq_u64_e32 vcc_lo, 0, v[24:25]
	s_or_b32 s7, vcc_lo, s7
	s_wait_loadcnt 0x0
	v_subrev_nc_u32_e32 v3, s16, v3
	global_load_b128 v[26:29], v[18:19], off
	s_wait_kmcnt 0x0
	global_load_b32 v32, v3, s[4:5] scale_offset
	s_wait_xcnt 0x1
	v_add_nc_u64_e32 v[18:19], 0x200, v[18:19]
	s_wait_loadcnt 0x1
	v_dual_ashrrev_i32 v36, 24, v27 :: v_dual_ashrrev_i32 v37, 24, v26
	v_bfe_i32 v39, v28, 8, 8
	s_wait_xcnt 0x0
	v_bfe_i32 v3, v26, 0, 8
	v_bfe_i32 v30, v26, 8, 8
	v_bfe_i32 v33, v27, 0, 8
	v_bfe_i32 v35, v27, 16, 8
	v_bfe_i32 v38, v28, 0, 8
	v_bfe_i32 v40, v28, 16, 8
	v_bfe_i32 v41, v29, 0, 8
	v_bfe_i32 v42, v29, 8, 8
	v_bfe_i32 v43, v29, 16, 8
	v_dual_ashrrev_i32 v44, 24, v29 :: v_dual_ashrrev_i32 v45, 24, v28
	v_cvt_f32_i32_e32 v29, v36
	v_cvt_f32_i32_e32 v36, v39
	s_wait_loadcnt 0x0
	v_bfe_i32 v39, v32, 0, 8
	v_bfe_i32 v34, v27, 8, 8
	v_cvt_f32_i32_e32 v3, v3
	v_cvt_f32_i32_e32 v46, v30
	v_cvt_f32_i32_e32 v33, v33
	v_cvt_f32_i32_e32 v27, v35
	v_cvt_f32_i32_e32 v28, v37
	v_cvt_f32_i32_e32 v35, v38
	v_cvt_f32_i32_e32 v30, v40
	v_cvt_f32_i32_e32 v37, v41
	v_cvt_f32_i32_e32 v38, v42
	v_bfe_i32 v40, v32, 8, 8
	v_bfe_i32 v41, v32, 16, 8
	v_ashrrev_i32_e32 v42, 24, v32
	v_cvt_f32_i32_e32 v32, v39
	v_bfe_i32 v31, v26, 16, 8
	v_cvt_f32_i32_e32 v34, v34
	v_cvt_f32_i32_e32 v39, v40
	s_delay_alu instid0(VALU_DEP_4)
	v_dual_fmac_f32 v10, v3, v32 :: v_dual_fmac_f32 v11, v33, v32
	v_dual_fmac_f32 v12, v35, v32 :: v_dual_fmac_f32 v13, v37, v32
	v_cvt_f32_i32_e32 v26, v31
	v_cvt_f32_i32_e32 v31, v43
	;; [unrolled: 1-line block ×3, first 2 shown]
	v_fmac_f32_e32 v10, v46, v39
	v_dual_fmac_f32 v11, v34, v39 :: v_dual_fmac_f32 v12, v36, v39
	v_fmac_f32_e32 v13, v38, v39
	v_cvt_f32_i32_e32 v35, v44
	v_cvt_f32_i32_e32 v34, v45
	;; [unrolled: 1-line block ×3, first 2 shown]
	v_pk_fma_f32 v[10:11], v[26:27], v[32:33], v[10:11] op_sel_hi:[1,0,1]
	v_pk_fma_f32 v[12:13], v[30:31], v[32:33], v[12:13] op_sel_hi:[1,0,1]
	s_delay_alu instid0(VALU_DEP_2) | instskip(NEXT) | instid1(VALU_DEP_2)
	v_pk_fma_f32 v[10:11], v[28:29], v[36:37], v[10:11] op_sel_hi:[1,0,1]
	v_pk_fma_f32 v[12:13], v[34:35], v[36:37], v[12:13] op_sel_hi:[1,0,1]
	s_and_not1_b32 exec_lo, exec_lo, s7
	s_cbranch_execnz .LBB83_17
; %bb.18:
	s_or_b32 exec_lo, exec_lo, s7
.LBB83_19:
	s_delay_alu instid0(SALU_CYCLE_1) | instskip(NEXT) | instid1(SALU_CYCLE_1)
	s_or_b32 exec_lo, exec_lo, s6
	s_mov_b32 s6, exec_lo
	v_cmpx_lt_u64_e32 0x5f, v[20:21]
	s_cbranch_execz .LBB83_23
; %bb.20:
	v_lshl_add_u64 v[20:21], v[16:17], 2, s[8:9]
	s_mov_b32 s7, 0
	s_delay_alu instid0(VALU_DEP_1)
	v_add_nc_u64_e32 v[20:21], 0x100, v[20:21]
.LBB83_21:                              ; =>This Inner Loop Header: Depth=1
	s_clause 0x3
	global_load_b32 v3, v[20:21], off offset:-256
	global_load_b32 v34, v[20:21], off offset:-128
	global_load_b32 v35, v[20:21], off
	global_load_b32 v38, v[20:21], off offset:128
	s_clause 0x2
	global_load_b128 v[22:25], v[18:19], off
	global_load_b128 v[26:29], v[18:19], off offset:1536
	global_load_b128 v[30:33], v[18:19], off offset:512
	v_add_nc_u64_e32 v[16:17], 0x80, v[16:17]
	s_wait_xcnt 0x3
	v_add_nc_u64_e32 v[20:21], 0x200, v[20:21]
	s_delay_alu instid0(VALU_DEP_2)
	v_cmp_ge_i64_e32 vcc_lo, v[16:17], v[4:5]
	s_or_b32 s7, vcc_lo, s7
	s_wait_loadcnt 0x6
	v_subrev_nc_u32_e32 v3, s16, v3
	s_wait_loadcnt 0x5
	v_subrev_nc_u32_e32 v39, s16, v34
	;; [unrolled: 2-line block ×3, first 2 shown]
	s_wait_kmcnt 0x0
	s_clause 0x1
	global_load_b32 v41, v3, s[4:5] scale_offset
	global_load_b32 v53, v39, s[4:5] scale_offset
	global_load_b128 v[34:37], v[18:19], off offset:1024
	global_load_b32 v55, v40, s[4:5] scale_offset
	s_wait_loadcnt 0x7
	s_wait_xcnt 0x3
	v_subrev_nc_u32_e32 v3, s16, v38
	s_wait_loadcnt 0x6
	v_bfe_i32 v38, v22, 0, 8
	v_bfe_i32 v42, v23, 0, 8
	;; [unrolled: 1-line block ×4, first 2 shown]
	global_load_b32 v3, v3, s[4:5] scale_offset
	v_dual_ashrrev_i32 v52, 24, v23 :: v_dual_ashrrev_i32 v54, 24, v22
	s_wait_xcnt 0x3
	v_bfe_i32 v39, v22, 8, 8
	s_wait_xcnt 0x1
	v_bfe_i32 v40, v22, 16, 8
	s_wait_loadcnt 0x5
	v_bfe_i32 v63, v33, 0, 8
	v_bfe_i32 v65, v33, 8, 8
	;; [unrolled: 1-line block ×3, first 2 shown]
	v_dual_ashrrev_i32 v69, 24, v33 :: v_dual_ashrrev_i32 v70, 24, v32
	v_cvt_f32_i32_e32 v22, v38
	v_bfe_i32 v45, v24, 0, 8
	v_bfe_i32 v46, v24, 8, 8
	;; [unrolled: 1-line block ×6, first 2 shown]
	v_dual_ashrrev_i32 v25, 24, v25 :: v_dual_ashrrev_i32 v62, 24, v24
	v_cvt_f32_i32_e32 v24, v39
	v_bfe_i32 v56, v31, 0, 8
	v_bfe_i32 v57, v30, 0, 8
	;; [unrolled: 1-line block ×10, first 2 shown]
	v_dual_ashrrev_i32 v31, 24, v31 :: v_dual_ashrrev_i32 v30, 24, v30
	v_bfe_i32 v80, v28, 16, 8
	v_ashrrev_i32_e32 v82, 24, v28
	v_add_nc_u64_e32 v[18:19], 0x800, v[18:19]
	s_delay_alu instid0(VALU_DEP_4)
	v_cvt_f32_i32_e32 v31, v31
	v_cvt_f32_i32_e32 v30, v30
	v_ashrrev_i32_e32 v81, 24, v29
	s_wait_loadcnt 0x4
	v_bfe_i32 v23, v41, 0, 8
	v_bfe_i32 v33, v41, 8, 8
	s_wait_loadcnt 0x2
	v_ashrrev_i32_e32 v39, 24, v35
	v_bfe_i32 v38, v35, 8, 8
	v_bfe_i32 v32, v35, 0, 8
	v_cvt_f32_i32_e32 v23, v23
	v_cvt_f32_i32_e32 v33, v33
	v_bfe_i32 v71, v34, 0, 8
	v_bfe_i32 v72, v37, 0, 8
	;; [unrolled: 1-line block ×3, first 2 shown]
	v_fmac_f32_e32 v10, v22, v23
	v_cvt_f32_i32_e32 v22, v42
	v_bfe_i32 v42, v34, 8, 8
	v_bfe_i32 v75, v36, 8, 8
	;; [unrolled: 1-line block ×3, first 2 shown]
	v_dual_ashrrev_i32 v78, 24, v37 :: v_dual_ashrrev_i32 v79, 24, v36
	v_fmac_f32_e32 v11, v22, v23
	v_cvt_f32_i32_e32 v22, v45
	v_fmac_f32_e32 v10, v24, v33
	v_cvt_f32_i32_e32 v24, v43
	v_bfe_i32 v43, v27, 0, 8
	v_bfe_i32 v45, v35, 16, 8
	v_fmac_f32_e32 v12, v22, v23
	v_cvt_f32_i32_e32 v22, v48
	v_fmac_f32_e32 v11, v24, v33
	v_cvt_f32_i32_e32 v24, v46
	v_bfe_i32 v48, v34, 16, 8
	v_bfe_i32 v46, v27, 8, 8
	v_fmac_f32_e32 v13, v22, v23
	v_cvt_f32_i32_e32 v22, v40
	v_fmac_f32_e32 v12, v24, v33
	v_cvt_f32_i32_e32 v24, v49
	v_cvt_f32_i32_e32 v23, v44
	v_ashrrev_i32_e32 v40, 24, v34
	v_bfe_i32 v44, v26, 0, 8
	v_cvt_f32_i32_e32 v35, v38
	v_fmac_f32_e32 v13, v24, v33
	v_bfe_i32 v24, v41, 16, 8
	v_cvt_f32_i32_e32 v36, v48
	v_cvt_f32_i32_e32 v38, v40
	;; [unrolled: 1-line block ×5, first 2 shown]
	v_bfe_i32 v74, v37, 8, 8
	v_ashrrev_i32_e32 v49, 24, v27
	v_cvt_f32_i32_e32 v33, v32
	v_cvt_f32_i32_e32 v32, v71
	v_pk_fma_f32 v[10:11], v[22:23], v[24:25], v[10:11] op_sel_hi:[1,0,1]
	v_cvt_f32_i32_e32 v22, v47
	v_cvt_f32_i32_e32 v23, v50
	v_bfe_i32 v47, v26, 16, 8
	v_ashrrev_i32_e32 v50, 24, v26
	v_cvt_f32_i32_e32 v26, v61
	v_cvt_f32_i32_e32 v34, v42
	v_pk_fma_f32 v[12:13], v[22:23], v[24:25], v[12:13] op_sel_hi:[1,0,1]
	v_ashrrev_i32_e32 v24, 24, v41
	v_cvt_f32_i32_e32 v23, v52
	v_cvt_f32_i32_e32 v22, v54
	v_bfe_i32 v52, v28, 8, 8
	v_cvt_f32_i32_e32 v44, v47
	v_cvt_f32_i32_e32 v24, v24
	;; [unrolled: 1-line block ×6, first 2 shown]
	v_pk_fma_f32 v[10:11], v[22:23], v[24:25], v[10:11] op_sel_hi:[1,0,1]
	v_cvt_f32_i32_e32 v23, v25
	v_cvt_f32_i32_e32 v22, v62
	v_bfe_i32 v25, v27, 16, 8
	v_bfe_i32 v62, v28, 0, 8
	v_cvt_f32_i32_e32 v27, v60
	v_cvt_f32_i32_e32 v28, v68
	;; [unrolled: 1-line block ×3, first 2 shown]
	v_pk_fma_f32 v[12:13], v[22:23], v[24:25], v[12:13] op_sel_hi:[1,0,1]
	v_bfe_i32 v24, v53, 0, 8
	v_cvt_f32_i32_e32 v23, v56
	v_cvt_f32_i32_e32 v22, v57
	v_bfe_i32 v57, v29, 0, 8
	v_cvt_f32_i32_e32 v46, v50
	v_cvt_f32_i32_e32 v24, v24
	;; [unrolled: 1-line block ×4, first 2 shown]
	v_bfe_i32 v76, v37, 16, 8
	v_cvt_f32_i32_e32 v37, v45
	v_pk_fma_f32 v[10:11], v[22:23], v[24:25], v[10:11] op_sel_hi:[1,0,1]
	v_cvt_f32_i32_e32 v23, v63
	v_cvt_f32_i32_e32 v22, v64
	v_bfe_i32 v63, v29, 8, 8
	v_bfe_i32 v64, v29, 16, 8
	v_cvt_f32_i32_e32 v29, v67
	v_cvt_f32_i32_e32 v45, v25
	v_pk_fma_f32 v[12:13], v[22:23], v[24:25], v[12:13] op_sel_hi:[1,0,1]
	v_bfe_i32 v24, v53, 8, 8
	v_cvt_f32_i32_e32 v23, v58
	v_cvt_f32_i32_e32 v22, v59
	s_wait_loadcnt 0x1
	v_bfe_i32 v58, v55, 0, 8
	v_cvt_f32_i32_e32 v39, v39
	v_cvt_f32_i32_e32 v24, v24
	;; [unrolled: 1-line block ×3, first 2 shown]
	s_delay_alu instid0(VALU_DEP_2) | instskip(SKIP_2) | instid1(VALU_DEP_1)
	v_pk_fma_f32 v[10:11], v[22:23], v[24:25], v[10:11] op_sel_hi:[1,0,1]
	v_cvt_f32_i32_e32 v23, v65
	v_cvt_f32_i32_e32 v22, v66
	v_pk_fma_f32 v[12:13], v[22:23], v[24:25], v[12:13] op_sel_hi:[1,0,1]
	v_bfe_i32 v24, v53, 16, 8
	v_ashrrev_i32_e32 v53, 24, v53
	v_cvt_f32_i32_e32 v23, v74
	v_cvt_f32_i32_e32 v22, v75
	;; [unrolled: 1-line block ×7, first 2 shown]
	s_delay_alu instid0(VALU_DEP_4)
	v_pk_fma_f32 v[10:11], v[26:27], v[54:55], v[10:11] op_sel_hi:[1,0,1]
	v_pk_fma_f32 v[12:13], v[28:29], v[54:55], v[12:13] op_sel_hi:[1,0,1]
	v_bfe_i32 v29, v55, 8, 8
	v_cvt_f32_i32_e32 v28, v58
	v_cvt_f32_i32_e32 v27, v78
	v_pk_fma_f32 v[10:11], v[30:31], v[56:57], v[10:11] op_sel_hi:[1,0,1]
	v_pk_fma_f32 v[12:13], v[48:49], v[56:57], v[12:13] op_sel_hi:[1,0,1]
	v_bfe_i32 v31, v55, 16, 8
	v_cvt_f32_i32_e32 v30, v29
	v_cvt_f32_i32_e32 v26, v79
	v_pk_fma_f32 v[10:11], v[32:33], v[28:29], v[10:11] op_sel_hi:[1,0,1]
	v_pk_fma_f32 v[12:13], v[50:51], v[28:29], v[12:13] op_sel_hi:[1,0,1]
	v_ashrrev_i32_e32 v33, 24, v55
	v_cvt_f32_i32_e32 v32, v31
	v_cvt_f32_i32_e32 v29, v57
	v_pk_fma_f32 v[10:11], v[34:35], v[30:31], v[10:11] op_sel_hi:[1,0,1]
	v_pk_fma_f32 v[12:13], v[22:23], v[30:31], v[12:13] op_sel_hi:[1,0,1]
	s_wait_loadcnt 0x0
	v_bfe_i32 v23, v3, 0, 8
	v_cvt_f32_i32_e32 v22, v33
	v_cvt_f32_i32_e32 v28, v62
	v_pk_fma_f32 v[10:11], v[36:37], v[32:33], v[10:11] op_sel_hi:[1,0,1]
	v_pk_fma_f32 v[12:13], v[24:25], v[32:33], v[12:13] op_sel_hi:[1,0,1]
	v_bfe_i32 v25, v3, 8, 8
	v_cvt_f32_i32_e32 v24, v23
	s_delay_alu instid0(VALU_DEP_4) | instskip(NEXT) | instid1(VALU_DEP_4)
	v_pk_fma_f32 v[10:11], v[38:39], v[22:23], v[10:11] op_sel_hi:[1,0,1]
	v_pk_fma_f32 v[12:13], v[26:27], v[22:23], v[12:13] op_sel_hi:[1,0,1]
	v_bfe_i32 v27, v3, 16, 8
	v_cvt_f32_i32_e32 v26, v25
	v_cvt_f32_i32_e32 v23, v64
	v_pk_fma_f32 v[10:11], v[40:41], v[24:25], v[10:11] op_sel_hi:[1,0,1]
	v_pk_fma_f32 v[12:13], v[28:29], v[24:25], v[12:13] op_sel_hi:[1,0,1]
	v_cvt_f32_i32_e32 v22, v80
	v_ashrrev_i32_e32 v3, 24, v3
	v_cvt_f32_i32_e32 v24, v27
	v_pk_fma_f32 v[10:11], v[42:43], v[26:27], v[10:11] op_sel_hi:[1,0,1]
	v_pk_fma_f32 v[12:13], v[52:53], v[26:27], v[12:13] op_sel_hi:[1,0,1]
	v_cvt_f32_i32_e32 v27, v81
	v_cvt_f32_i32_e32 v26, v82
	;; [unrolled: 1-line block ×3, first 2 shown]
	v_pk_fma_f32 v[10:11], v[44:45], v[24:25], v[10:11] op_sel_hi:[1,0,1]
	v_pk_fma_f32 v[12:13], v[22:23], v[24:25], v[12:13] op_sel_hi:[1,0,1]
	s_delay_alu instid0(VALU_DEP_2) | instskip(NEXT) | instid1(VALU_DEP_2)
	v_pk_fma_f32 v[10:11], v[46:47], v[28:29], v[10:11] op_sel_hi:[1,0,1]
	v_pk_fma_f32 v[12:13], v[26:27], v[28:29], v[12:13] op_sel_hi:[1,0,1]
	s_and_not1_b32 exec_lo, exec_lo, s7
	s_cbranch_execnz .LBB83_21
; %bb.22:
	s_or_b32 exec_lo, exec_lo, s7
.LBB83_23:
	s_delay_alu instid0(SALU_CYCLE_1)
	s_or_b32 exec_lo, exec_lo, s6
.LBB83_24:
	s_delay_alu instid0(SALU_CYCLE_1)
	s_or_b32 exec_lo, exec_lo, s3
	s_cbranch_execz .LBB83_26
	s_branch .LBB83_37
.LBB83_25:
                                        ; implicit-def: $vgpr13
                                        ; implicit-def: $vgpr11
.LBB83_26:
	v_dual_mov_b32 v13, 0 :: v_dual_mov_b32 v12, 0
	v_dual_mov_b32 v11, 0 :: v_dual_mov_b32 v10, 0
	s_and_saveexec_b32 s3, s2
	s_cbranch_execz .LBB83_36
; %bb.27:
	v_dual_mov_b32 v11, v1 :: v_dual_bitop2_b32 v10, 32, v0 bitop3:0x54
	v_sub_nc_u64_e32 v[12:13], s[16:17], v[0:1]
	s_delay_alu instid0(VALU_DEP_2) | instskip(NEXT) | instid1(VALU_DEP_1)
	v_sub_nc_u64_e64 v[10:11], v[10:11], s[16:17]
	v_add_nc_u64_e32 v[10:11], v[10:11], v[14:15]
	v_not_b32_e32 v15, v15
	v_not_b32_e32 v14, v14
	s_delay_alu instid0(VALU_DEP_1) | instskip(NEXT) | instid1(VALU_DEP_4)
	v_add_nc_u64_e32 v[12:13], v[12:13], v[14:15]
	v_max_i64 v[10:11], v[10:11], v[4:5]
	s_delay_alu instid0(VALU_DEP_1) | instskip(SKIP_2) | instid1(VALU_DEP_2)
	v_add_nc_u64_e32 v[16:17], v[12:13], v[10:11]
	v_mov_b32_e32 v12, 0
	v_mov_b64_e32 v[10:11], 0
	v_mov_b32_e32 v15, v12
	s_delay_alu instid0(VALU_DEP_4) | instskip(NEXT) | instid1(VALU_DEP_1)
	v_and_b32_e32 v14, 0x60, v16
	v_cmp_ne_u64_e32 vcc_lo, 0x60, v[14:15]
	v_mov_b64_e32 v[14:15], 0
	s_and_saveexec_b32 s2, vcc_lo
	s_cbranch_execz .LBB83_31
; %bb.28:
	v_dual_lshrrev_b32 v1, 5, v16 :: v_dual_mov_b32 v11, v12
	v_lshl_add_u64 v[14:15], v[6:7], 2, s[8:9]
	s_mov_b32 s6, 0
	s_delay_alu instid0(VALU_DEP_2) | instskip(NEXT) | instid1(VALU_DEP_1)
	v_dual_mov_b32 v13, v12 :: v_dual_add_nc_u32 v1, 1, v1
	v_and_b32_e32 v10, 3, v1
	s_delay_alu instid0(VALU_DEP_1)
	v_sub_nc_u64_e32 v[18:19], 0, v[10:11]
	v_mov_b32_e32 v10, v12
.LBB83_29:                              ; =>This Inner Loop Header: Depth=1
	global_load_b32 v1, v[14:15], off
	v_add_nc_u64_e32 v[18:19], 1, v[18:19]
	v_add_nc_u64_e32 v[6:7], 32, v[6:7]
	s_wait_xcnt 0x0
	v_add_nc_u64_e32 v[14:15], 0x80, v[14:15]
	s_delay_alu instid0(VALU_DEP_3)
	v_cmp_eq_u64_e32 vcc_lo, 0, v[18:19]
	s_or_b32 s6, vcc_lo, s6
	s_wait_loadcnt 0x0
	v_subrev_nc_u32_e32 v1, s16, v1
	global_load_b128 v[20:23], v[8:9], off
	s_wait_kmcnt 0x0
	global_load_b32 v3, v1, s[4:5] scale_offset
	s_wait_xcnt 0x1
	v_add_nc_u64_e32 v[8:9], 0x200, v[8:9]
	s_wait_loadcnt 0x1
	s_wait_xcnt 0x0
	v_bfe_i32 v1, v20, 8, 8
	v_bfe_i32 v24, v20, 0, 8
	;; [unrolled: 1-line block ×4, first 2 shown]
	v_dual_ashrrev_i32 v27, 24, v20 :: v_dual_ashrrev_i32 v29, 24, v21
	v_bfe_i32 v28, v20, 16, 8
	v_bfe_i32 v30, v21, 16, 8
	;; [unrolled: 1-line block ×4, first 2 shown]
	v_dual_ashrrev_i32 v33, 24, v22 :: v_dual_ashrrev_i32 v37, 24, v23
	v_bfe_i32 v34, v22, 16, 8
	v_bfe_i32 v35, v23, 8, 8
	v_cvt_f32_i32_e32 v21, v1
	s_wait_loadcnt 0x0
	v_bfe_i32 v1, v3, 0, 8
	v_bfe_i32 v36, v23, 0, 8
	;; [unrolled: 1-line block ×3, first 2 shown]
	v_cvt_f32_i32_e32 v20, v24
	v_cvt_f32_i32_e32 v23, v25
	;; [unrolled: 1-line block ×11, first 2 shown]
	v_bfe_i32 v34, v3, 8, 8
	v_cvt_f32_i32_e32 v32, v1
	v_cvt_f32_i32_e32 v33, v35
	v_bfe_i32 v1, v3, 16, 8
	v_ashrrev_i32_e32 v3, 24, v3
	v_cvt_f32_i32_e32 v34, v34
	s_delay_alu instid0(VALU_DEP_4)
	v_pk_fma_f32 v[10:11], v[20:21], v[32:33], v[10:11] op_sel_hi:[1,0,1]
	v_pk_fma_f32 v[12:13], v[24:25], v[32:33], v[12:13] op_sel_hi:[1,0,1]
	v_cvt_f32_i32_e32 v20, v1
	v_cvt_f32_i32_e32 v32, v36
	;; [unrolled: 1-line block ×3, first 2 shown]
	v_pk_fma_f32 v[10:11], v[22:23], v[34:35], v[10:11] op_sel_hi:[1,0,1]
	v_pk_fma_f32 v[12:13], v[26:27], v[34:35], v[12:13] op_sel_hi:[1,0,1]
	v_cvt_f32_i32_e32 v23, v37
	v_cvt_f32_i32_e32 v22, v38
	s_delay_alu instid0(VALU_DEP_4) | instskip(NEXT) | instid1(VALU_DEP_4)
	v_pk_fma_f32 v[10:11], v[28:29], v[20:21], v[10:11] op_sel_hi:[1,0,1]
	v_pk_fma_f32 v[12:13], v[30:31], v[20:21], v[12:13] op_sel_hi:[1,0,1]
	s_delay_alu instid0(VALU_DEP_2) | instskip(NEXT) | instid1(VALU_DEP_2)
	v_pk_fma_f32 v[10:11], v[32:33], v[24:25], v[10:11] op_sel_hi:[1,0,1]
	v_pk_fma_f32 v[12:13], v[22:23], v[24:25], v[12:13] op_sel_hi:[1,0,1]
	s_and_not1_b32 exec_lo, exec_lo, s6
	s_cbranch_execnz .LBB83_29
; %bb.30:
	s_or_b32 exec_lo, exec_lo, s6
	s_delay_alu instid0(VALU_DEP_1)
	v_mov_b64_e32 v[14:15], v[12:13]
.LBB83_31:
	s_or_b32 exec_lo, exec_lo, s2
	s_delay_alu instid0(SALU_CYCLE_1)
	s_mov_b32 s2, exec_lo
	v_cmpx_lt_u64_e32 0x5f, v[16:17]
	s_cbranch_execz .LBB83_35
; %bb.32:
	v_lshl_add_u64 v[12:13], v[6:7], 2, s[8:9]
	s_mov_b32 s6, 0
	s_delay_alu instid0(VALU_DEP_1)
	v_add_nc_u64_e32 v[12:13], 0x100, v[12:13]
.LBB83_33:                              ; =>This Inner Loop Header: Depth=1
	s_clause 0x3
	global_load_b32 v1, v[12:13], off offset:-256
	global_load_b32 v3, v[12:13], off offset:-128
	global_load_b32 v28, v[12:13], off
	global_load_b32 v29, v[12:13], off offset:128
	s_clause 0x2
	global_load_b128 v[16:19], v[8:9], off
	global_load_b128 v[20:23], v[8:9], off offset:512
	global_load_b128 v[24:27], v[8:9], off offset:1024
	v_add_nc_u64_e32 v[6:7], 0x80, v[6:7]
	s_wait_xcnt 0x3
	v_add_nc_u64_e32 v[12:13], 0x200, v[12:13]
	s_delay_alu instid0(VALU_DEP_2)
	v_cmp_ge_i64_e32 vcc_lo, v[6:7], v[4:5]
	s_or_b32 s6, vcc_lo, s6
	s_wait_loadcnt 0x6
	v_subrev_nc_u32_e32 v1, s16, v1
	s_wait_loadcnt 0x5
	v_subrev_nc_u32_e32 v3, s16, v3
	;; [unrolled: 2-line block ×4, first 2 shown]
	s_wait_loadcnt 0x2
	v_dual_ashrrev_i32 v35, 24, v16 :: v_dual_ashrrev_i32 v37, 24, v17
	s_wait_kmcnt 0x0
	s_clause 0x2
	global_load_b32 v34, v1, s[4:5] scale_offset
	global_load_b32 v50, v3, s[4:5] scale_offset
	;; [unrolled: 1-line block ×3, first 2 shown]
	global_load_b128 v[28:31], v[8:9], off offset:1536
	global_load_b32 v52, v33, s[4:5] scale_offset
	s_wait_xcnt 0x4
	v_bfe_i32 v1, v16, 8, 8
	s_wait_xcnt 0x3
	v_bfe_i32 v3, v16, 0, 8
	;; [unrolled: 2-line block ×4, first 2 shown]
	v_bfe_i32 v38, v17, 16, 8
	v_cvt_f32_i32_e32 v17, v1
	v_bfe_i32 v36, v16, 16, 8
	v_bfe_i32 v39, v18, 8, 8
	;; [unrolled: 1-line block ×3, first 2 shown]
	v_dual_ashrrev_i32 v41, 24, v18 :: v_dual_ashrrev_i32 v61, 24, v19
	v_bfe_i32 v42, v18, 16, 8
	v_cvt_f32_i32_e32 v16, v3
	v_bfe_i32 v43, v19, 8, 8
	v_bfe_i32 v44, v19, 0, 8
	s_wait_loadcnt 0x6
	v_bfe_i32 v45, v20, 8, 8
	v_bfe_i32 v46, v20, 0, 8
	v_ashrrev_i32_e32 v62, 24, v20
	v_bfe_i32 v20, v20, 16, 8
	v_bfe_i32 v47, v21, 8, 8
	;; [unrolled: 1-line block ×5, first 2 shown]
	s_wait_loadcnt 0x5
	v_bfe_i32 v3, v26, 0, 8
	v_bfe_i32 v63, v22, 16, 8
	v_dual_ashrrev_i32 v67, 24, v26 :: v_dual_ashrrev_i32 v69, 24, v27
	v_bfe_i32 v70, v27, 16, 8
	v_bfe_i32 v54, v23, 8, 8
	;; [unrolled: 1-line block ×7, first 2 shown]
	v_ashrrev_i32_e32 v66, 24, v24
	v_bfe_i32 v58, v25, 8, 8
	v_bfe_i32 v59, v25, 0, 8
	v_add_nc_u64_e32 v[8:9], 0x800, v[8:9]
	v_ashrrev_i32_e32 v64, 24, v23
	v_cvt_f32_i32_e32 v23, v56
	s_wait_loadcnt 0x4
	v_bfe_i32 v1, v34, 0, 8
	s_wait_loadcnt 0x1
	v_dual_ashrrev_i32 v71, 24, v28 :: v_dual_ashrrev_i32 v73, 24, v29
	v_ashrrev_i32_e32 v78, 24, v30
	s_delay_alu instid0(VALU_DEP_3)
	v_cvt_f32_i32_e32 v18, v1
	v_bfe_i32 v1, v26, 8, 8
	v_bfe_i32 v75, v30, 0, 8
	;; [unrolled: 1-line block ×4, first 2 shown]
	v_pk_fma_f32 v[10:11], v[16:17], v[18:19], v[10:11] op_sel_hi:[1,0,1]
	v_cvt_f32_i32_e32 v17, v35
	v_cvt_f32_i32_e32 v16, v36
	v_bfe_i32 v35, v27, 8, 8
	v_bfe_i32 v36, v27, 0, 8
	v_cvt_f32_i32_e32 v27, v1
	v_bfe_i32 v1, v50, 16, 8
	v_pk_fma_f32 v[14:15], v[16:17], v[18:19], v[14:15] op_sel_hi:[1,0,1]
	v_bfe_i32 v18, v34, 8, 8
	v_bfe_i32 v19, v19, 16, 8
	v_cvt_f32_i32_e32 v17, v32
	v_cvt_f32_i32_e32 v16, v33
	v_ashrrev_i32_e32 v32, 24, v21
	v_cvt_f32_i32_e32 v18, v18
	v_bfe_i32 v33, v28, 0, 8
	v_ashrrev_i32_e32 v80, 24, v31
	v_cvt_f32_i32_e32 v26, v3
	v_ashrrev_i32_e32 v3, 24, v50
	v_pk_fma_f32 v[10:11], v[16:17], v[18:19], v[10:11] op_sel_hi:[1,0,1]
	v_cvt_f32_i32_e32 v17, v37
	v_cvt_f32_i32_e32 v16, v38
	v_bfe_i32 v37, v21, 16, 8
	v_ashrrev_i32_e32 v38, 24, v22
	v_bfe_i32 v60, v28, 8, 8
	v_bfe_i32 v72, v28, 16, 8
	v_pk_fma_f32 v[14:15], v[16:17], v[18:19], v[14:15] op_sel_hi:[1,0,1]
	v_bfe_i32 v18, v34, 16, 8
	v_cvt_f32_i32_e32 v17, v39
	v_cvt_f32_i32_e32 v16, v40
	v_bfe_i32 v40, v24, 16, 8
	v_cvt_f32_i32_e32 v21, v54
	v_cvt_f32_i32_e32 v18, v18
	;; [unrolled: 1-line block ×6, first 2 shown]
	v_pk_fma_f32 v[10:11], v[16:17], v[18:19], v[10:11] op_sel_hi:[1,0,1]
	v_cvt_f32_i32_e32 v17, v41
	v_cvt_f32_i32_e32 v16, v42
	v_ashrrev_i32_e32 v41, 24, v25
	v_bfe_i32 v42, v25, 16, 8
	v_cvt_f32_i32_e32 v39, v66
	v_cvt_f32_i32_e32 v25, v58
	v_pk_fma_f32 v[14:15], v[16:17], v[18:19], v[14:15] op_sel_hi:[1,0,1]
	v_ashrrev_i32_e32 v18, 24, v34
	v_cvt_f32_i32_e32 v17, v43
	v_cvt_f32_i32_e32 v16, v44
	;; [unrolled: 1-line block ×7, first 2 shown]
	v_bfe_i32 v76, v31, 8, 8
	v_bfe_i32 v77, v31, 0, 8
	v_pk_fma_f32 v[10:11], v[16:17], v[18:19], v[10:11] op_sel_hi:[1,0,1]
	v_cvt_f32_i32_e32 v17, v61
	v_cvt_f32_i32_e32 v16, v19
	v_bfe_i32 v19, v29, 8, 8
	v_bfe_i32 v61, v29, 0, 8
	v_cvt_f32_i32_e32 v29, v35
	v_cvt_f32_i32_e32 v35, v38
	;; [unrolled: 1-line block ×3, first 2 shown]
	v_pk_fma_f32 v[14:15], v[16:17], v[18:19], v[14:15] op_sel_hi:[1,0,1]
	v_bfe_i32 v18, v50, 0, 8
	v_cvt_f32_i32_e32 v17, v45
	v_cvt_f32_i32_e32 v16, v46
	;; [unrolled: 1-line block ×6, first 2 shown]
	v_bfe_i32 v81, v31, 16, 8
	v_cvt_f32_i32_e32 v31, v60
	v_cvt_f32_i32_e32 v46, v72
	v_pk_fma_f32 v[10:11], v[16:17], v[18:19], v[10:11] op_sel_hi:[1,0,1]
	v_cvt_f32_i32_e32 v17, v62
	v_cvt_f32_i32_e32 v16, v20
	v_bfe_i32 v62, v30, 8, 8
	v_cvt_f32_i32_e32 v30, v33
	v_cvt_f32_i32_e32 v33, v32
	;; [unrolled: 1-line block ×3, first 2 shown]
	v_pk_fma_f32 v[14:15], v[16:17], v[18:19], v[14:15] op_sel_hi:[1,0,1]
	v_bfe_i32 v18, v50, 8, 8
	v_cvt_f32_i32_e32 v17, v47
	v_cvt_f32_i32_e32 v16, v48
	;; [unrolled: 1-line block ×7, first 2 shown]
	s_delay_alu instid0(VALU_DEP_3)
	v_pk_fma_f32 v[10:11], v[16:17], v[18:19], v[10:11] op_sel_hi:[1,0,1]
	v_cvt_f32_i32_e32 v17, v49
	v_cvt_f32_i32_e32 v16, v53
	;; [unrolled: 1-line block ×3, first 2 shown]
	v_pk_fma_f32 v[14:15], v[32:33], v[18:19], v[14:15] op_sel_hi:[1,0,1]
	v_cvt_f32_i32_e32 v18, v1
	v_cvt_f32_i32_e32 v19, v73
	v_bfe_i32 v1, v51, 0, 8
	v_cvt_f32_i32_e32 v32, v3
	v_bfe_i32 v3, v51, 8, 8
	s_delay_alu instid0(VALU_DEP_4)
	v_pk_fma_f32 v[10:11], v[16:17], v[18:19], v[10:11] op_sel_hi:[1,0,1]
	v_pk_fma_f32 v[14:15], v[34:35], v[18:19], v[14:15] op_sel_hi:[1,0,1]
	v_cvt_f32_i32_e32 v16, v1
	v_cvt_f32_i32_e32 v17, v62
	v_bfe_i32 v1, v51, 16, 8
	v_pk_fma_f32 v[10:11], v[20:21], v[32:33], v[10:11] op_sel_hi:[1,0,1]
	v_pk_fma_f32 v[14:15], v[36:37], v[32:33], v[14:15] op_sel_hi:[1,0,1]
	v_cvt_f32_i32_e32 v20, v3
	v_ashrrev_i32_e32 v3, 24, v51
	v_cvt_f32_i32_e32 v18, v74
	v_pk_fma_f32 v[10:11], v[22:23], v[16:17], v[10:11] op_sel_hi:[1,0,1]
	v_pk_fma_f32 v[14:15], v[38:39], v[16:17], v[14:15] op_sel_hi:[1,0,1]
	v_cvt_f32_i32_e32 v22, v1
	s_wait_loadcnt 0x0
	v_bfe_i32 v1, v52, 0, 8
	v_cvt_f32_i32_e32 v16, v75
	v_pk_fma_f32 v[10:11], v[24:25], v[20:21], v[10:11] op_sel_hi:[1,0,1]
	v_pk_fma_f32 v[14:15], v[40:41], v[20:21], v[14:15] op_sel_hi:[1,0,1]
	v_cvt_f32_i32_e32 v24, v3
	v_bfe_i32 v3, v52, 8, 8
	v_cvt_f32_i32_e32 v21, v76
	v_pk_fma_f32 v[10:11], v[26:27], v[22:23], v[10:11] op_sel_hi:[1,0,1]
	v_pk_fma_f32 v[14:15], v[42:43], v[22:23], v[14:15] op_sel_hi:[1,0,1]
	v_cvt_f32_i32_e32 v22, v1
	v_cvt_f32_i32_e32 v23, v78
	v_bfe_i32 v1, v52, 16, 8
	v_pk_fma_f32 v[10:11], v[28:29], v[24:25], v[10:11] op_sel_hi:[1,0,1]
	v_pk_fma_f32 v[14:15], v[44:45], v[24:25], v[14:15] op_sel_hi:[1,0,1]
	v_cvt_f32_i32_e32 v24, v3
	v_ashrrev_i32_e32 v3, 24, v52
	v_cvt_f32_i32_e32 v26, v1
	v_pk_fma_f32 v[10:11], v[30:31], v[22:23], v[10:11] op_sel_hi:[1,0,1]
	v_pk_fma_f32 v[14:15], v[46:47], v[22:23], v[14:15] op_sel_hi:[1,0,1]
	v_cvt_f32_i32_e32 v22, v79
	v_cvt_f32_i32_e32 v20, v77
	s_delay_alu instid0(VALU_DEP_4) | instskip(NEXT) | instid1(VALU_DEP_4)
	v_pk_fma_f32 v[10:11], v[48:49], v[24:25], v[10:11] op_sel_hi:[1,0,1]
	v_pk_fma_f32 v[14:15], v[18:19], v[24:25], v[14:15] op_sel_hi:[1,0,1]
	v_cvt_f32_i32_e32 v19, v80
	v_cvt_f32_i32_e32 v18, v81
	;; [unrolled: 1-line block ×3, first 2 shown]
	v_pk_fma_f32 v[10:11], v[16:17], v[26:27], v[10:11] op_sel_hi:[1,0,1]
	v_pk_fma_f32 v[14:15], v[22:23], v[26:27], v[14:15] op_sel_hi:[1,0,1]
	s_delay_alu instid0(VALU_DEP_2) | instskip(NEXT) | instid1(VALU_DEP_2)
	v_pk_fma_f32 v[10:11], v[20:21], v[24:25], v[10:11] op_sel_hi:[1,0,1]
	v_pk_fma_f32 v[14:15], v[18:19], v[24:25], v[14:15] op_sel_hi:[1,0,1]
	s_and_not1_b32 exec_lo, exec_lo, s6
	s_cbranch_execnz .LBB83_33
; %bb.34:
	s_or_b32 exec_lo, exec_lo, s6
	s_delay_alu instid0(VALU_DEP_1)
	v_dual_mov_b32 v13, v15 :: v_dual_mov_b32 v12, v14
.LBB83_35:
	s_or_b32 exec_lo, exec_lo, s2
.LBB83_36:
	s_delay_alu instid0(SALU_CYCLE_1)
	s_or_b32 exec_lo, exec_lo, s3
.LBB83_37:
	v_mbcnt_lo_u32_b32 v1, -1, 0
	s_mov_b32 s2, -1
	s_delay_alu instid0(VALU_DEP_1) | instskip(NEXT) | instid1(VALU_DEP_1)
	v_xor_b32_e32 v3, 16, v1
	v_cmp_gt_i32_e32 vcc_lo, 32, v3
	v_cndmask_b32_e32 v3, v1, v3, vcc_lo
	s_delay_alu instid0(VALU_DEP_1)
	v_lshlrev_b32_e32 v3, 2, v3
	ds_bpermute_b32 v4, v3, v10
	ds_bpermute_b32 v5, v3, v11
	ds_bpermute_b32 v6, v3, v12
	ds_bpermute_b32 v7, v3, v13
	v_xor_b32_e32 v3, 8, v1
	s_delay_alu instid0(VALU_DEP_1) | instskip(SKIP_1) | instid1(VALU_DEP_1)
	v_cmp_gt_i32_e32 vcc_lo, 32, v3
	v_cndmask_b32_e32 v3, v1, v3, vcc_lo
	v_lshlrev_b32_e32 v3, 2, v3
	s_wait_dscnt 0x2
	v_pk_add_f32 v[4:5], v[10:11], v[4:5]
	s_wait_dscnt 0x0
	v_pk_add_f32 v[6:7], v[12:13], v[6:7]
	ds_bpermute_b32 v8, v3, v4
	ds_bpermute_b32 v9, v3, v5
	ds_bpermute_b32 v10, v3, v6
	ds_bpermute_b32 v11, v3, v7
	v_xor_b32_e32 v3, 4, v1
	s_delay_alu instid0(VALU_DEP_1) | instskip(SKIP_1) | instid1(VALU_DEP_1)
	v_cmp_gt_i32_e32 vcc_lo, 32, v3
	v_cndmask_b32_e32 v3, v1, v3, vcc_lo
	v_lshlrev_b32_e32 v3, 2, v3
	s_wait_dscnt 0x2
	v_pk_add_f32 v[4:5], v[4:5], v[8:9]
	s_wait_dscnt 0x0
	v_pk_add_f32 v[6:7], v[6:7], v[10:11]
	;; [unrolled: 13-line block ×3, first 2 shown]
	ds_bpermute_b32 v8, v3, v4
	ds_bpermute_b32 v9, v3, v5
	;; [unrolled: 1-line block ×4, first 2 shown]
	v_xor_b32_e32 v3, 1, v1
	s_delay_alu instid0(VALU_DEP_1) | instskip(SKIP_2) | instid1(VALU_DEP_2)
	v_cmp_gt_i32_e32 vcc_lo, 32, v3
	v_cndmask_b32_e32 v1, v1, v3, vcc_lo
	v_cmp_eq_u32_e32 vcc_lo, 31, v0
	v_lshlrev_b32_e32 v1, 2, v1
	s_wait_dscnt 0x2
	v_pk_add_f32 v[4:5], v[4:5], v[8:9]
	s_wait_dscnt 0x0
	v_pk_add_f32 v[6:7], v[6:7], v[10:11]
	ds_bpermute_b32 v10, v1, v4
	ds_bpermute_b32 v11, v1, v5
	ds_bpermute_b32 v8, v1, v6
	ds_bpermute_b32 v9, v1, v7
	s_and_b32 exec_lo, exec_lo, vcc_lo
	s_cbranch_execz .LBB83_10
; %bb.38:
	s_load_b64 s[0:1], s[0:1], 0x50
	s_wait_dscnt 0x2
	v_pk_add_f32 v[4:5], v[4:5], v[10:11]
	s_wait_dscnt 0x0
	v_pk_add_f32 v[0:1], v[6:7], v[8:9]
	v_lshlrev_b32_e32 v2, 2, v2
	s_cmp_eq_f32 s14, 0
	s_cbranch_scc0 .LBB83_40
; %bb.39:
	s_delay_alu instid0(VALU_DEP_1)
	v_ashrrev_i32_e32 v3, 31, v2
	v_pk_mul_f32 v[6:7], s[12:13], v[4:5] op_sel_hi:[0,1]
	v_pk_mul_f32 v[8:9], s[12:13], v[0:1] op_sel_hi:[0,1]
	s_mov_b32 s2, 0
	s_wait_kmcnt 0x0
	v_lshl_add_u64 v[10:11], v[2:3], 2, s[0:1]
	global_store_b128 v[10:11], v[6:9], off
.LBB83_40:
	s_and_not1_b32 vcc_lo, exec_lo, s2
	s_cbranch_vccnz .LBB83_10
; %bb.41:
	v_ashrrev_i32_e32 v3, 31, v2
	s_wait_kmcnt 0x0
	s_delay_alu instid0(VALU_DEP_1)
	v_lshl_add_u64 v[10:11], v[2:3], 2, s[0:1]
	v_pk_mul_f32 v[2:3], s[12:13], v[4:5] op_sel_hi:[0,1]
	v_pk_mul_f32 v[4:5], s[12:13], v[0:1] op_sel_hi:[0,1]
	global_load_b128 v[6:9], v[10:11], off
	s_wait_loadcnt 0x0
	v_pk_fma_f32 v[0:1], s[14:15], v[6:7], v[2:3] op_sel_hi:[0,1,1]
	v_pk_fma_f32 v[2:3], s[14:15], v[8:9], v[4:5] op_sel_hi:[0,1,1]
	global_store_b128 v[10:11], v[0:3], off
	s_sendmsg sendmsg(MSG_DEALLOC_VGPRS)
	s_endpgm
	.section	.rodata,"a",@progbits
	.p2align	6, 0x0
	.amdhsa_kernel _ZN9rocsparseL18bsrxmvn_4x4_kernelILj128ELj32EfliaafEEvT3_20rocsparse_direction_NS_24const_host_device_scalarIT1_EES1_PKS1_PKT2_SA_S7_PKT4_PKT5_S5_PT6_21rocsparse_index_base_b
		.amdhsa_group_segment_fixed_size 0
		.amdhsa_private_segment_fixed_size 0
		.amdhsa_kernarg_size 96
		.amdhsa_user_sgpr_count 2
		.amdhsa_user_sgpr_dispatch_ptr 0
		.amdhsa_user_sgpr_queue_ptr 0
		.amdhsa_user_sgpr_kernarg_segment_ptr 1
		.amdhsa_user_sgpr_dispatch_id 0
		.amdhsa_user_sgpr_kernarg_preload_length 0
		.amdhsa_user_sgpr_kernarg_preload_offset 0
		.amdhsa_user_sgpr_private_segment_size 0
		.amdhsa_wavefront_size32 1
		.amdhsa_uses_dynamic_stack 0
		.amdhsa_enable_private_segment 0
		.amdhsa_system_sgpr_workgroup_id_x 1
		.amdhsa_system_sgpr_workgroup_id_y 0
		.amdhsa_system_sgpr_workgroup_id_z 0
		.amdhsa_system_sgpr_workgroup_info 0
		.amdhsa_system_vgpr_workitem_id 0
		.amdhsa_next_free_vgpr 83
		.amdhsa_next_free_sgpr 18
		.amdhsa_named_barrier_count 0
		.amdhsa_reserve_vcc 1
		.amdhsa_float_round_mode_32 0
		.amdhsa_float_round_mode_16_64 0
		.amdhsa_float_denorm_mode_32 3
		.amdhsa_float_denorm_mode_16_64 3
		.amdhsa_fp16_overflow 0
		.amdhsa_memory_ordered 1
		.amdhsa_forward_progress 1
		.amdhsa_inst_pref_size 43
		.amdhsa_round_robin_scheduling 0
		.amdhsa_exception_fp_ieee_invalid_op 0
		.amdhsa_exception_fp_denorm_src 0
		.amdhsa_exception_fp_ieee_div_zero 0
		.amdhsa_exception_fp_ieee_overflow 0
		.amdhsa_exception_fp_ieee_underflow 0
		.amdhsa_exception_fp_ieee_inexact 0
		.amdhsa_exception_int_div_zero 0
	.end_amdhsa_kernel
	.section	.text._ZN9rocsparseL18bsrxmvn_4x4_kernelILj128ELj32EfliaafEEvT3_20rocsparse_direction_NS_24const_host_device_scalarIT1_EES1_PKS1_PKT2_SA_S7_PKT4_PKT5_S5_PT6_21rocsparse_index_base_b,"axG",@progbits,_ZN9rocsparseL18bsrxmvn_4x4_kernelILj128ELj32EfliaafEEvT3_20rocsparse_direction_NS_24const_host_device_scalarIT1_EES1_PKS1_PKT2_SA_S7_PKT4_PKT5_S5_PT6_21rocsparse_index_base_b,comdat
.Lfunc_end83:
	.size	_ZN9rocsparseL18bsrxmvn_4x4_kernelILj128ELj32EfliaafEEvT3_20rocsparse_direction_NS_24const_host_device_scalarIT1_EES1_PKS1_PKT2_SA_S7_PKT4_PKT5_S5_PT6_21rocsparse_index_base_b, .Lfunc_end83-_ZN9rocsparseL18bsrxmvn_4x4_kernelILj128ELj32EfliaafEEvT3_20rocsparse_direction_NS_24const_host_device_scalarIT1_EES1_PKS1_PKT2_SA_S7_PKT4_PKT5_S5_PT6_21rocsparse_index_base_b
                                        ; -- End function
	.set _ZN9rocsparseL18bsrxmvn_4x4_kernelILj128ELj32EfliaafEEvT3_20rocsparse_direction_NS_24const_host_device_scalarIT1_EES1_PKS1_PKT2_SA_S7_PKT4_PKT5_S5_PT6_21rocsparse_index_base_b.num_vgpr, 83
	.set _ZN9rocsparseL18bsrxmvn_4x4_kernelILj128ELj32EfliaafEEvT3_20rocsparse_direction_NS_24const_host_device_scalarIT1_EES1_PKS1_PKT2_SA_S7_PKT4_PKT5_S5_PT6_21rocsparse_index_base_b.num_agpr, 0
	.set _ZN9rocsparseL18bsrxmvn_4x4_kernelILj128ELj32EfliaafEEvT3_20rocsparse_direction_NS_24const_host_device_scalarIT1_EES1_PKS1_PKT2_SA_S7_PKT4_PKT5_S5_PT6_21rocsparse_index_base_b.numbered_sgpr, 18
	.set _ZN9rocsparseL18bsrxmvn_4x4_kernelILj128ELj32EfliaafEEvT3_20rocsparse_direction_NS_24const_host_device_scalarIT1_EES1_PKS1_PKT2_SA_S7_PKT4_PKT5_S5_PT6_21rocsparse_index_base_b.num_named_barrier, 0
	.set _ZN9rocsparseL18bsrxmvn_4x4_kernelILj128ELj32EfliaafEEvT3_20rocsparse_direction_NS_24const_host_device_scalarIT1_EES1_PKS1_PKT2_SA_S7_PKT4_PKT5_S5_PT6_21rocsparse_index_base_b.private_seg_size, 0
	.set _ZN9rocsparseL18bsrxmvn_4x4_kernelILj128ELj32EfliaafEEvT3_20rocsparse_direction_NS_24const_host_device_scalarIT1_EES1_PKS1_PKT2_SA_S7_PKT4_PKT5_S5_PT6_21rocsparse_index_base_b.uses_vcc, 1
	.set _ZN9rocsparseL18bsrxmvn_4x4_kernelILj128ELj32EfliaafEEvT3_20rocsparse_direction_NS_24const_host_device_scalarIT1_EES1_PKS1_PKT2_SA_S7_PKT4_PKT5_S5_PT6_21rocsparse_index_base_b.uses_flat_scratch, 0
	.set _ZN9rocsparseL18bsrxmvn_4x4_kernelILj128ELj32EfliaafEEvT3_20rocsparse_direction_NS_24const_host_device_scalarIT1_EES1_PKS1_PKT2_SA_S7_PKT4_PKT5_S5_PT6_21rocsparse_index_base_b.has_dyn_sized_stack, 0
	.set _ZN9rocsparseL18bsrxmvn_4x4_kernelILj128ELj32EfliaafEEvT3_20rocsparse_direction_NS_24const_host_device_scalarIT1_EES1_PKS1_PKT2_SA_S7_PKT4_PKT5_S5_PT6_21rocsparse_index_base_b.has_recursion, 0
	.set _ZN9rocsparseL18bsrxmvn_4x4_kernelILj128ELj32EfliaafEEvT3_20rocsparse_direction_NS_24const_host_device_scalarIT1_EES1_PKS1_PKT2_SA_S7_PKT4_PKT5_S5_PT6_21rocsparse_index_base_b.has_indirect_call, 0
	.section	.AMDGPU.csdata,"",@progbits
; Kernel info:
; codeLenInByte = 5380
; TotalNumSgprs: 20
; NumVgprs: 83
; ScratchSize: 0
; MemoryBound: 0
; FloatMode: 240
; IeeeMode: 1
; LDSByteSize: 0 bytes/workgroup (compile time only)
; SGPRBlocks: 0
; VGPRBlocks: 5
; NumSGPRsForWavesPerEU: 20
; NumVGPRsForWavesPerEU: 83
; NamedBarCnt: 0
; Occupancy: 10
; WaveLimiterHint : 1
; COMPUTE_PGM_RSRC2:SCRATCH_EN: 0
; COMPUTE_PGM_RSRC2:USER_SGPR: 2
; COMPUTE_PGM_RSRC2:TRAP_HANDLER: 0
; COMPUTE_PGM_RSRC2:TGID_X_EN: 1
; COMPUTE_PGM_RSRC2:TGID_Y_EN: 0
; COMPUTE_PGM_RSRC2:TGID_Z_EN: 0
; COMPUTE_PGM_RSRC2:TIDIG_COMP_CNT: 0
	.section	.text._ZN9rocsparseL18bsrxmvn_4x4_kernelILj128ELj64EfliaafEEvT3_20rocsparse_direction_NS_24const_host_device_scalarIT1_EES1_PKS1_PKT2_SA_S7_PKT4_PKT5_S5_PT6_21rocsparse_index_base_b,"axG",@progbits,_ZN9rocsparseL18bsrxmvn_4x4_kernelILj128ELj64EfliaafEEvT3_20rocsparse_direction_NS_24const_host_device_scalarIT1_EES1_PKS1_PKT2_SA_S7_PKT4_PKT5_S5_PT6_21rocsparse_index_base_b,comdat
	.globl	_ZN9rocsparseL18bsrxmvn_4x4_kernelILj128ELj64EfliaafEEvT3_20rocsparse_direction_NS_24const_host_device_scalarIT1_EES1_PKS1_PKT2_SA_S7_PKT4_PKT5_S5_PT6_21rocsparse_index_base_b ; -- Begin function _ZN9rocsparseL18bsrxmvn_4x4_kernelILj128ELj64EfliaafEEvT3_20rocsparse_direction_NS_24const_host_device_scalarIT1_EES1_PKS1_PKT2_SA_S7_PKT4_PKT5_S5_PT6_21rocsparse_index_base_b
	.p2align	8
	.type	_ZN9rocsparseL18bsrxmvn_4x4_kernelILj128ELj64EfliaafEEvT3_20rocsparse_direction_NS_24const_host_device_scalarIT1_EES1_PKS1_PKT2_SA_S7_PKT4_PKT5_S5_PT6_21rocsparse_index_base_b,@function
_ZN9rocsparseL18bsrxmvn_4x4_kernelILj128ELj64EfliaafEEvT3_20rocsparse_direction_NS_24const_host_device_scalarIT1_EES1_PKS1_PKT2_SA_S7_PKT4_PKT5_S5_PT6_21rocsparse_index_base_b: ; @_ZN9rocsparseL18bsrxmvn_4x4_kernelILj128ELj64EfliaafEEvT3_20rocsparse_direction_NS_24const_host_device_scalarIT1_EES1_PKS1_PKT2_SA_S7_PKT4_PKT5_S5_PT6_21rocsparse_index_base_b
; %bb.0:
	s_clause 0x2
	s_load_b64 s[16:17], s[0:1], 0x58
	s_load_b64 s[12:13], s[0:1], 0x8
	;; [unrolled: 1-line block ×3, first 2 shown]
	s_wait_kmcnt 0x0
	s_bitcmp1_b32 s17, 0
	s_cselect_b32 s2, -1, 0
	s_delay_alu instid0(SALU_CYCLE_1)
	s_and_b32 vcc_lo, exec_lo, s2
	s_xor_b32 s2, s2, -1
	s_cbranch_vccnz .LBB84_2
; %bb.1:
	s_load_b32 s12, s[12:13], 0x0
.LBB84_2:
	s_and_not1_b32 vcc_lo, exec_lo, s2
	s_cbranch_vccnz .LBB84_4
; %bb.3:
	s_load_b32 s14, s[14:15], 0x0
.LBB84_4:
	s_wait_kmcnt 0x0
	s_cmp_neq_f32 s12, 0
	s_mov_b32 s6, 0
	s_cselect_b32 s2, -1, 0
	s_cmp_neq_f32 s14, 1.0
	s_cselect_b32 s3, -1, 0
	s_delay_alu instid0(SALU_CYCLE_1) | instskip(NEXT) | instid1(SALU_CYCLE_1)
	s_or_b32 s2, s2, s3
	s_and_not1_b32 vcc_lo, exec_lo, s2
	s_cbranch_vccnz .LBB84_10
; %bb.5:
	s_clause 0x1
	s_load_b64 s[4:5], s[0:1], 0x18
	s_load_b64 s[2:3], s[0:1], 0x0
	s_bfe_u32 s7, ttmp6, 0x4000c
	s_and_b32 s8, ttmp6, 15
	s_add_co_i32 s7, s7, 1
	s_getreg_b32 s9, hwreg(HW_REG_IB_STS2, 6, 4)
	s_mul_i32 s7, ttmp9, s7
	v_lshrrev_b32_e32 v1, 6, v0
	s_add_co_i32 s8, s8, s7
	s_cmp_eq_u32 s9, 0
	s_cselect_b32 s7, ttmp9, s8
	s_delay_alu instid0(VALU_DEP_1) | instid1(SALU_CYCLE_1)
	v_lshl_or_b32 v2, s7, 1, v1
	s_wait_kmcnt 0x0
	s_cmp_lg_u64 s[4:5], 0
	s_cbranch_scc0 .LBB84_11
; %bb.6:
	s_load_b32 s6, s[0:1], 0x10
	s_mov_b32 s7, 0
                                        ; implicit-def: $vgpr1
	s_wait_kmcnt 0x0
	v_cmp_gt_i32_e32 vcc_lo, s6, v2
	s_mov_b32 s6, 0
	s_and_saveexec_b32 s8, vcc_lo
	s_delay_alu instid0(SALU_CYCLE_1)
	s_xor_b32 s8, exec_lo, s8
	s_cbranch_execz .LBB84_8
; %bb.7:
	global_load_b32 v1, v2, s[4:5] scale_offset
	s_mov_b32 s6, exec_lo
	s_wait_loadcnt 0x0
	v_subrev_nc_u32_e32 v1, s16, v1
.LBB84_8:
	s_or_b32 exec_lo, exec_lo, s8
	s_delay_alu instid0(SALU_CYCLE_1)
	s_and_b32 vcc_lo, exec_lo, s7
	s_cbranch_vccz .LBB84_12
.LBB84_9:
	v_cmp_gt_i32_e32 vcc_lo, s2, v2
	s_and_not1_b32 s2, s6, exec_lo
	s_and_b32 s4, vcc_lo, exec_lo
	s_delay_alu instid0(SALU_CYCLE_1) | instskip(NEXT) | instid1(SALU_CYCLE_1)
	s_or_b32 s6, s2, s4
	s_and_saveexec_b32 s2, s6
	s_cbranch_execnz .LBB84_13
.LBB84_10:
	s_sendmsg sendmsg(MSG_DEALLOC_VGPRS)
	s_endpgm
.LBB84_11:
                                        ; implicit-def: $vgpr1
	s_cbranch_execnz .LBB84_9
.LBB84_12:
	s_delay_alu instid0(VALU_DEP_1)
	v_mov_b32_e32 v2, v1
	s_and_saveexec_b32 s2, s6
	s_cbranch_execz .LBB84_10
.LBB84_13:
	s_load_b256 s[4:11], s[0:1], 0x20
	s_mov_b32 s17, 0
	v_dual_mov_b32 v1, 0 :: v_dual_bitop2_b32 v0, 63, v0 bitop3:0x40
	s_wait_kmcnt 0x0
	s_cmp_eq_u64 s[6:7], 0
	global_load_b64 v[14:15], v2, s[4:5] scale_offset
	s_cselect_b32 vcc_lo, -1, 0
	v_ashrrev_i32_e32 v3, 31, v2
	s_cmp_eq_u32 s3, 1
	s_delay_alu instid0(VALU_DEP_1) | instskip(NEXT) | instid1(VALU_DEP_1)
	v_lshlrev_b64_e32 v[4:5], 3, v[2:3]
	v_add_nc_u64_e32 v[6:7], s[4:5], v[4:5]
	v_add_nc_u64_e32 v[4:5], s[6:7], v[4:5]
	s_wait_xcnt 0x0
	s_load_b64 s[4:5], s[0:1], 0x40
	s_delay_alu instid0(VALU_DEP_2) | instskip(NEXT) | instid1(VALU_DEP_1)
	v_add_nc_u64_e32 v[6:7], 8, v[6:7]
	v_dual_cndmask_b32 v5, v5, v7 :: v_dual_cndmask_b32 v4, v4, v6
	global_load_b64 v[4:5], v[4:5], off
	s_wait_loadcnt 0x1
	v_sub_nc_u64_e64 v[6:7], v[14:15], s[16:17]
	s_delay_alu instid0(VALU_DEP_1) | instskip(NEXT) | instid1(VALU_DEP_1)
	v_add_nc_u64_e32 v[6:7], v[6:7], v[0:1]
	v_lshl_add_u64 v[8:9], v[6:7], 4, s[10:11]
	s_wait_loadcnt 0x0
	v_sub_nc_u64_e64 v[4:5], v[4:5], s[16:17]
	s_delay_alu instid0(VALU_DEP_1)
	v_cmp_lt_i64_e64 s2, v[6:7], v[4:5]
	s_cbranch_scc1 .LBB84_25
; %bb.14:
	v_dual_mov_b32 v13, v1 :: v_dual_mov_b32 v12, v1
	v_dual_mov_b32 v11, v1 :: v_dual_mov_b32 v10, v1
	s_and_saveexec_b32 s3, s2
	s_cbranch_execz .LBB84_24
; %bb.15:
	v_dual_mov_b32 v11, v1 :: v_dual_bitop2_b32 v10, 64, v0 bitop3:0x54
	v_sub_nc_u64_e32 v[12:13], s[16:17], v[0:1]
	v_not_b32_e32 v17, v15
	v_not_b32_e32 v16, v14
	v_mov_b64_e32 v[18:19], v[8:9]
	v_sub_nc_u64_e64 v[10:11], v[10:11], s[16:17]
	s_delay_alu instid0(VALU_DEP_3) | instskip(SKIP_1) | instid1(VALU_DEP_3)
	v_add_nc_u64_e32 v[12:13], v[12:13], v[16:17]
	v_mov_b64_e32 v[16:17], v[6:7]
	v_add_nc_u64_e32 v[10:11], v[10:11], v[14:15]
	s_delay_alu instid0(VALU_DEP_1) | instskip(NEXT) | instid1(VALU_DEP_1)
	v_max_i64 v[10:11], v[10:11], v[4:5]
	v_add_nc_u64_e32 v[20:21], v[12:13], v[10:11]
	v_mov_b32_e32 v11, 0
	s_delay_alu instid0(VALU_DEP_1) | instskip(NEXT) | instid1(VALU_DEP_3)
	v_mov_b32_e32 v12, v11
	v_and_b32_e32 v10, 0xc0, v20
	v_mov_b32_e32 v13, v11
	s_delay_alu instid0(VALU_DEP_2)
	v_cmp_ne_u64_e32 vcc_lo, 0xc0, v[10:11]
	v_mov_b32_e32 v10, v11
	s_and_saveexec_b32 s6, vcc_lo
	s_cbranch_execz .LBB84_19
; %bb.16:
	v_dual_lshrrev_b32 v3, 6, v20 :: v_dual_mov_b32 v13, 0
	v_mov_b64_e32 v[18:19], v[8:9]
	v_mov_b64_e32 v[16:17], v[6:7]
	v_lshl_add_u64 v[22:23], v[6:7], 2, s[8:9]
	s_delay_alu instid0(VALU_DEP_4) | instskip(SKIP_1) | instid1(VALU_DEP_1)
	v_dual_mov_b32 v10, v13 :: v_dual_add_nc_u32 v3, 1, v3
	s_mov_b32 s7, 0
	v_dual_mov_b32 v11, v13 :: v_dual_bitop2_b32 v12, 3, v3 bitop3:0x40
	s_delay_alu instid0(VALU_DEP_1)
	v_sub_nc_u64_e32 v[24:25], 0, v[12:13]
	v_mov_b32_e32 v12, v13
.LBB84_17:                              ; =>This Inner Loop Header: Depth=1
	global_load_b32 v3, v[22:23], off
	v_add_nc_u64_e32 v[24:25], 1, v[24:25]
	v_add_nc_u64_e32 v[16:17], 64, v[16:17]
	s_wait_xcnt 0x0
	v_add_nc_u64_e32 v[22:23], 0x100, v[22:23]
	s_delay_alu instid0(VALU_DEP_3)
	v_cmp_eq_u64_e32 vcc_lo, 0, v[24:25]
	s_or_b32 s7, vcc_lo, s7
	s_wait_loadcnt 0x0
	v_subrev_nc_u32_e32 v3, s16, v3
	global_load_b128 v[26:29], v[18:19], off
	s_wait_kmcnt 0x0
	global_load_b32 v30, v3, s[4:5] scale_offset
	s_wait_xcnt 0x1
	v_add_nc_u64_e32 v[18:19], 0x400, v[18:19]
	s_wait_loadcnt 0x1
	s_wait_xcnt 0x0
	v_bfe_i32 v3, v26, 0, 8
	v_bfe_i32 v33, v27, 0, 8
	;; [unrolled: 1-line block ×4, first 2 shown]
	s_wait_loadcnt 0x0
	v_bfe_i32 v42, v30, 0, 8
	v_bfe_i32 v31, v26, 8, 8
	;; [unrolled: 1-line block ×5, first 2 shown]
	v_cvt_f32_i32_e32 v3, v3
	v_cvt_f32_i32_e32 v33, v33
	;; [unrolled: 1-line block ×4, first 2 shown]
	v_bfe_i32 v43, v30, 8, 8
	v_cvt_f32_i32_e32 v42, v42
	v_bfe_i32 v32, v26, 16, 8
	v_bfe_i32 v35, v27, 16, 8
	;; [unrolled: 1-line block ×4, first 2 shown]
	v_cvt_f32_i32_e32 v31, v31
	v_cvt_f32_i32_e32 v34, v34
	;; [unrolled: 1-line block ×4, first 2 shown]
	v_bfe_i32 v44, v30, 16, 8
	v_cvt_f32_i32_e32 v43, v43
	v_dual_fmac_f32 v10, v3, v42 :: v_dual_fmac_f32 v11, v33, v42
	v_dual_fmac_f32 v12, v36, v42 :: v_dual_fmac_f32 v13, v39, v42
	v_dual_ashrrev_i32 v26, 24, v26 :: v_dual_ashrrev_i32 v27, 24, v27
	v_dual_ashrrev_i32 v28, 24, v28 :: v_dual_ashrrev_i32 v29, 24, v29
	v_cvt_f32_i32_e32 v32, v32
	v_cvt_f32_i32_e32 v35, v35
	;; [unrolled: 1-line block ×4, first 2 shown]
	v_dual_ashrrev_i32 v30, 24, v30 :: v_dual_fmac_f32 v10, v31, v43
	v_cvt_f32_i32_e32 v3, v44
	v_dual_fmac_f32 v11, v34, v43 :: v_dual_fmac_f32 v12, v37, v43
	v_fmac_f32_e32 v13, v40, v43
	v_cvt_f32_i32_e32 v26, v26
	v_cvt_f32_i32_e32 v27, v27
	;; [unrolled: 1-line block ×5, first 2 shown]
	v_dual_fmac_f32 v10, v32, v3 :: v_dual_fmac_f32 v11, v35, v3
	v_dual_fmac_f32 v12, v38, v3 :: v_dual_fmac_f32 v13, v41, v3
	s_delay_alu instid0(VALU_DEP_2) | instskip(NEXT) | instid1(VALU_DEP_2)
	v_pk_fma_f32 v[10:11], v[26:27], v[30:31], v[10:11] op_sel_hi:[1,0,1]
	v_pk_fma_f32 v[12:13], v[28:29], v[30:31], v[12:13] op_sel_hi:[1,0,1]
	s_and_not1_b32 exec_lo, exec_lo, s7
	s_cbranch_execnz .LBB84_17
; %bb.18:
	s_or_b32 exec_lo, exec_lo, s7
.LBB84_19:
	s_delay_alu instid0(SALU_CYCLE_1) | instskip(NEXT) | instid1(SALU_CYCLE_1)
	s_or_b32 exec_lo, exec_lo, s6
	s_mov_b32 s6, exec_lo
	v_cmpx_lt_u64_e32 0xbf, v[20:21]
	s_cbranch_execz .LBB84_23
; %bb.20:
	v_lshl_add_u64 v[20:21], v[16:17], 2, s[8:9]
	s_mov_b32 s7, 0
	s_delay_alu instid0(VALU_DEP_1)
	v_add_nc_u64_e32 v[20:21], 0x200, v[20:21]
.LBB84_21:                              ; =>This Inner Loop Header: Depth=1
	s_clause 0x2
	global_load_b128 v[22:25], v[18:19], off
	global_load_b128 v[26:29], v[18:19], off offset:1024
	global_load_b128 v[30:33], v[18:19], off offset:2048
	v_add_nc_u64_e32 v[16:17], 0x100, v[16:17]
	s_delay_alu instid0(VALU_DEP_1)
	v_cmp_ge_i64_e32 vcc_lo, v[16:17], v[4:5]
	s_or_b32 s7, vcc_lo, s7
	s_wait_loadcnt 0x2
	v_bfe_i32 v3, v22, 0, 8
	v_bfe_i32 v34, v22, 8, 8
	;; [unrolled: 1-line block ×3, first 2 shown]
	v_dual_ashrrev_i32 v36, 24, v22 :: v_dual_ashrrev_i32 v39, 24, v23
	v_bfe_i32 v22, v23, 0, 8
	v_bfe_i32 v37, v23, 8, 8
	v_bfe_i32 v38, v23, 16, 8
	v_bfe_i32 v23, v24, 0, 8
	v_bfe_i32 v40, v24, 8, 8
	v_bfe_i32 v41, v24, 16, 8
	v_dual_ashrrev_i32 v42, 24, v24 :: v_dual_ashrrev_i32 v45, 24, v25
	v_bfe_i32 v24, v25, 0, 8
	v_bfe_i32 v43, v25, 8, 8
	;; [unrolled: 1-line block ×3, first 2 shown]
	s_wait_loadcnt 0x1
	v_bfe_i32 v46, v27, 0, 8
	v_bfe_i32 v47, v26, 0, 8
	v_bfe_i32 v48, v27, 8, 8
	v_bfe_i32 v49, v26, 8, 8
	v_bfe_i32 v50, v27, 16, 8
	v_bfe_i32 v51, v26, 16, 8
	v_dual_ashrrev_i32 v52, 24, v27 :: v_dual_ashrrev_i32 v53, 24, v26
	v_bfe_i32 v55, v28, 0, 8
	v_bfe_i32 v57, v28, 8, 8
	;; [unrolled: 1-line block ×3, first 2 shown]
	v_dual_ashrrev_i32 v60, 24, v29 :: v_dual_ashrrev_i32 v61, 24, v28
	s_clause 0x3
	global_load_b32 v25, v[20:21], off offset:-512
	global_load_b32 v26, v[20:21], off offset:-256
	global_load_b32 v27, v[20:21], off
	global_load_b32 v28, v[20:21], off offset:256
	v_bfe_i32 v54, v29, 0, 8
	v_bfe_i32 v56, v29, 8, 8
	v_bfe_i32 v58, v29, 16, 8
	v_cvt_f32_i32_e32 v3, v3
	s_wait_loadcnt 0x4
	v_bfe_i32 v62, v31, 0, 8
	v_bfe_i32 v63, v30, 0, 8
	;; [unrolled: 1-line block ×6, first 2 shown]
	v_dual_ashrrev_i32 v68, 24, v31 :: v_dual_ashrrev_i32 v69, 24, v30
	v_cvt_f32_i32_e32 v31, v52
	v_cvt_f32_i32_e32 v30, v53
	v_bfe_i32 v70, v33, 0, 8
	v_bfe_i32 v71, v32, 0, 8
	;; [unrolled: 1-line block ×6, first 2 shown]
	v_dual_ashrrev_i32 v76, 24, v33 :: v_dual_ashrrev_i32 v77, 24, v32
	v_cvt_f32_i32_e32 v33, v62
	v_cvt_f32_i32_e32 v32, v63
	s_wait_xcnt 0x0
	v_add_nc_u64_e32 v[20:21], 0x400, v[20:21]
	s_wait_loadcnt 0x3
	v_subrev_nc_u32_e32 v25, s16, v25
	s_wait_loadcnt 0x2
	v_subrev_nc_u32_e32 v26, s16, v26
	;; [unrolled: 2-line block ×4, first 2 shown]
	s_wait_kmcnt 0x0
	s_clause 0x3
	global_load_b32 v29, v25, s[4:5] scale_offset
	global_load_b32 v78, v26, s[4:5] scale_offset
	global_load_b32 v79, v27, s[4:5] scale_offset
	global_load_b32 v80, v28, s[4:5] scale_offset
	s_wait_xcnt 0x2
	v_cvt_f32_i32_e32 v26, v38
	s_wait_xcnt 0x1
	v_cvt_f32_i32_e32 v27, v39
	v_cvt_f32_i32_e32 v39, v68
	v_cvt_f32_i32_e32 v38, v69
	s_wait_loadcnt 0x2
	v_ashrrev_i32_e32 v53, 24, v78
	v_bfe_i32 v25, v29, 0, 8
	s_delay_alu instid0(VALU_DEP_1) | instskip(NEXT) | instid1(VALU_DEP_1)
	v_cvt_f32_i32_e32 v25, v25
	v_fmac_f32_e32 v10, v3, v25
	v_cvt_f32_i32_e32 v3, v22
	v_bfe_i32 v22, v29, 8, 8
	s_delay_alu instid0(VALU_DEP_2) | instskip(SKIP_1) | instid1(VALU_DEP_3)
	v_fmac_f32_e32 v11, v3, v25
	v_cvt_f32_i32_e32 v3, v23
	v_cvt_f32_i32_e32 v22, v22
	;; [unrolled: 1-line block ×3, first 2 shown]
	s_delay_alu instid0(VALU_DEP_3) | instskip(SKIP_2) | instid1(VALU_DEP_2)
	v_fmac_f32_e32 v12, v3, v25
	v_cvt_f32_i32_e32 v3, v24
	v_cvt_f32_i32_e32 v24, v43
	v_fmac_f32_e32 v13, v3, v25
	v_cvt_f32_i32_e32 v3, v34
	v_cvt_f32_i32_e32 v25, v35
	v_fmac_f32_e32 v12, v23, v22
	v_cvt_f32_i32_e32 v35, v64
	s_delay_alu instid0(VALU_DEP_4) | instskip(SKIP_3) | instid1(VALU_DEP_3)
	v_dual_fmac_f32 v13, v24, v22 :: v_dual_fmac_f32 v10, v3, v22
	v_cvt_f32_i32_e32 v3, v37
	v_cvt_f32_i32_e32 v34, v65
	;; [unrolled: 1-line block ×3, first 2 shown]
	v_fmac_f32_e32 v11, v3, v22
	v_bfe_i32 v3, v29, 16, 8
	s_delay_alu instid0(VALU_DEP_1) | instskip(NEXT) | instid1(VALU_DEP_1)
	v_cvt_f32_i32_e32 v3, v3
	v_dual_fmac_f32 v10, v25, v3 :: v_dual_fmac_f32 v11, v26, v3
	global_load_b128 v[22:25], v[18:19], off offset:3072
	v_cvt_f32_i32_e32 v26, v41
	s_wait_xcnt 0x1
	v_ashrrev_i32_e32 v28, 24, v29
	s_wait_xcnt 0x0
	v_add_nc_u64_e32 v[18:19], 0x1000, v[18:19]
	v_fmac_f32_e32 v12, v26, v3
	v_cvt_f32_i32_e32 v26, v44
	s_delay_alu instid0(VALU_DEP_1)
	v_fmac_f32_e32 v13, v26, v3
	v_cvt_f32_i32_e32 v26, v36
	v_cvt_f32_i32_e32 v36, v67
	s_wait_loadcnt 0x0
	v_ashrrev_i32_e32 v82, 24, v23
	v_cvt_f32_i32_e32 v28, v28
	v_bfe_i32 v40, v23, 0, 8
	v_bfe_i32 v43, v23, 8, 8
	;; [unrolled: 1-line block ×4, first 2 shown]
	v_pk_fma_f32 v[10:11], v[26:27], v[28:29], v[10:11] op_sel_hi:[1,0,1]
	v_cvt_f32_i32_e32 v26, v42
	v_cvt_f32_i32_e32 v27, v45
	v_bfe_i32 v45, v23, 16, 8
	v_bfe_i32 v23, v78, 0, 8
	;; [unrolled: 1-line block ×4, first 2 shown]
	v_pk_fma_f32 v[12:13], v[26:27], v[28:29], v[12:13] op_sel_hi:[1,0,1]
	v_cvt_f32_i32_e32 v27, v46
	v_cvt_f32_i32_e32 v26, v47
	v_cvt_f32_i32_e32 v28, v23
	v_dual_ashrrev_i32 v46, 24, v22 :: v_dual_ashrrev_i32 v87, 24, v25
	v_cvt_f32_i32_e32 v23, v54
	v_cvt_f32_i32_e32 v22, v55
	v_bfe_i32 v54, v24, 16, 8
	v_bfe_i32 v85, v24, 8, 8
	v_ashrrev_i32_e32 v88, 24, v24
	v_bfe_i32 v24, v78, 8, 8
	v_pk_fma_f32 v[10:11], v[26:27], v[28:29], v[10:11] op_sel_hi:[1,0,1]
	v_pk_fma_f32 v[12:13], v[22:23], v[28:29], v[12:13] op_sel_hi:[1,0,1]
	v_cvt_f32_i32_e32 v23, v48
	v_cvt_f32_i32_e32 v22, v49
	;; [unrolled: 1-line block ×5, first 2 shown]
	v_bfe_i32 v3, v78, 16, 8
	v_bfe_i32 v55, v25, 0, 8
	v_pk_fma_f32 v[10:11], v[22:23], v[24:25], v[10:11] op_sel_hi:[1,0,1]
	v_cvt_f32_i32_e32 v23, v56
	v_cvt_f32_i32_e32 v22, v57
	;; [unrolled: 1-line block ×7, first 2 shown]
	v_pk_fma_f32 v[12:13], v[22:23], v[24:25], v[12:13] op_sel_hi:[1,0,1]
	v_cvt_f32_i32_e32 v54, v3
	v_cvt_f32_i32_e32 v49, v60
	v_cvt_f32_i32_e32 v48, v61
	v_bfe_i32 v3, v79, 0, 8
	v_cvt_f32_i32_e32 v56, v53
	v_pk_fma_f32 v[10:11], v[26:27], v[54:55], v[10:11] op_sel_hi:[1,0,1]
	v_pk_fma_f32 v[12:13], v[28:29], v[54:55], v[12:13] op_sel_hi:[1,0,1]
	v_cvt_f32_i32_e32 v51, v70
	v_cvt_f32_i32_e32 v50, v71
	v_bfe_i32 v29, v79, 8, 8
	v_cvt_f32_i32_e32 v28, v3
	v_pk_fma_f32 v[10:11], v[30:31], v[56:57], v[10:11] op_sel_hi:[1,0,1]
	v_pk_fma_f32 v[12:13], v[48:49], v[56:57], v[12:13] op_sel_hi:[1,0,1]
	v_cvt_f32_i32_e32 v23, v72
	v_cvt_f32_i32_e32 v22, v73
	v_bfe_i32 v3, v79, 16, 8
	v_cvt_f32_i32_e32 v30, v29
	v_pk_fma_f32 v[10:11], v[32:33], v[28:29], v[10:11] op_sel_hi:[1,0,1]
	v_pk_fma_f32 v[12:13], v[50:51], v[28:29], v[12:13] op_sel_hi:[1,0,1]
	v_ashrrev_i32_e32 v31, 24, v79
	v_bfe_i32 v84, v25, 8, 8
	v_bfe_i32 v86, v25, 16, 8
	v_cvt_f32_i32_e32 v25, v74
	v_cvt_f32_i32_e32 v24, v75
	;; [unrolled: 1-line block ×3, first 2 shown]
	v_pk_fma_f32 v[10:11], v[34:35], v[30:31], v[10:11] op_sel_hi:[1,0,1]
	v_pk_fma_f32 v[12:13], v[22:23], v[30:31], v[12:13] op_sel_hi:[1,0,1]
	v_cvt_f32_i32_e32 v27, v76
	v_cvt_f32_i32_e32 v26, v77
	v_bfe_i32 v3, v80, 0, 8
	v_cvt_f32_i32_e32 v22, v31
	v_pk_fma_f32 v[10:11], v[36:37], v[32:33], v[10:11] op_sel_hi:[1,0,1]
	v_pk_fma_f32 v[12:13], v[24:25], v[32:33], v[12:13] op_sel_hi:[1,0,1]
	v_cvt_f32_i32_e32 v23, v84
	v_cvt_f32_i32_e32 v29, v55
	v_cvt_f32_i32_e32 v28, v83
	v_bfe_i32 v25, v80, 8, 8
	v_cvt_f32_i32_e32 v24, v3
	v_pk_fma_f32 v[10:11], v[38:39], v[22:23], v[10:11] op_sel_hi:[1,0,1]
	v_pk_fma_f32 v[12:13], v[26:27], v[22:23], v[12:13] op_sel_hi:[1,0,1]
	v_cvt_f32_i32_e32 v43, v43
	;; [unrolled: 7-line block ×3, first 2 shown]
	v_cvt_f32_i32_e32 v45, v45
	v_cvt_f32_i32_e32 v53, v86
	v_ashrrev_i32_e32 v25, 24, v80
	v_cvt_f32_i32_e32 v24, v3
	v_pk_fma_f32 v[10:11], v[42:43], v[26:27], v[10:11] op_sel_hi:[1,0,1]
	v_pk_fma_f32 v[12:13], v[22:23], v[26:27], v[12:13] op_sel_hi:[1,0,1]
	v_cvt_f32_i32_e32 v47, v82
	v_cvt_f32_i32_e32 v46, v46
	;; [unrolled: 1-line block ×5, first 2 shown]
	v_pk_fma_f32 v[10:11], v[44:45], v[24:25], v[10:11] op_sel_hi:[1,0,1]
	v_pk_fma_f32 v[12:13], v[52:53], v[24:25], v[12:13] op_sel_hi:[1,0,1]
	s_delay_alu instid0(VALU_DEP_2) | instskip(NEXT) | instid1(VALU_DEP_2)
	v_pk_fma_f32 v[10:11], v[46:47], v[26:27], v[10:11] op_sel_hi:[1,0,1]
	v_pk_fma_f32 v[12:13], v[22:23], v[26:27], v[12:13] op_sel_hi:[1,0,1]
	s_and_not1_b32 exec_lo, exec_lo, s7
	s_cbranch_execnz .LBB84_21
; %bb.22:
	s_or_b32 exec_lo, exec_lo, s7
.LBB84_23:
	s_delay_alu instid0(SALU_CYCLE_1)
	s_or_b32 exec_lo, exec_lo, s6
.LBB84_24:
	s_delay_alu instid0(SALU_CYCLE_1)
	s_or_b32 exec_lo, exec_lo, s3
	s_cbranch_execz .LBB84_26
	s_branch .LBB84_37
.LBB84_25:
                                        ; implicit-def: $vgpr13
                                        ; implicit-def: $vgpr11
.LBB84_26:
	v_dual_mov_b32 v13, 0 :: v_dual_mov_b32 v12, 0
	v_dual_mov_b32 v11, 0 :: v_dual_mov_b32 v10, 0
	s_and_saveexec_b32 s3, s2
	s_cbranch_execz .LBB84_36
; %bb.27:
	v_dual_mov_b32 v11, v1 :: v_dual_bitop2_b32 v10, 64, v0 bitop3:0x54
	v_sub_nc_u64_e32 v[12:13], s[16:17], v[0:1]
	s_delay_alu instid0(VALU_DEP_2) | instskip(NEXT) | instid1(VALU_DEP_1)
	v_sub_nc_u64_e64 v[10:11], v[10:11], s[16:17]
	v_add_nc_u64_e32 v[10:11], v[10:11], v[14:15]
	v_not_b32_e32 v15, v15
	v_not_b32_e32 v14, v14
	s_delay_alu instid0(VALU_DEP_1) | instskip(NEXT) | instid1(VALU_DEP_4)
	v_add_nc_u64_e32 v[12:13], v[12:13], v[14:15]
	v_max_i64 v[10:11], v[10:11], v[4:5]
	s_delay_alu instid0(VALU_DEP_1) | instskip(SKIP_2) | instid1(VALU_DEP_2)
	v_add_nc_u64_e32 v[16:17], v[12:13], v[10:11]
	v_mov_b32_e32 v12, 0
	v_mov_b64_e32 v[10:11], 0
	v_mov_b32_e32 v15, v12
	s_delay_alu instid0(VALU_DEP_4) | instskip(NEXT) | instid1(VALU_DEP_1)
	v_and_b32_e32 v14, 0xc0, v16
	v_cmp_ne_u64_e32 vcc_lo, 0xc0, v[14:15]
	v_mov_b64_e32 v[14:15], 0
	s_and_saveexec_b32 s2, vcc_lo
	s_cbranch_execz .LBB84_31
; %bb.28:
	v_dual_lshrrev_b32 v1, 6, v16 :: v_dual_mov_b32 v11, v12
	v_lshl_add_u64 v[14:15], v[6:7], 2, s[8:9]
	s_mov_b32 s6, 0
	s_delay_alu instid0(VALU_DEP_2) | instskip(NEXT) | instid1(VALU_DEP_1)
	v_dual_mov_b32 v13, v12 :: v_dual_add_nc_u32 v1, 1, v1
	v_and_b32_e32 v10, 3, v1
	s_delay_alu instid0(VALU_DEP_1)
	v_sub_nc_u64_e32 v[18:19], 0, v[10:11]
	v_mov_b32_e32 v10, v12
.LBB84_29:                              ; =>This Inner Loop Header: Depth=1
	global_load_b32 v1, v[14:15], off
	v_add_nc_u64_e32 v[18:19], 1, v[18:19]
	v_add_nc_u64_e32 v[6:7], 64, v[6:7]
	s_wait_xcnt 0x0
	v_add_nc_u64_e32 v[14:15], 0x100, v[14:15]
	s_delay_alu instid0(VALU_DEP_3)
	v_cmp_eq_u64_e32 vcc_lo, 0, v[18:19]
	s_or_b32 s6, vcc_lo, s6
	s_wait_loadcnt 0x0
	v_subrev_nc_u32_e32 v1, s16, v1
	global_load_b128 v[20:23], v[8:9], off
	s_wait_kmcnt 0x0
	global_load_b32 v3, v1, s[4:5] scale_offset
	s_wait_xcnt 0x1
	v_add_nc_u64_e32 v[8:9], 0x400, v[8:9]
	s_wait_loadcnt 0x1
	s_wait_xcnt 0x0
	v_bfe_i32 v1, v20, 8, 8
	v_bfe_i32 v24, v20, 0, 8
	;; [unrolled: 1-line block ×6, first 2 shown]
	v_dual_ashrrev_i32 v29, 24, v20 :: v_dual_ashrrev_i32 v31, 24, v21
	v_bfe_i32 v30, v20, 16, 8
	v_bfe_i32 v32, v21, 16, 8
	v_dual_ashrrev_i32 v33, 24, v22 :: v_dual_ashrrev_i32 v37, 24, v23
	v_bfe_i32 v34, v22, 16, 8
	v_bfe_i32 v35, v23, 8, 8
	v_cvt_f32_i32_e32 v21, v1
	s_wait_loadcnt 0x0
	v_bfe_i32 v1, v3, 0, 8
	v_bfe_i32 v36, v23, 0, 8
	;; [unrolled: 1-line block ×3, first 2 shown]
	v_cvt_f32_i32_e32 v20, v24
	v_cvt_f32_i32_e32 v23, v25
	;; [unrolled: 1-line block ×11, first 2 shown]
	v_bfe_i32 v34, v3, 8, 8
	v_cvt_f32_i32_e32 v32, v1
	v_cvt_f32_i32_e32 v33, v35
	v_bfe_i32 v1, v3, 16, 8
	v_ashrrev_i32_e32 v3, 24, v3
	v_cvt_f32_i32_e32 v34, v34
	s_delay_alu instid0(VALU_DEP_4)
	v_pk_fma_f32 v[10:11], v[20:21], v[32:33], v[10:11] op_sel_hi:[1,0,1]
	v_pk_fma_f32 v[12:13], v[26:27], v[32:33], v[12:13] op_sel_hi:[1,0,1]
	v_cvt_f32_i32_e32 v20, v1
	v_cvt_f32_i32_e32 v32, v36
	v_cvt_f32_i32_e32 v26, v3
	v_pk_fma_f32 v[10:11], v[22:23], v[34:35], v[10:11] op_sel_hi:[1,0,1]
	v_pk_fma_f32 v[12:13], v[28:29], v[34:35], v[12:13] op_sel_hi:[1,0,1]
	v_cvt_f32_i32_e32 v23, v37
	v_cvt_f32_i32_e32 v22, v38
	s_delay_alu instid0(VALU_DEP_4) | instskip(NEXT) | instid1(VALU_DEP_4)
	v_pk_fma_f32 v[10:11], v[24:25], v[20:21], v[10:11] op_sel_hi:[1,0,1]
	v_pk_fma_f32 v[12:13], v[30:31], v[20:21], v[12:13] op_sel_hi:[1,0,1]
	s_delay_alu instid0(VALU_DEP_2) | instskip(NEXT) | instid1(VALU_DEP_2)
	v_pk_fma_f32 v[10:11], v[32:33], v[26:27], v[10:11] op_sel_hi:[1,0,1]
	v_pk_fma_f32 v[12:13], v[22:23], v[26:27], v[12:13] op_sel_hi:[1,0,1]
	s_and_not1_b32 exec_lo, exec_lo, s6
	s_cbranch_execnz .LBB84_29
; %bb.30:
	s_or_b32 exec_lo, exec_lo, s6
	s_delay_alu instid0(VALU_DEP_1)
	v_mov_b64_e32 v[14:15], v[12:13]
.LBB84_31:
	s_or_b32 exec_lo, exec_lo, s2
	s_delay_alu instid0(SALU_CYCLE_1)
	s_mov_b32 s2, exec_lo
	v_cmpx_lt_u64_e32 0xbf, v[16:17]
	s_cbranch_execz .LBB84_35
; %bb.32:
	v_lshl_add_u64 v[12:13], v[6:7], 2, s[8:9]
	s_mov_b32 s6, 0
	s_delay_alu instid0(VALU_DEP_1)
	v_add_nc_u64_e32 v[12:13], 0x200, v[12:13]
.LBB84_33:                              ; =>This Inner Loop Header: Depth=1
	s_clause 0x3
	global_load_b32 v1, v[12:13], off offset:-512
	global_load_b32 v3, v[12:13], off offset:-256
	global_load_b32 v28, v[12:13], off
	global_load_b32 v29, v[12:13], off offset:256
	s_clause 0x2
	global_load_b128 v[16:19], v[8:9], off
	global_load_b128 v[20:23], v[8:9], off offset:1024
	global_load_b128 v[24:27], v[8:9], off offset:2048
	v_add_nc_u64_e32 v[6:7], 0x100, v[6:7]
	s_wait_xcnt 0x3
	v_add_nc_u64_e32 v[12:13], 0x400, v[12:13]
	s_delay_alu instid0(VALU_DEP_2)
	v_cmp_ge_i64_e32 vcc_lo, v[6:7], v[4:5]
	s_or_b32 s6, vcc_lo, s6
	s_wait_loadcnt 0x6
	v_subrev_nc_u32_e32 v1, s16, v1
	s_wait_loadcnt 0x5
	v_subrev_nc_u32_e32 v3, s16, v3
	s_wait_loadcnt 0x4
	v_subrev_nc_u32_e32 v32, s16, v28
	s_wait_loadcnt 0x3
	v_subrev_nc_u32_e32 v33, s16, v29
	s_wait_loadcnt 0x2
	v_dual_ashrrev_i32 v37, 24, v16 :: v_dual_ashrrev_i32 v39, 24, v17
	s_wait_kmcnt 0x0
	s_clause 0x2
	global_load_b32 v34, v1, s[4:5] scale_offset
	global_load_b32 v50, v3, s[4:5] scale_offset
	global_load_b32 v51, v32, s[4:5] scale_offset
	global_load_b128 v[28:31], v[8:9], off offset:3072
	global_load_b32 v52, v33, s[4:5] scale_offset
	s_wait_xcnt 0x4
	v_bfe_i32 v1, v16, 8, 8
	s_wait_xcnt 0x3
	v_bfe_i32 v3, v16, 0, 8
	;; [unrolled: 2-line block ×4, first 2 shown]
	v_bfe_i32 v40, v17, 16, 8
	v_cvt_f32_i32_e32 v17, v1
	v_bfe_i32 v35, v18, 8, 8
	v_bfe_i32 v36, v18, 0, 8
	;; [unrolled: 1-line block ×3, first 2 shown]
	v_dual_ashrrev_i32 v41, 24, v18 :: v_dual_ashrrev_i32 v45, 24, v19
	v_bfe_i32 v42, v18, 16, 8
	v_bfe_i32 v43, v19, 8, 8
	;; [unrolled: 1-line block ×4, first 2 shown]
	v_cvt_f32_i32_e32 v16, v3
	s_wait_loadcnt 0x6
	v_bfe_i32 v46, v20, 8, 8
	v_bfe_i32 v47, v20, 0, 8
	v_bfe_i32 v48, v21, 8, 8
	v_bfe_i32 v49, v21, 0, 8
	v_bfe_i32 v53, v22, 8, 8
	v_bfe_i32 v54, v22, 0, 8
	s_wait_loadcnt 0x5
	v_bfe_i32 v3, v27, 0, 8
	v_dual_ashrrev_i32 v63, 24, v22 :: v_dual_ashrrev_i32 v65, 24, v23
	v_bfe_i32 v64, v22, 16, 8
	v_bfe_i32 v55, v23, 8, 8
	v_bfe_i32 v56, v23, 0, 8
	v_bfe_i32 v66, v23, 16, 8
	v_bfe_i32 v57, v24, 8, 8
	v_bfe_i32 v58, v24, 0, 8
	v_ashrrev_i32_e32 v67, 24, v24
	v_bfe_i32 v68, v24, 16, 8
	v_bfe_i32 v59, v25, 8, 8
	;; [unrolled: 1-line block ×4, first 2 shown]
	v_cvt_f32_i32_e32 v23, v57
	v_cvt_f32_i32_e32 v22, v58
	v_bfe_i32 v61, v26, 8, 8
	v_bfe_i32 v62, v26, 0, 8
	v_dual_ashrrev_i32 v70, 24, v26 :: v_dual_ashrrev_i32 v72, 24, v27
	v_bfe_i32 v71, v26, 16, 8
	v_cvt_f32_i32_e32 v24, v60
	v_bfe_i32 v73, v27, 16, 8
	v_cvt_f32_i32_e32 v26, v62
	v_add_nc_u64_e32 v[8:9], 0x1000, v[8:9]
	s_wait_loadcnt 0x4
	v_bfe_i32 v1, v34, 0, 8
	s_wait_loadcnt 0x1
	v_dual_ashrrev_i32 v75, 24, v29 :: v_dual_ashrrev_i32 v79, 24, v30
	s_delay_alu instid0(VALU_DEP_2)
	v_cvt_f32_i32_e32 v18, v1
	v_bfe_i32 v1, v27, 8, 8
	v_bfe_i32 v76, v29, 16, 8
	;; [unrolled: 1-line block ×4, first 2 shown]
	v_pk_fma_f32 v[10:11], v[16:17], v[18:19], v[10:11] op_sel_hi:[1,0,1]
	v_cvt_f32_i32_e32 v17, v37
	v_cvt_f32_i32_e32 v16, v38
	v_ashrrev_i32_e32 v38, 24, v20
	v_bfe_i32 v20, v20, 16, 8
	v_bfe_i32 v37, v28, 8, 8
	;; [unrolled: 1-line block ×3, first 2 shown]
	v_pk_fma_f32 v[14:15], v[16:17], v[18:19], v[14:15] op_sel_hi:[1,0,1]
	v_bfe_i32 v18, v34, 8, 8
	v_cvt_f32_i32_e32 v17, v32
	v_cvt_f32_i32_e32 v16, v33
	v_bfe_i32 v32, v28, 0, 8
	v_bfe_i32 v33, v29, 8, 8
	v_cvt_f32_i32_e32 v18, v18
	v_bfe_i32 v74, v28, 16, 8
	v_bfe_i32 v81, v31, 8, 8
	v_cvt_f32_i32_e32 v30, v32
	v_bfe_i32 v82, v31, 0, 8
	v_pk_fma_f32 v[10:11], v[16:17], v[18:19], v[10:11] op_sel_hi:[1,0,1]
	v_cvt_f32_i32_e32 v17, v39
	v_cvt_f32_i32_e32 v16, v40
	v_ashrrev_i32_e32 v39, 24, v21
	v_bfe_i32 v40, v21, 16, 8
	v_ashrrev_i32_e32 v83, 24, v31
	v_bfe_i32 v84, v31, 16, 8
	v_pk_fma_f32 v[14:15], v[16:17], v[18:19], v[14:15] op_sel_hi:[1,0,1]
	v_bfe_i32 v18, v34, 16, 8
	v_cvt_f32_i32_e32 v17, v35
	v_cvt_f32_i32_e32 v16, v36
	;; [unrolled: 1-line block ×9, first 2 shown]
	v_pk_fma_f32 v[10:11], v[16:17], v[18:19], v[10:11] op_sel_hi:[1,0,1]
	v_cvt_f32_i32_e32 v17, v41
	v_cvt_f32_i32_e32 v16, v42
	v_ashrrev_i32_e32 v42, 24, v25
	v_cvt_f32_i32_e32 v41, v67
	v_cvt_f32_i32_e32 v25, v59
	;; [unrolled: 1-line block ×3, first 2 shown]
	v_pk_fma_f32 v[14:15], v[16:17], v[18:19], v[14:15] op_sel_hi:[1,0,1]
	v_ashrrev_i32_e32 v18, 24, v34
	v_cvt_f32_i32_e32 v17, v43
	v_cvt_f32_i32_e32 v16, v44
	v_bfe_i32 v34, v29, 0, 8
	v_cvt_f32_i32_e32 v29, v1
	v_cvt_f32_i32_e32 v18, v18
	v_bfe_i32 v1, v50, 16, 8
	v_cvt_f32_i32_e32 v43, v42
	v_cvt_f32_i32_e32 v32, v34
	;; [unrolled: 1-line block ×3, first 2 shown]
	v_pk_fma_f32 v[10:11], v[16:17], v[18:19], v[10:11] op_sel_hi:[1,0,1]
	v_cvt_f32_i32_e32 v17, v45
	v_cvt_f32_i32_e32 v16, v19
	v_ashrrev_i32_e32 v19, 24, v28
	v_cvt_f32_i32_e32 v28, v3
	v_ashrrev_i32_e32 v3, 24, v50
	v_cvt_f32_i32_e32 v40, v68
	v_cvt_f32_i32_e32 v42, v69
	v_pk_fma_f32 v[14:15], v[16:17], v[18:19], v[14:15] op_sel_hi:[1,0,1]
	v_bfe_i32 v18, v50, 0, 8
	v_cvt_f32_i32_e32 v17, v46
	v_cvt_f32_i32_e32 v16, v47
	;; [unrolled: 1-line block ×8, first 2 shown]
	s_delay_alu instid0(VALU_DEP_4) | instskip(SKIP_4) | instid1(VALU_DEP_3)
	v_pk_fma_f32 v[10:11], v[16:17], v[18:19], v[10:11] op_sel_hi:[1,0,1]
	v_cvt_f32_i32_e32 v17, v38
	v_cvt_f32_i32_e32 v16, v20
	;; [unrolled: 1-line block ×4, first 2 shown]
	v_pk_fma_f32 v[14:15], v[16:17], v[18:19], v[14:15] op_sel_hi:[1,0,1]
	v_bfe_i32 v18, v50, 8, 8
	v_cvt_f32_i32_e32 v17, v48
	v_cvt_f32_i32_e32 v16, v49
	;; [unrolled: 1-line block ×5, first 2 shown]
	s_delay_alu instid0(VALU_DEP_1)
	v_pk_fma_f32 v[10:11], v[16:17], v[18:19], v[10:11] op_sel_hi:[1,0,1]
	v_cvt_f32_i32_e32 v17, v53
	v_cvt_f32_i32_e32 v16, v54
	v_pk_fma_f32 v[14:15], v[34:35], v[18:19], v[14:15] op_sel_hi:[1,0,1]
	v_cvt_f32_i32_e32 v18, v1
	v_cvt_f32_i32_e32 v19, v75
	v_bfe_i32 v1, v51, 0, 8
	v_cvt_f32_i32_e32 v34, v3
	v_bfe_i32 v3, v51, 8, 8
	s_delay_alu instid0(VALU_DEP_4)
	v_pk_fma_f32 v[10:11], v[16:17], v[18:19], v[10:11] op_sel_hi:[1,0,1]
	v_pk_fma_f32 v[14:15], v[36:37], v[18:19], v[14:15] op_sel_hi:[1,0,1]
	v_cvt_f32_i32_e32 v16, v1
	v_cvt_f32_i32_e32 v17, v77
	v_bfe_i32 v1, v51, 16, 8
	v_pk_fma_f32 v[10:11], v[20:21], v[34:35], v[10:11] op_sel_hi:[1,0,1]
	v_pk_fma_f32 v[14:15], v[38:39], v[34:35], v[14:15] op_sel_hi:[1,0,1]
	v_cvt_f32_i32_e32 v20, v3
	v_ashrrev_i32_e32 v3, 24, v51
	v_cvt_f32_i32_e32 v18, v76
	v_pk_fma_f32 v[10:11], v[22:23], v[16:17], v[10:11] op_sel_hi:[1,0,1]
	v_pk_fma_f32 v[14:15], v[40:41], v[16:17], v[14:15] op_sel_hi:[1,0,1]
	v_cvt_f32_i32_e32 v22, v1
	s_wait_loadcnt 0x0
	v_bfe_i32 v1, v52, 0, 8
	v_cvt_f32_i32_e32 v16, v78
	v_pk_fma_f32 v[10:11], v[24:25], v[20:21], v[10:11] op_sel_hi:[1,0,1]
	v_pk_fma_f32 v[14:15], v[42:43], v[20:21], v[14:15] op_sel_hi:[1,0,1]
	v_cvt_f32_i32_e32 v24, v3
	v_bfe_i32 v3, v52, 8, 8
	v_cvt_f32_i32_e32 v21, v79
	v_pk_fma_f32 v[10:11], v[26:27], v[22:23], v[10:11] op_sel_hi:[1,0,1]
	v_pk_fma_f32 v[14:15], v[44:45], v[22:23], v[14:15] op_sel_hi:[1,0,1]
	v_cvt_f32_i32_e32 v22, v1
	v_cvt_f32_i32_e32 v23, v81
	v_bfe_i32 v1, v52, 16, 8
	v_pk_fma_f32 v[10:11], v[28:29], v[24:25], v[10:11] op_sel_hi:[1,0,1]
	v_pk_fma_f32 v[14:15], v[46:47], v[24:25], v[14:15] op_sel_hi:[1,0,1]
	v_cvt_f32_i32_e32 v24, v3
	v_cvt_f32_i32_e32 v20, v80
	v_ashrrev_i32_e32 v3, 24, v52
	v_pk_fma_f32 v[10:11], v[30:31], v[22:23], v[10:11] op_sel_hi:[1,0,1]
	v_pk_fma_f32 v[14:15], v[48:49], v[22:23], v[14:15] op_sel_hi:[1,0,1]
	v_cvt_f32_i32_e32 v26, v1
	v_cvt_f32_i32_e32 v22, v82
	s_delay_alu instid0(VALU_DEP_4) | instskip(NEXT) | instid1(VALU_DEP_4)
	v_pk_fma_f32 v[10:11], v[32:33], v[24:25], v[10:11] op_sel_hi:[1,0,1]
	v_pk_fma_f32 v[14:15], v[18:19], v[24:25], v[14:15] op_sel_hi:[1,0,1]
	v_cvt_f32_i32_e32 v19, v83
	v_cvt_f32_i32_e32 v18, v84
	;; [unrolled: 1-line block ×3, first 2 shown]
	v_pk_fma_f32 v[10:11], v[16:17], v[26:27], v[10:11] op_sel_hi:[1,0,1]
	v_pk_fma_f32 v[14:15], v[20:21], v[26:27], v[14:15] op_sel_hi:[1,0,1]
	s_delay_alu instid0(VALU_DEP_2) | instskip(NEXT) | instid1(VALU_DEP_2)
	v_pk_fma_f32 v[10:11], v[22:23], v[24:25], v[10:11] op_sel_hi:[1,0,1]
	v_pk_fma_f32 v[14:15], v[18:19], v[24:25], v[14:15] op_sel_hi:[1,0,1]
	s_and_not1_b32 exec_lo, exec_lo, s6
	s_cbranch_execnz .LBB84_33
; %bb.34:
	s_or_b32 exec_lo, exec_lo, s6
	s_delay_alu instid0(VALU_DEP_1)
	v_dual_mov_b32 v13, v15 :: v_dual_mov_b32 v12, v14
.LBB84_35:
	s_or_b32 exec_lo, exec_lo, s2
.LBB84_36:
	s_delay_alu instid0(SALU_CYCLE_1)
	s_or_b32 exec_lo, exec_lo, s3
.LBB84_37:
	v_mbcnt_lo_u32_b32 v1, -1, 0
	s_mov_b32 s2, -1
	s_delay_alu instid0(VALU_DEP_1) | instskip(NEXT) | instid1(VALU_DEP_1)
	v_or_b32_e32 v3, 32, v1
	v_cmp_gt_i32_e32 vcc_lo, 32, v3
	v_cndmask_b32_e32 v3, v1, v3, vcc_lo
	s_delay_alu instid0(VALU_DEP_1)
	v_lshlrev_b32_e32 v3, 2, v3
	ds_bpermute_b32 v4, v3, v10
	ds_bpermute_b32 v5, v3, v11
	ds_bpermute_b32 v6, v3, v12
	ds_bpermute_b32 v7, v3, v13
	v_xor_b32_e32 v3, 16, v1
	s_delay_alu instid0(VALU_DEP_1) | instskip(SKIP_1) | instid1(VALU_DEP_1)
	v_cmp_gt_i32_e32 vcc_lo, 32, v3
	v_cndmask_b32_e32 v3, v1, v3, vcc_lo
	v_lshlrev_b32_e32 v3, 2, v3
	s_wait_dscnt 0x2
	v_pk_add_f32 v[4:5], v[10:11], v[4:5]
	s_wait_dscnt 0x0
	v_pk_add_f32 v[6:7], v[12:13], v[6:7]
	ds_bpermute_b32 v8, v3, v4
	ds_bpermute_b32 v9, v3, v5
	ds_bpermute_b32 v10, v3, v6
	ds_bpermute_b32 v11, v3, v7
	v_xor_b32_e32 v3, 8, v1
	s_delay_alu instid0(VALU_DEP_1) | instskip(SKIP_1) | instid1(VALU_DEP_1)
	v_cmp_gt_i32_e32 vcc_lo, 32, v3
	v_cndmask_b32_e32 v3, v1, v3, vcc_lo
	v_lshlrev_b32_e32 v3, 2, v3
	s_wait_dscnt 0x2
	v_pk_add_f32 v[4:5], v[4:5], v[8:9]
	s_wait_dscnt 0x0
	v_pk_add_f32 v[6:7], v[6:7], v[10:11]
	;; [unrolled: 13-line block ×4, first 2 shown]
	ds_bpermute_b32 v8, v3, v4
	ds_bpermute_b32 v9, v3, v5
	;; [unrolled: 1-line block ×4, first 2 shown]
	v_xor_b32_e32 v3, 1, v1
	s_delay_alu instid0(VALU_DEP_1) | instskip(SKIP_2) | instid1(VALU_DEP_2)
	v_cmp_gt_i32_e32 vcc_lo, 32, v3
	v_cndmask_b32_e32 v1, v1, v3, vcc_lo
	v_cmp_eq_u32_e32 vcc_lo, 63, v0
	v_lshlrev_b32_e32 v1, 2, v1
	s_wait_dscnt 0x2
	v_pk_add_f32 v[4:5], v[4:5], v[8:9]
	s_wait_dscnt 0x0
	v_pk_add_f32 v[6:7], v[6:7], v[10:11]
	ds_bpermute_b32 v10, v1, v4
	ds_bpermute_b32 v11, v1, v5
	ds_bpermute_b32 v8, v1, v6
	ds_bpermute_b32 v9, v1, v7
	s_and_b32 exec_lo, exec_lo, vcc_lo
	s_cbranch_execz .LBB84_10
; %bb.38:
	s_load_b64 s[0:1], s[0:1], 0x50
	s_wait_dscnt 0x2
	v_pk_add_f32 v[4:5], v[4:5], v[10:11]
	s_wait_dscnt 0x0
	v_pk_add_f32 v[0:1], v[6:7], v[8:9]
	v_lshlrev_b32_e32 v2, 2, v2
	s_cmp_eq_f32 s14, 0
	s_cbranch_scc0 .LBB84_40
; %bb.39:
	s_delay_alu instid0(VALU_DEP_1)
	v_ashrrev_i32_e32 v3, 31, v2
	v_pk_mul_f32 v[6:7], s[12:13], v[4:5] op_sel_hi:[0,1]
	v_pk_mul_f32 v[8:9], s[12:13], v[0:1] op_sel_hi:[0,1]
	s_mov_b32 s2, 0
	s_wait_kmcnt 0x0
	v_lshl_add_u64 v[10:11], v[2:3], 2, s[0:1]
	global_store_b128 v[10:11], v[6:9], off
.LBB84_40:
	s_and_not1_b32 vcc_lo, exec_lo, s2
	s_cbranch_vccnz .LBB84_10
; %bb.41:
	v_ashrrev_i32_e32 v3, 31, v2
	s_wait_kmcnt 0x0
	s_delay_alu instid0(VALU_DEP_1)
	v_lshl_add_u64 v[10:11], v[2:3], 2, s[0:1]
	v_pk_mul_f32 v[2:3], s[12:13], v[4:5] op_sel_hi:[0,1]
	v_pk_mul_f32 v[4:5], s[12:13], v[0:1] op_sel_hi:[0,1]
	global_load_b128 v[6:9], v[10:11], off
	s_wait_loadcnt 0x0
	v_pk_fma_f32 v[0:1], s[14:15], v[6:7], v[2:3] op_sel_hi:[0,1,1]
	v_pk_fma_f32 v[2:3], s[14:15], v[8:9], v[4:5] op_sel_hi:[0,1,1]
	global_store_b128 v[10:11], v[0:3], off
	s_sendmsg sendmsg(MSG_DEALLOC_VGPRS)
	s_endpgm
	.section	.rodata,"a",@progbits
	.p2align	6, 0x0
	.amdhsa_kernel _ZN9rocsparseL18bsrxmvn_4x4_kernelILj128ELj64EfliaafEEvT3_20rocsparse_direction_NS_24const_host_device_scalarIT1_EES1_PKS1_PKT2_SA_S7_PKT4_PKT5_S5_PT6_21rocsparse_index_base_b
		.amdhsa_group_segment_fixed_size 0
		.amdhsa_private_segment_fixed_size 0
		.amdhsa_kernarg_size 96
		.amdhsa_user_sgpr_count 2
		.amdhsa_user_sgpr_dispatch_ptr 0
		.amdhsa_user_sgpr_queue_ptr 0
		.amdhsa_user_sgpr_kernarg_segment_ptr 1
		.amdhsa_user_sgpr_dispatch_id 0
		.amdhsa_user_sgpr_kernarg_preload_length 0
		.amdhsa_user_sgpr_kernarg_preload_offset 0
		.amdhsa_user_sgpr_private_segment_size 0
		.amdhsa_wavefront_size32 1
		.amdhsa_uses_dynamic_stack 0
		.amdhsa_enable_private_segment 0
		.amdhsa_system_sgpr_workgroup_id_x 1
		.amdhsa_system_sgpr_workgroup_id_y 0
		.amdhsa_system_sgpr_workgroup_id_z 0
		.amdhsa_system_sgpr_workgroup_info 0
		.amdhsa_system_vgpr_workitem_id 0
		.amdhsa_next_free_vgpr 89
		.amdhsa_next_free_sgpr 18
		.amdhsa_named_barrier_count 0
		.amdhsa_reserve_vcc 1
		.amdhsa_float_round_mode_32 0
		.amdhsa_float_round_mode_16_64 0
		.amdhsa_float_denorm_mode_32 3
		.amdhsa_float_denorm_mode_16_64 3
		.amdhsa_fp16_overflow 0
		.amdhsa_memory_ordered 1
		.amdhsa_forward_progress 1
		.amdhsa_inst_pref_size 43
		.amdhsa_round_robin_scheduling 0
		.amdhsa_exception_fp_ieee_invalid_op 0
		.amdhsa_exception_fp_denorm_src 0
		.amdhsa_exception_fp_ieee_div_zero 0
		.amdhsa_exception_fp_ieee_overflow 0
		.amdhsa_exception_fp_ieee_underflow 0
		.amdhsa_exception_fp_ieee_inexact 0
		.amdhsa_exception_int_div_zero 0
	.end_amdhsa_kernel
	.section	.text._ZN9rocsparseL18bsrxmvn_4x4_kernelILj128ELj64EfliaafEEvT3_20rocsparse_direction_NS_24const_host_device_scalarIT1_EES1_PKS1_PKT2_SA_S7_PKT4_PKT5_S5_PT6_21rocsparse_index_base_b,"axG",@progbits,_ZN9rocsparseL18bsrxmvn_4x4_kernelILj128ELj64EfliaafEEvT3_20rocsparse_direction_NS_24const_host_device_scalarIT1_EES1_PKS1_PKT2_SA_S7_PKT4_PKT5_S5_PT6_21rocsparse_index_base_b,comdat
.Lfunc_end84:
	.size	_ZN9rocsparseL18bsrxmvn_4x4_kernelILj128ELj64EfliaafEEvT3_20rocsparse_direction_NS_24const_host_device_scalarIT1_EES1_PKS1_PKT2_SA_S7_PKT4_PKT5_S5_PT6_21rocsparse_index_base_b, .Lfunc_end84-_ZN9rocsparseL18bsrxmvn_4x4_kernelILj128ELj64EfliaafEEvT3_20rocsparse_direction_NS_24const_host_device_scalarIT1_EES1_PKS1_PKT2_SA_S7_PKT4_PKT5_S5_PT6_21rocsparse_index_base_b
                                        ; -- End function
	.set _ZN9rocsparseL18bsrxmvn_4x4_kernelILj128ELj64EfliaafEEvT3_20rocsparse_direction_NS_24const_host_device_scalarIT1_EES1_PKS1_PKT2_SA_S7_PKT4_PKT5_S5_PT6_21rocsparse_index_base_b.num_vgpr, 89
	.set _ZN9rocsparseL18bsrxmvn_4x4_kernelILj128ELj64EfliaafEEvT3_20rocsparse_direction_NS_24const_host_device_scalarIT1_EES1_PKS1_PKT2_SA_S7_PKT4_PKT5_S5_PT6_21rocsparse_index_base_b.num_agpr, 0
	.set _ZN9rocsparseL18bsrxmvn_4x4_kernelILj128ELj64EfliaafEEvT3_20rocsparse_direction_NS_24const_host_device_scalarIT1_EES1_PKS1_PKT2_SA_S7_PKT4_PKT5_S5_PT6_21rocsparse_index_base_b.numbered_sgpr, 18
	.set _ZN9rocsparseL18bsrxmvn_4x4_kernelILj128ELj64EfliaafEEvT3_20rocsparse_direction_NS_24const_host_device_scalarIT1_EES1_PKS1_PKT2_SA_S7_PKT4_PKT5_S5_PT6_21rocsparse_index_base_b.num_named_barrier, 0
	.set _ZN9rocsparseL18bsrxmvn_4x4_kernelILj128ELj64EfliaafEEvT3_20rocsparse_direction_NS_24const_host_device_scalarIT1_EES1_PKS1_PKT2_SA_S7_PKT4_PKT5_S5_PT6_21rocsparse_index_base_b.private_seg_size, 0
	.set _ZN9rocsparseL18bsrxmvn_4x4_kernelILj128ELj64EfliaafEEvT3_20rocsparse_direction_NS_24const_host_device_scalarIT1_EES1_PKS1_PKT2_SA_S7_PKT4_PKT5_S5_PT6_21rocsparse_index_base_b.uses_vcc, 1
	.set _ZN9rocsparseL18bsrxmvn_4x4_kernelILj128ELj64EfliaafEEvT3_20rocsparse_direction_NS_24const_host_device_scalarIT1_EES1_PKS1_PKT2_SA_S7_PKT4_PKT5_S5_PT6_21rocsparse_index_base_b.uses_flat_scratch, 0
	.set _ZN9rocsparseL18bsrxmvn_4x4_kernelILj128ELj64EfliaafEEvT3_20rocsparse_direction_NS_24const_host_device_scalarIT1_EES1_PKS1_PKT2_SA_S7_PKT4_PKT5_S5_PT6_21rocsparse_index_base_b.has_dyn_sized_stack, 0
	.set _ZN9rocsparseL18bsrxmvn_4x4_kernelILj128ELj64EfliaafEEvT3_20rocsparse_direction_NS_24const_host_device_scalarIT1_EES1_PKS1_PKT2_SA_S7_PKT4_PKT5_S5_PT6_21rocsparse_index_base_b.has_recursion, 0
	.set _ZN9rocsparseL18bsrxmvn_4x4_kernelILj128ELj64EfliaafEEvT3_20rocsparse_direction_NS_24const_host_device_scalarIT1_EES1_PKS1_PKT2_SA_S7_PKT4_PKT5_S5_PT6_21rocsparse_index_base_b.has_indirect_call, 0
	.section	.AMDGPU.csdata,"",@progbits
; Kernel info:
; codeLenInByte = 5480
; TotalNumSgprs: 20
; NumVgprs: 89
; ScratchSize: 0
; MemoryBound: 0
; FloatMode: 240
; IeeeMode: 1
; LDSByteSize: 0 bytes/workgroup (compile time only)
; SGPRBlocks: 0
; VGPRBlocks: 5
; NumSGPRsForWavesPerEU: 20
; NumVGPRsForWavesPerEU: 89
; NamedBarCnt: 0
; Occupancy: 10
; WaveLimiterHint : 1
; COMPUTE_PGM_RSRC2:SCRATCH_EN: 0
; COMPUTE_PGM_RSRC2:USER_SGPR: 2
; COMPUTE_PGM_RSRC2:TRAP_HANDLER: 0
; COMPUTE_PGM_RSRC2:TGID_X_EN: 1
; COMPUTE_PGM_RSRC2:TGID_Y_EN: 0
; COMPUTE_PGM_RSRC2:TGID_Z_EN: 0
; COMPUTE_PGM_RSRC2:TIDIG_COMP_CNT: 0
	.section	.text._ZN9rocsparseL18bsrxmvn_4x4_kernelILj128ELj4EfllaafEEvT3_20rocsparse_direction_NS_24const_host_device_scalarIT1_EES1_PKS1_PKT2_SA_S7_PKT4_PKT5_S5_PT6_21rocsparse_index_base_b,"axG",@progbits,_ZN9rocsparseL18bsrxmvn_4x4_kernelILj128ELj4EfllaafEEvT3_20rocsparse_direction_NS_24const_host_device_scalarIT1_EES1_PKS1_PKT2_SA_S7_PKT4_PKT5_S5_PT6_21rocsparse_index_base_b,comdat
	.globl	_ZN9rocsparseL18bsrxmvn_4x4_kernelILj128ELj4EfllaafEEvT3_20rocsparse_direction_NS_24const_host_device_scalarIT1_EES1_PKS1_PKT2_SA_S7_PKT4_PKT5_S5_PT6_21rocsparse_index_base_b ; -- Begin function _ZN9rocsparseL18bsrxmvn_4x4_kernelILj128ELj4EfllaafEEvT3_20rocsparse_direction_NS_24const_host_device_scalarIT1_EES1_PKS1_PKT2_SA_S7_PKT4_PKT5_S5_PT6_21rocsparse_index_base_b
	.p2align	8
	.type	_ZN9rocsparseL18bsrxmvn_4x4_kernelILj128ELj4EfllaafEEvT3_20rocsparse_direction_NS_24const_host_device_scalarIT1_EES1_PKS1_PKT2_SA_S7_PKT4_PKT5_S5_PT6_21rocsparse_index_base_b,@function
_ZN9rocsparseL18bsrxmvn_4x4_kernelILj128ELj4EfllaafEEvT3_20rocsparse_direction_NS_24const_host_device_scalarIT1_EES1_PKS1_PKT2_SA_S7_PKT4_PKT5_S5_PT6_21rocsparse_index_base_b: ; @_ZN9rocsparseL18bsrxmvn_4x4_kernelILj128ELj4EfllaafEEvT3_20rocsparse_direction_NS_24const_host_device_scalarIT1_EES1_PKS1_PKT2_SA_S7_PKT4_PKT5_S5_PT6_21rocsparse_index_base_b
; %bb.0:
	s_clause 0x2
	s_load_b64 s[2:3], s[0:1], 0x60
	s_load_b128 s[12:15], s[0:1], 0x10
	s_load_b64 s[16:17], s[0:1], 0x50
	s_wait_kmcnt 0x0
	s_bitcmp1_b32 s3, 0
	s_cselect_b32 s3, -1, 0
	s_delay_alu instid0(SALU_CYCLE_1)
	s_and_b32 vcc_lo, exec_lo, s3
	s_xor_b32 s3, s3, -1
	s_cbranch_vccnz .LBB85_2
; %bb.1:
	s_load_b32 s12, s[12:13], 0x0
.LBB85_2:
	s_and_not1_b32 vcc_lo, exec_lo, s3
	s_cbranch_vccnz .LBB85_4
; %bb.3:
	s_load_b32 s16, s[16:17], 0x0
.LBB85_4:
	s_wait_kmcnt 0x0
	s_cmp_neq_f32 s12, 0
	s_mov_b32 s6, 0
	s_cselect_b32 s3, -1, 0
	s_cmp_neq_f32 s16, 1.0
	s_cselect_b32 s4, -1, 0
	s_delay_alu instid0(SALU_CYCLE_1) | instskip(NEXT) | instid1(SALU_CYCLE_1)
	s_or_b32 s3, s3, s4
	s_and_not1_b32 vcc_lo, exec_lo, s3
	s_cbranch_vccnz .LBB85_10
; %bb.5:
	s_load_b64 s[4:5], s[0:1], 0x20
	s_bfe_u32 s3, ttmp6, 0x4000c
	s_and_b32 s7, ttmp6, 15
	s_add_co_i32 s3, s3, 1
	s_getreg_b32 s8, hwreg(HW_REG_IB_STS2, 6, 4)
	s_mul_i32 s3, ttmp9, s3
	v_dual_lshrrev_b32 v1, 2, v0 :: v_dual_mov_b32 v7, 0
	s_add_co_i32 s7, s7, s3
	s_cmp_eq_u32 s8, 0
	s_cselect_b32 s3, ttmp9, s7
	s_delay_alu instid0(VALU_DEP_1) | instid1(SALU_CYCLE_1)
	v_lshl_or_b32 v6, s3, 5, v1
	s_wait_kmcnt 0x0
	s_cmp_lg_u64 s[4:5], 0
	s_cbranch_scc0 .LBB85_11
; %bb.6:
	s_mov_b32 s7, 0
                                        ; implicit-def: $vgpr2_vgpr3
                                        ; implicit-def: $vgpr4_vgpr5
	s_mov_b32 s3, exec_lo
	v_cmpx_gt_i64_e64 s[14:15], v[6:7]
	s_xor_b32 s8, exec_lo, s3
	s_cbranch_execz .LBB85_8
; %bb.7:
	v_lshl_add_u64 v[2:3], v[6:7], 3, s[4:5]
	s_mov_b32 s3, 0
	s_mov_b32 s6, exec_lo
	v_mov_b64_e32 v[4:5], s[2:3]
	global_load_b64 v[2:3], v[2:3], off
	s_wait_loadcnt 0x0
	v_sub_nc_u64_e64 v[2:3], v[2:3], s[2:3]
.LBB85_8:
	s_or_b32 exec_lo, exec_lo, s8
	s_delay_alu instid0(SALU_CYCLE_1)
	s_and_b32 vcc_lo, exec_lo, s7
	s_cbranch_vccnz .LBB85_12
.LBB85_9:
	s_and_saveexec_b32 s2, s6
	s_cbranch_execnz .LBB85_15
.LBB85_10:
	s_sendmsg sendmsg(MSG_DEALLOC_VGPRS)
	s_endpgm
.LBB85_11:
                                        ; implicit-def: $vgpr2_vgpr3
                                        ; implicit-def: $vgpr4_vgpr5
	s_cbranch_execz .LBB85_9
.LBB85_12:
	s_load_b64 s[4:5], s[0:1], 0x0
	s_wait_kmcnt 0x0
	v_cmp_gt_i64_e32 vcc_lo, s[4:5], v[6:7]
	s_and_saveexec_b32 s4, vcc_lo
; %bb.13:
	s_mov_b32 s3, 0
	s_or_b32 s6, s6, exec_lo
; %bb.14:
	s_or_b32 exec_lo, exec_lo, s4
	v_mov_b64_e32 v[4:5], s[2:3]
	v_mov_b64_e32 v[2:3], v[6:7]
	s_and_saveexec_b32 s2, s6
	s_cbranch_execz .LBB85_10
.LBB85_15:
	s_load_b256 s[4:11], s[0:1], 0x28
	s_delay_alu instid0(VALU_DEP_1) | instskip(SKIP_2) | instid1(VALU_DEP_2)
	v_lshlrev_b64_e32 v[6:7], 3, v[2:3]
	v_dual_mov_b32 v1, 0 :: v_dual_bitop2_b32 v0, 3, v0 bitop3:0x40
	s_wait_kmcnt 0x0
	v_add_nc_u64_e32 v[8:9], s[4:5], v[6:7]
	v_add_nc_u64_e32 v[6:7], s[6:7], v[6:7]
	s_cmp_eq_u64 s[6:7], 0
	s_cselect_b32 vcc_lo, -1, 0
	s_delay_alu instid0(VALU_DEP_2)
	v_add_nc_u64_e32 v[10:11], 8, v[8:9]
	global_load_b64 v[16:17], v[8:9], off
	v_dual_cndmask_b32 v7, v7, v11 :: v_dual_cndmask_b32 v6, v6, v10
	global_load_b64 v[6:7], v[6:7], off
	s_clause 0x1
	s_load_b32 s3, s[0:1], 0x8
	s_load_b64 s[4:5], s[0:1], 0x48
	s_wait_kmcnt 0x0
	s_cmp_eq_u32 s3, 1
	s_wait_loadcnt 0x1
	v_sub_nc_u64_e32 v[8:9], v[16:17], v[4:5]
	s_delay_alu instid0(VALU_DEP_1) | instskip(SKIP_2) | instid1(VALU_DEP_2)
	v_add_nc_u64_e32 v[8:9], v[8:9], v[0:1]
	s_wait_loadcnt 0x0
	v_sub_nc_u64_e32 v[6:7], v[6:7], v[4:5]
	v_lshl_add_u64 v[10:11], v[8:9], 4, s[10:11]
	s_delay_alu instid0(VALU_DEP_2)
	v_cmp_lt_i64_e64 s2, v[8:9], v[6:7]
	s_cbranch_scc1 .LBB85_27
; %bb.16:
	v_dual_mov_b32 v15, v1 :: v_dual_mov_b32 v14, v1
	v_dual_mov_b32 v13, v1 :: v_dual_mov_b32 v12, v1
	s_and_saveexec_b32 s3, s2
	s_cbranch_execz .LBB85_26
; %bb.17:
	v_dual_mov_b32 v13, v1 :: v_dual_bitop2_b32 v12, 4, v0 bitop3:0x54
	v_sub_nc_u64_e32 v[14:15], v[4:5], v[0:1]
	v_not_b32_e32 v19, v17
	v_not_b32_e32 v18, v16
	v_mov_b64_e32 v[20:21], v[10:11]
	v_sub_nc_u64_e32 v[12:13], v[12:13], v[4:5]
	s_delay_alu instid0(VALU_DEP_3) | instskip(SKIP_1) | instid1(VALU_DEP_3)
	v_add_nc_u64_e32 v[14:15], v[14:15], v[18:19]
	v_mov_b64_e32 v[18:19], v[8:9]
	v_add_nc_u64_e32 v[12:13], v[12:13], v[16:17]
	s_delay_alu instid0(VALU_DEP_1) | instskip(NEXT) | instid1(VALU_DEP_1)
	v_max_i64 v[12:13], v[12:13], v[6:7]
	v_add_nc_u64_e32 v[22:23], v[14:15], v[12:13]
	s_delay_alu instid0(VALU_DEP_1) | instskip(NEXT) | instid1(VALU_DEP_1)
	v_dual_mov_b32 v13, 0 :: v_dual_bitop2_b32 v12, 12, v22 bitop3:0x40
	v_dual_mov_b32 v14, v13 :: v_dual_mov_b32 v15, v13
	s_delay_alu instid0(VALU_DEP_2)
	v_cmp_ne_u64_e32 vcc_lo, 12, v[12:13]
	v_mov_b32_e32 v12, v13
	s_and_saveexec_b32 s6, vcc_lo
	s_cbranch_execz .LBB85_21
; %bb.18:
	v_dual_mov_b32 v13, 0 :: v_dual_lshrrev_b32 v12, 2, v22
	v_mov_b64_e32 v[20:21], v[10:11]
	v_mov_b64_e32 v[18:19], v[8:9]
	v_lshl_add_u64 v[24:25], v[8:9], 3, s[8:9]
	s_delay_alu instid0(VALU_DEP_4) | instskip(SKIP_1) | instid1(VALU_DEP_1)
	v_dual_add_nc_u32 v12, 1, v12 :: v_dual_mov_b32 v14, v13
	s_mov_b32 s7, 0
	v_dual_mov_b32 v15, v13 :: v_dual_bitop2_b32 v12, 3, v12 bitop3:0x40
	s_delay_alu instid0(VALU_DEP_1)
	v_sub_nc_u64_e32 v[26:27], 0, v[12:13]
	v_mov_b32_e32 v12, v13
.LBB85_19:                              ; =>This Inner Loop Header: Depth=1
	global_load_b64 v[28:29], v[24:25], off
	v_add_nc_u64_e32 v[26:27], 1, v[26:27]
	v_add_nc_u64_e32 v[18:19], 4, v[18:19]
	s_wait_xcnt 0x0
	v_add_nc_u64_e32 v[24:25], 32, v[24:25]
	s_delay_alu instid0(VALU_DEP_3) | instskip(SKIP_3) | instid1(VALU_DEP_1)
	v_cmp_eq_u64_e32 vcc_lo, 0, v[26:27]
	s_or_b32 s7, vcc_lo, s7
	s_wait_loadcnt 0x0
	v_sub_nc_u64_e32 v[28:29], v[28:29], v[4:5]
	v_lshl_add_u64 v[32:33], v[28:29], 2, s[4:5]
	global_load_b128 v[28:31], v[20:21], off
	global_load_b32 v43, v[32:33], off
	s_wait_xcnt 0x1
	v_add_nc_u64_e32 v[20:21], 64, v[20:21]
	s_wait_loadcnt 0x1
	s_wait_xcnt 0x0
	v_bfe_i32 v32, v29, 0, 8
	v_bfe_i32 v37, v28, 16, 8
	v_bfe_i32 v40, v31, 0, 8
	v_bfe_i32 v33, v28, 0, 8
	v_bfe_i32 v34, v29, 8, 8
	v_bfe_i32 v36, v29, 16, 8
	v_dual_ashrrev_i32 v38, 24, v29 :: v_dual_ashrrev_i32 v39, 24, v28
	v_bfe_i32 v41, v30, 0, 8
	v_bfe_i32 v42, v31, 8, 8
	;; [unrolled: 1-line block ×3, first 2 shown]
	v_cvt_f32_i32_e32 v29, v32
	v_cvt_f32_i32_e32 v32, v37
	;; [unrolled: 1-line block ×3, first 2 shown]
	s_wait_loadcnt 0x0
	v_bfe_i32 v40, v43, 0, 8
	v_bfe_i32 v35, v28, 8, 8
	;; [unrolled: 1-line block ×3, first 2 shown]
	v_dual_ashrrev_i32 v47, 24, v31 :: v_dual_ashrrev_i32 v48, 24, v30
	v_cvt_f32_i32_e32 v28, v33
	v_cvt_f32_i32_e32 v31, v34
	;; [unrolled: 1-line block ×6, first 2 shown]
	v_bfe_i32 v42, v43, 8, 8
	v_cvt_f32_i32_e32 v40, v40
	v_cvt_f32_i32_e32 v41, v45
	v_bfe_i32 v46, v30, 16, 8
	v_cvt_f32_i32_e32 v30, v35
	v_cvt_f32_i32_e32 v35, v38
	;; [unrolled: 1-line block ×3, first 2 shown]
	v_bfe_i32 v44, v43, 16, 8
	v_cvt_f32_i32_e32 v42, v42
	v_pk_fma_f32 v[12:13], v[28:29], v[40:41], v[12:13] op_sel_hi:[1,0,1]
	v_pk_fma_f32 v[14:15], v[36:37], v[40:41], v[14:15] op_sel_hi:[1,0,1]
	v_cvt_f32_i32_e32 v40, v46
	v_ashrrev_i32_e32 v29, 24, v43
	v_cvt_f32_i32_e32 v28, v44
	v_pk_fma_f32 v[12:13], v[30:31], v[42:43], v[12:13] op_sel_hi:[1,0,1]
	v_pk_fma_f32 v[14:15], v[38:39], v[42:43], v[14:15] op_sel_hi:[1,0,1]
	v_cvt_f32_i32_e32 v31, v47
	v_cvt_f32_i32_e32 v30, v48
	;; [unrolled: 1-line block ×3, first 2 shown]
	v_pk_fma_f32 v[12:13], v[32:33], v[28:29], v[12:13] op_sel_hi:[1,0,1]
	v_pk_fma_f32 v[14:15], v[40:41], v[28:29], v[14:15] op_sel_hi:[1,0,1]
	s_delay_alu instid0(VALU_DEP_2) | instskip(NEXT) | instid1(VALU_DEP_2)
	v_pk_fma_f32 v[12:13], v[34:35], v[36:37], v[12:13] op_sel_hi:[1,0,1]
	v_pk_fma_f32 v[14:15], v[30:31], v[36:37], v[14:15] op_sel_hi:[1,0,1]
	s_and_not1_b32 exec_lo, exec_lo, s7
	s_cbranch_execnz .LBB85_19
; %bb.20:
	s_or_b32 exec_lo, exec_lo, s7
.LBB85_21:
	s_delay_alu instid0(SALU_CYCLE_1) | instskip(NEXT) | instid1(SALU_CYCLE_1)
	s_or_b32 exec_lo, exec_lo, s6
	s_mov_b32 s6, exec_lo
	v_cmpx_lt_u64_e32 11, v[22:23]
	s_cbranch_execz .LBB85_25
; %bb.22:
	v_lshl_add_u64 v[22:23], v[18:19], 3, s[8:9]
	s_mov_b32 s7, 0
	s_delay_alu instid0(VALU_DEP_1)
	v_add_nc_u64_e32 v[22:23], 64, v[22:23]
.LBB85_23:                              ; =>This Inner Loop Header: Depth=1
	s_clause 0x3
	global_load_b64 v[36:37], v[22:23], off offset:-64
	global_load_b64 v[38:39], v[22:23], off offset:-32
	global_load_b64 v[40:41], v[22:23], off
	global_load_b64 v[42:43], v[22:23], off offset:32
	s_clause 0x2
	global_load_b128 v[24:27], v[20:21], off offset:128
	global_load_b128 v[28:31], v[20:21], off
	global_load_b128 v[32:35], v[20:21], off offset:64
	v_add_nc_u64_e32 v[18:19], 16, v[18:19]
	s_wait_xcnt 0x3
	v_add_nc_u64_e32 v[22:23], 0x80, v[22:23]
	s_delay_alu instid0(VALU_DEP_2)
	v_cmp_ge_i64_e32 vcc_lo, v[18:19], v[6:7]
	s_or_b32 s7, vcc_lo, s7
	s_wait_loadcnt 0x6
	v_sub_nc_u64_e32 v[36:37], v[36:37], v[4:5]
	s_wait_loadcnt 0x5
	v_sub_nc_u64_e32 v[38:39], v[38:39], v[4:5]
	;; [unrolled: 2-line block ×4, first 2 shown]
	s_wait_loadcnt 0x2
	v_bfe_i32 v56, v25, 0, 8
	v_bfe_i32 v57, v24, 0, 8
	s_wait_loadcnt 0x0
	v_bfe_i32 v48, v33, 0, 8
	v_lshl_add_u64 v[44:45], v[36:37], 2, s[4:5]
	v_lshl_add_u64 v[46:47], v[38:39], 2, s[4:5]
	;; [unrolled: 1-line block ×4, first 2 shown]
	v_bfe_i32 v49, v32, 0, 8
	s_clause 0x2
	global_load_b32 v66, v[44:45], off
	global_load_b32 v67, v[46:47], off
	;; [unrolled: 1-line block ×3, first 2 shown]
	global_load_b128 v[36:39], v[20:21], off offset:192
	global_load_b32 v69, v[42:43], off
	s_wait_xcnt 0x2
	v_bfe_i32 v41, v29, 0, 8
	s_wait_xcnt 0x0
	v_bfe_i32 v42, v28, 0, 8
	v_bfe_i32 v43, v29, 8, 8
	v_bfe_i32 v44, v28, 8, 8
	v_bfe_i32 v45, v29, 16, 8
	v_bfe_i32 v46, v28, 16, 8
	v_dual_ashrrev_i32 v29, 24, v29 :: v_dual_ashrrev_i32 v47, 24, v28
	v_bfe_i32 v40, v24, 16, 8
	v_bfe_i32 v50, v33, 8, 8
	v_bfe_i32 v51, v32, 8, 8
	v_bfe_i32 v52, v33, 16, 8
	v_bfe_i32 v53, v32, 16, 8
	v_dual_ashrrev_i32 v54, 24, v33 :: v_dual_ashrrev_i32 v55, 24, v32
	;; [unrolled: 6-line block ×3, first 2 shown]
	v_cvt_f32_i32_e32 v25, v41
	v_cvt_f32_i32_e32 v24, v42
	v_bfe_i32 v61, v26, 16, 8
	v_bfe_i32 v79, v26, 0, 8
	;; [unrolled: 1-line block ×3, first 2 shown]
	v_ashrrev_i32_e32 v93, 24, v26
	v_bfe_i32 v62, v31, 8, 8
	v_bfe_i32 v63, v30, 8, 8
	;; [unrolled: 1-line block ×8, first 2 shown]
	v_dual_ashrrev_i32 v76, 24, v35 :: v_dual_ashrrev_i32 v77, 24, v34
	v_cvt_f32_i32_e32 v35, v70
	v_dual_ashrrev_i32 v31, 24, v31 :: v_dual_ashrrev_i32 v30, 24, v30
	v_bfe_i32 v73, v34, 8, 8
	v_bfe_i32 v75, v34, 16, 8
	;; [unrolled: 1-line block ×5, first 2 shown]
	v_cvt_f32_i32_e32 v34, v71
	v_cvt_f32_i32_e32 v31, v31
	;; [unrolled: 1-line block ×8, first 2 shown]
	v_add_nc_u64_e32 v[20:21], 0x100, v[20:21]
	v_ashrrev_i32_e32 v92, 24, v27
	s_wait_loadcnt 0x4
	v_bfe_i32 v28, v66, 0, 8
	v_bfe_i32 v26, v66, 8, 8
	v_bfe_i32 v70, v66, 16, 8
	s_wait_loadcnt 0x1
	v_dual_ashrrev_i32 v91, 24, v37 :: v_dual_ashrrev_i32 v71, 24, v66
	v_cvt_f32_i32_e32 v28, v28
	v_cvt_f32_i32_e32 v26, v26
	v_cvt_f32_i32_e32 v66, v70
	v_bfe_i32 v70, v67, 0, 8
	v_bfe_i32 v85, v37, 0, 8
	v_pk_fma_f32 v[12:13], v[24:25], v[28:29], v[12:13] op_sel_hi:[1,0,1]
	v_cvt_f32_i32_e32 v25, v32
	v_cvt_f32_i32_e32 v24, v33
	v_cvt_f32_i32_e32 v33, v48
	v_cvt_f32_i32_e32 v32, v49
	v_bfe_i32 v86, v36, 0, 8
	v_bfe_i32 v87, v37, 8, 8
	v_pk_fma_f32 v[14:15], v[24:25], v[28:29], v[14:15] op_sel_hi:[1,0,1]
	v_cvt_f32_i32_e32 v25, v43
	;; [unrolled: 7-line block ×3, first 2 shown]
	v_cvt_f32_i32_e32 v24, v63
	v_bfe_i32 v90, v36, 16, 8
	v_ashrrev_i32_e32 v94, 24, v36
	v_bfe_i32 v95, v39, 0, 8
	v_bfe_i32 v96, v38, 0, 8
	v_pk_fma_f32 v[14:15], v[24:25], v[26:27], v[14:15] op_sel_hi:[1,0,1]
	v_cvt_f32_i32_e32 v25, v45
	v_cvt_f32_i32_e32 v24, v46
	;; [unrolled: 1-line block ×4, first 2 shown]
	v_bfe_i32 v97, v39, 8, 8
	v_bfe_i32 v98, v38, 8, 8
	v_pk_fma_f32 v[12:13], v[24:25], v[66:67], v[12:13] op_sel_hi:[1,0,1]
	v_bfe_i32 v99, v39, 16, 8
	v_pk_fma_f32 v[14:15], v[26:27], v[66:67], v[14:15] op_sel_hi:[1,0,1]
	v_cvt_f32_i32_e32 v26, v71
	v_bfe_i32 v71, v67, 8, 8
	v_cvt_f32_i32_e32 v66, v70
	v_bfe_i32 v100, v38, 16, 8
	v_dual_ashrrev_i32 v101, 24, v39 :: v_dual_ashrrev_i32 v102, 24, v38
	v_pk_fma_f32 v[12:13], v[28:29], v[26:27], v[12:13] op_sel_hi:[1,0,1]
	v_pk_fma_f32 v[14:15], v[30:31], v[26:27], v[14:15] op_sel_hi:[1,0,1]
	v_cvt_f32_i32_e32 v37, v50
	v_cvt_f32_i32_e32 v36, v51
	;; [unrolled: 1-line block ×4, first 2 shown]
	v_bfe_i32 v29, v67, 16, 8
	v_cvt_f32_i32_e32 v28, v71
	v_pk_fma_f32 v[12:13], v[32:33], v[66:67], v[12:13] op_sel_hi:[1,0,1]
	v_pk_fma_f32 v[14:15], v[34:35], v[66:67], v[14:15] op_sel_hi:[1,0,1]
	v_cvt_f32_i32_e32 v43, v52
	v_cvt_f32_i32_e32 v52, v75
	v_ashrrev_i32_e32 v31, 24, v67
	v_cvt_f32_i32_e32 v30, v29
	v_pk_fma_f32 v[12:13], v[36:37], v[28:29], v[12:13] op_sel_hi:[1,0,1]
	v_pk_fma_f32 v[14:15], v[38:39], v[28:29], v[14:15] op_sel_hi:[1,0,1]
	v_cvt_f32_i32_e32 v45, v54
	v_cvt_f32_i32_e32 v44, v55
	;; [unrolled: 1-line block ×4, first 2 shown]
	v_bfe_i32 v33, v68, 0, 8
	v_cvt_f32_i32_e32 v32, v31
	v_pk_fma_f32 v[12:13], v[42:43], v[30:31], v[12:13] op_sel_hi:[1,0,1]
	v_pk_fma_f32 v[14:15], v[52:53], v[30:31], v[14:15] op_sel_hi:[1,0,1]
	v_cvt_f32_i32_e32 v47, v56
	v_cvt_f32_i32_e32 v46, v57
	;; [unrolled: 1-line block ×4, first 2 shown]
	v_bfe_i32 v34, v68, 8, 8
	v_cvt_f32_i32_e32 v30, v33
	v_pk_fma_f32 v[12:13], v[44:45], v[32:33], v[12:13] op_sel_hi:[1,0,1]
	v_pk_fma_f32 v[14:15], v[54:55], v[32:33], v[14:15] op_sel_hi:[1,0,1]
	v_cvt_f32_i32_e32 v31, v95
	v_cvt_f32_i32_e32 v49, v58
	;; [unrolled: 1-line block ×5, first 2 shown]
	v_bfe_i32 v33, v68, 16, 8
	v_cvt_f32_i32_e32 v32, v34
	v_pk_fma_f32 v[12:13], v[46:47], v[30:31], v[12:13] op_sel_hi:[1,0,1]
	v_pk_fma_f32 v[14:15], v[56:57], v[30:31], v[14:15] op_sel_hi:[1,0,1]
	v_cvt_f32_i32_e32 v50, v61
	v_cvt_f32_i32_e32 v51, v82
	v_ashrrev_i32_e32 v35, 24, v68
	v_cvt_f32_i32_e32 v34, v33
	v_pk_fma_f32 v[12:13], v[48:49], v[32:33], v[12:13] op_sel_hi:[1,0,1]
	v_pk_fma_f32 v[14:15], v[58:59], v[32:33], v[14:15] op_sel_hi:[1,0,1]
	v_cvt_f32_i32_e32 v61, v83
	v_cvt_f32_i32_e32 v29, v92
	;; [unrolled: 1-line block ×3, first 2 shown]
	s_wait_loadcnt 0x0
	v_bfe_i32 v37, v69, 0, 8
	v_cvt_f32_i32_e32 v36, v35
	v_pk_fma_f32 v[12:13], v[40:41], v[34:35], v[12:13] op_sel_hi:[1,0,1]
	v_pk_fma_f32 v[14:15], v[50:51], v[34:35], v[14:15] op_sel_hi:[1,0,1]
	v_cvt_f32_i32_e32 v63, v85
	v_cvt_f32_i32_e32 v62, v86
	v_cvt_f32_i32_e32 v30, v96
	v_bfe_i32 v35, v69, 8, 8
	v_cvt_f32_i32_e32 v34, v37
	v_pk_fma_f32 v[12:13], v[60:61], v[36:37], v[12:13] op_sel_hi:[1,0,1]
	v_pk_fma_f32 v[14:15], v[28:29], v[36:37], v[14:15] op_sel_hi:[1,0,1]
	v_cvt_f32_i32_e32 v65, v87
	v_cvt_f32_i32_e32 v64, v88
	;; [unrolled: 1-line block ×4, first 2 shown]
	v_bfe_i32 v37, v69, 16, 8
	v_cvt_f32_i32_e32 v36, v35
	v_pk_fma_f32 v[12:13], v[62:63], v[34:35], v[12:13] op_sel_hi:[1,0,1]
	v_pk_fma_f32 v[14:15], v[30:31], v[34:35], v[14:15] op_sel_hi:[1,0,1]
	v_cvt_f32_i32_e32 v25, v89
	v_cvt_f32_i32_e32 v24, v90
	v_cvt_f32_i32_e32 v29, v99
	v_cvt_f32_i32_e32 v28, v100
	v_ashrrev_i32_e32 v31, 24, v69
	v_cvt_f32_i32_e32 v30, v37
	v_pk_fma_f32 v[12:13], v[64:65], v[36:37], v[12:13] op_sel_hi:[1,0,1]
	v_pk_fma_f32 v[14:15], v[32:33], v[36:37], v[14:15] op_sel_hi:[1,0,1]
	v_cvt_f32_i32_e32 v27, v91
	v_cvt_f32_i32_e32 v26, v94
	;; [unrolled: 1-line block ×5, first 2 shown]
	v_pk_fma_f32 v[12:13], v[24:25], v[30:31], v[12:13] op_sel_hi:[1,0,1]
	v_pk_fma_f32 v[14:15], v[28:29], v[30:31], v[14:15] op_sel_hi:[1,0,1]
	s_delay_alu instid0(VALU_DEP_2) | instskip(NEXT) | instid1(VALU_DEP_2)
	v_pk_fma_f32 v[12:13], v[26:27], v[34:35], v[12:13] op_sel_hi:[1,0,1]
	v_pk_fma_f32 v[14:15], v[32:33], v[34:35], v[14:15] op_sel_hi:[1,0,1]
	s_and_not1_b32 exec_lo, exec_lo, s7
	s_cbranch_execnz .LBB85_23
; %bb.24:
	s_or_b32 exec_lo, exec_lo, s7
.LBB85_25:
	s_delay_alu instid0(SALU_CYCLE_1)
	s_or_b32 exec_lo, exec_lo, s6
.LBB85_26:
	s_delay_alu instid0(SALU_CYCLE_1)
	s_or_b32 exec_lo, exec_lo, s3
	s_cbranch_execz .LBB85_28
	s_branch .LBB85_39
.LBB85_27:
                                        ; implicit-def: $vgpr15
                                        ; implicit-def: $vgpr13
.LBB85_28:
	v_dual_mov_b32 v15, 0 :: v_dual_mov_b32 v14, 0
	v_dual_mov_b32 v13, 0 :: v_dual_mov_b32 v12, 0
	s_and_saveexec_b32 s3, s2
	s_cbranch_execz .LBB85_38
; %bb.29:
	v_dual_mov_b32 v13, v1 :: v_dual_bitop2_b32 v12, 4, v0 bitop3:0x54
	v_sub_nc_u64_e32 v[14:15], v[4:5], v[0:1]
	s_delay_alu instid0(VALU_DEP_2) | instskip(NEXT) | instid1(VALU_DEP_1)
	v_sub_nc_u64_e32 v[12:13], v[12:13], v[4:5]
	v_add_nc_u64_e32 v[12:13], v[12:13], v[16:17]
	v_not_b32_e32 v17, v17
	v_not_b32_e32 v16, v16
	s_delay_alu instid0(VALU_DEP_1) | instskip(NEXT) | instid1(VALU_DEP_4)
	v_add_nc_u64_e32 v[14:15], v[14:15], v[16:17]
	v_max_i64 v[12:13], v[12:13], v[6:7]
	s_delay_alu instid0(VALU_DEP_1) | instskip(NEXT) | instid1(VALU_DEP_1)
	v_add_nc_u64_e32 v[16:17], v[14:15], v[12:13]
	v_dual_mov_b32 v13, 0 :: v_dual_bitop2_b32 v12, 12, v16 bitop3:0x40
	s_delay_alu instid0(VALU_DEP_1) | instskip(NEXT) | instid1(VALU_DEP_2)
	v_dual_mov_b32 v15, v13 :: v_dual_mov_b32 v14, v13
	v_cmp_ne_u64_e32 vcc_lo, 12, v[12:13]
	v_mov_b32_e32 v12, v13
	s_and_saveexec_b32 s2, vcc_lo
	s_cbranch_execz .LBB85_33
; %bb.30:
	v_dual_lshrrev_b32 v1, 2, v16 :: v_dual_mov_b32 v13, 0
	v_lshl_add_u64 v[18:19], v[8:9], 3, s[8:9]
	s_mov_b32 s6, 0
	s_delay_alu instid0(VALU_DEP_2) | instskip(NEXT) | instid1(VALU_DEP_1)
	v_dual_add_nc_u32 v1, 1, v1 :: v_dual_mov_b32 v15, v13
	v_dual_mov_b32 v14, v13 :: v_dual_bitop2_b32 v12, 3, v1 bitop3:0x40
	s_delay_alu instid0(VALU_DEP_1)
	v_sub_nc_u64_e32 v[20:21], 0, v[12:13]
	v_mov_b32_e32 v12, v13
.LBB85_31:                              ; =>This Inner Loop Header: Depth=1
	global_load_b64 v[22:23], v[18:19], off
	v_add_nc_u64_e32 v[20:21], 1, v[20:21]
	v_add_nc_u64_e32 v[8:9], 4, v[8:9]
	s_wait_xcnt 0x0
	v_add_nc_u64_e32 v[18:19], 32, v[18:19]
	s_delay_alu instid0(VALU_DEP_3) | instskip(SKIP_3) | instid1(VALU_DEP_1)
	v_cmp_eq_u64_e32 vcc_lo, 0, v[20:21]
	s_or_b32 s6, vcc_lo, s6
	s_wait_loadcnt 0x0
	v_sub_nc_u64_e32 v[22:23], v[22:23], v[4:5]
	v_lshl_add_u64 v[26:27], v[22:23], 2, s[4:5]
	global_load_b128 v[22:25], v[10:11], off
	global_load_b32 v1, v[26:27], off
	s_wait_xcnt 0x1
	v_add_nc_u64_e32 v[10:11], 64, v[10:11]
	s_wait_loadcnt 0x1
	s_wait_xcnt 0x0
	v_bfe_i32 v26, v22, 8, 8
	v_bfe_i32 v31, v24, 0, 8
	v_dual_ashrrev_i32 v34, 24, v22 :: v_dual_ashrrev_i32 v36, 24, v23
	v_bfe_i32 v27, v22, 0, 8
	v_bfe_i32 v28, v23, 8, 8
	;; [unrolled: 1-line block ×7, first 2 shown]
	v_dual_ashrrev_i32 v38, 24, v24 :: v_dual_ashrrev_i32 v40, 24, v25
	v_cvt_f32_i32_e32 v23, v26
	v_cvt_f32_i32_e32 v26, v31
	;; [unrolled: 1-line block ×3, first 2 shown]
	s_wait_loadcnt 0x0
	v_bfe_i32 v34, v1, 0, 8
	v_bfe_i32 v32, v25, 8, 8
	;; [unrolled: 1-line block ×3, first 2 shown]
	v_cvt_f32_i32_e32 v22, v27
	v_cvt_f32_i32_e32 v25, v28
	;; [unrolled: 1-line block ×6, first 2 shown]
	v_bfe_i32 v36, v1, 8, 8
	v_cvt_f32_i32_e32 v34, v34
	v_cvt_f32_i32_e32 v35, v38
	v_bfe_i32 v39, v24, 16, 8
	v_cvt_f32_i32_e32 v24, v29
	v_cvt_f32_i32_e32 v29, v32
	;; [unrolled: 1-line block ×3, first 2 shown]
	v_bfe_i32 v37, v1, 16, 8
	v_cvt_f32_i32_e32 v36, v36
	v_pk_fma_f32 v[12:13], v[22:23], v[34:35], v[12:13] op_sel_hi:[1,0,1]
	v_pk_fma_f32 v[14:15], v[30:31], v[34:35], v[14:15] op_sel_hi:[1,0,1]
	v_cvt_f32_i32_e32 v34, v39
	v_ashrrev_i32_e32 v1, 24, v1
	v_cvt_f32_i32_e32 v22, v37
	v_pk_fma_f32 v[12:13], v[24:25], v[36:37], v[12:13] op_sel_hi:[1,0,1]
	v_pk_fma_f32 v[14:15], v[32:33], v[36:37], v[14:15] op_sel_hi:[1,0,1]
	v_cvt_f32_i32_e32 v25, v40
	v_cvt_f32_i32_e32 v24, v41
	;; [unrolled: 1-line block ×3, first 2 shown]
	v_pk_fma_f32 v[12:13], v[26:27], v[22:23], v[12:13] op_sel_hi:[1,0,1]
	v_pk_fma_f32 v[14:15], v[34:35], v[22:23], v[14:15] op_sel_hi:[1,0,1]
	s_delay_alu instid0(VALU_DEP_2) | instskip(NEXT) | instid1(VALU_DEP_2)
	v_pk_fma_f32 v[12:13], v[28:29], v[30:31], v[12:13] op_sel_hi:[1,0,1]
	v_pk_fma_f32 v[14:15], v[24:25], v[30:31], v[14:15] op_sel_hi:[1,0,1]
	s_and_not1_b32 exec_lo, exec_lo, s6
	s_cbranch_execnz .LBB85_31
; %bb.32:
	s_or_b32 exec_lo, exec_lo, s6
.LBB85_33:
	s_delay_alu instid0(SALU_CYCLE_1) | instskip(NEXT) | instid1(SALU_CYCLE_1)
	s_or_b32 exec_lo, exec_lo, s2
	s_mov_b32 s2, exec_lo
	v_cmpx_lt_u64_e32 11, v[16:17]
	s_cbranch_execz .LBB85_37
; %bb.34:
	v_lshl_add_u64 v[16:17], v[8:9], 3, s[8:9]
	s_mov_b32 s6, 0
	s_delay_alu instid0(VALU_DEP_1)
	v_add_nc_u64_e32 v[16:17], 64, v[16:17]
.LBB85_35:                              ; =>This Inner Loop Header: Depth=1
	s_clause 0x3
	global_load_b64 v[30:31], v[16:17], off offset:-64
	global_load_b64 v[32:33], v[16:17], off offset:-32
	global_load_b64 v[34:35], v[16:17], off
	global_load_b64 v[36:37], v[16:17], off offset:32
	s_clause 0x2
	global_load_b128 v[18:21], v[10:11], off
	global_load_b128 v[22:25], v[10:11], off offset:64
	global_load_b128 v[26:29], v[10:11], off offset:128
	v_add_nc_u64_e32 v[8:9], 16, v[8:9]
	s_wait_xcnt 0x3
	v_add_nc_u64_e32 v[16:17], 0x80, v[16:17]
	s_delay_alu instid0(VALU_DEP_2)
	v_cmp_ge_i64_e32 vcc_lo, v[8:9], v[6:7]
	s_or_b32 s6, vcc_lo, s6
	s_wait_loadcnt 0x6
	v_sub_nc_u64_e32 v[30:31], v[30:31], v[4:5]
	s_wait_loadcnt 0x5
	v_sub_nc_u64_e32 v[32:33], v[32:33], v[4:5]
	;; [unrolled: 2-line block ×4, first 2 shown]
	s_wait_loadcnt 0x2
	v_dual_ashrrev_i32 v57, 24, v20 :: v_dual_ashrrev_i32 v59, 24, v21
	v_bfe_i32 v58, v20, 16, 8
	v_lshl_add_u64 v[38:39], v[30:31], 2, s[4:5]
	v_lshl_add_u64 v[40:41], v[32:33], 2, s[4:5]
	;; [unrolled: 1-line block ×4, first 2 shown]
	v_dual_ashrrev_i32 v53, 24, v18 :: v_dual_ashrrev_i32 v55, 24, v19
	s_clause 0x2
	global_load_b32 v1, v[38:39], off
	global_load_b32 v61, v[40:41], off
	global_load_b32 v62, v[34:35], off
	global_load_b128 v[30:33], v[10:11], off offset:192
	global_load_b32 v63, v[36:37], off
	s_wait_xcnt 0x2
	v_bfe_i32 v34, v18, 8, 8
	v_bfe_i32 v35, v18, 0, 8
	;; [unrolled: 1-line block ×4, first 2 shown]
	s_wait_xcnt 0x0
	v_bfe_i32 v36, v19, 8, 8
	v_bfe_i32 v37, v19, 0, 8
	v_bfe_i32 v54, v18, 16, 8
	v_bfe_i32 v56, v19, 16, 8
	v_cvt_f32_i32_e32 v19, v34
	v_cvt_f32_i32_e32 v18, v35
	v_bfe_i32 v60, v21, 16, 8
	s_wait_loadcnt 0x6
	v_bfe_i32 v46, v24, 8, 8
	v_bfe_i32 v47, v24, 0, 8
	v_dual_ashrrev_i32 v68, 24, v24 :: v_dual_ashrrev_i32 v70, 24, v25
	v_bfe_i32 v69, v24, 16, 8
	v_cvt_f32_i32_e32 v24, v60
	v_bfe_i32 v40, v21, 8, 8
	v_bfe_i32 v41, v21, 0, 8
	v_dual_ashrrev_i32 v64, 24, v22 :: v_dual_ashrrev_i32 v66, 24, v23
	v_bfe_i32 v42, v22, 8, 8
	v_bfe_i32 v43, v22, 0, 8
	;; [unrolled: 1-line block ×9, first 2 shown]
	s_wait_loadcnt 0x5
	v_dual_ashrrev_i32 v79, 24, v28 :: v_dual_ashrrev_i32 v90, 24, v29
	v_bfe_i32 v81, v29, 8, 8
	v_bfe_i32 v82, v29, 0, 8
	;; [unrolled: 1-line block ×3, first 2 shown]
	v_cvt_f32_i32_e32 v23, v40
	v_cvt_f32_i32_e32 v22, v41
	;; [unrolled: 1-line block ×4, first 2 shown]
	v_bfe_i32 v50, v26, 8, 8
	v_bfe_i32 v51, v26, 0, 8
	;; [unrolled: 1-line block ×4, first 2 shown]
	v_dual_ashrrev_i32 v73, 24, v26 :: v_dual_ashrrev_i32 v75, 24, v27
	v_bfe_i32 v74, v26, 16, 8
	v_bfe_i32 v76, v27, 16, 8
	;; [unrolled: 1-line block ×5, first 2 shown]
	v_cvt_f32_i32_e32 v27, v42
	v_cvt_f32_i32_e32 v26, v43
	;; [unrolled: 1-line block ×12, first 2 shown]
	v_add_nc_u64_e32 v[10:11], 0x100, v[10:11]
	s_wait_loadcnt 0x4
	v_bfe_i32 v20, v1, 0, 8
	v_bfe_i32 v60, v1, 16, 8
	s_wait_loadcnt 0x3
	v_bfe_i32 v64, v61, 0, 8
	s_wait_loadcnt 0x1
	v_bfe_i32 v83, v30, 8, 8
	v_bfe_i32 v84, v30, 0, 8
	v_cvt_f32_i32_e32 v20, v20
	v_cvt_f32_i32_e32 v60, v60
	v_bfe_i32 v85, v31, 8, 8
	v_bfe_i32 v86, v31, 0, 8
	v_bfe_i32 v87, v32, 8, 8
	v_pk_fma_f32 v[12:13], v[18:19], v[20:21], v[12:13] op_sel_hi:[1,0,1]
	v_cvt_f32_i32_e32 v19, v53
	v_cvt_f32_i32_e32 v18, v54
	v_bfe_i32 v88, v32, 0, 8
	v_bfe_i32 v89, v33, 8, 8
	;; [unrolled: 1-line block ×3, first 2 shown]
	v_dual_ashrrev_i32 v93, 24, v30 :: v_dual_ashrrev_i32 v95, 24, v31
	v_pk_fma_f32 v[14:15], v[18:19], v[20:21], v[14:15] op_sel_hi:[1,0,1]
	v_bfe_i32 v20, v1, 8, 8
	v_cvt_f32_i32_e32 v19, v36
	v_cvt_f32_i32_e32 v18, v37
	v_ashrrev_i32_e32 v1, 24, v1
	v_bfe_i32 v94, v30, 16, 8
	v_cvt_f32_i32_e32 v20, v20
	v_bfe_i32 v96, v31, 16, 8
	v_dual_ashrrev_i32 v97, 24, v32 :: v_dual_ashrrev_i32 v99, 24, v33
	v_bfe_i32 v98, v32, 16, 8
	s_delay_alu instid0(VALU_DEP_4)
	v_pk_fma_f32 v[12:13], v[18:19], v[20:21], v[12:13] op_sel_hi:[1,0,1]
	v_cvt_f32_i32_e32 v19, v55
	v_cvt_f32_i32_e32 v18, v56
	v_bfe_i32 v100, v33, 16, 8
	v_cvt_f32_i32_e32 v31, v44
	v_cvt_f32_i32_e32 v30, v45
	v_cvt_f32_i32_e32 v33, v66
	v_pk_fma_f32 v[14:15], v[18:19], v[20:21], v[14:15] op_sel_hi:[1,0,1]
	v_cvt_f32_i32_e32 v19, v38
	v_cvt_f32_i32_e32 v18, v39
	;; [unrolled: 1-line block ×6, first 2 shown]
	v_pk_fma_f32 v[12:13], v[18:19], v[60:61], v[12:13] op_sel_hi:[1,0,1]
	v_cvt_f32_i32_e32 v36, v49
	v_pk_fma_f32 v[14:15], v[20:21], v[60:61], v[14:15] op_sel_hi:[1,0,1]
	v_cvt_f32_i32_e32 v20, v1
	v_bfe_i32 v1, v61, 8, 8
	v_cvt_f32_i32_e32 v60, v64
	v_cvt_f32_i32_e32 v45, v70
	;; [unrolled: 1-line block ×3, first 2 shown]
	v_pk_fma_f32 v[12:13], v[22:23], v[20:21], v[12:13] op_sel_hi:[1,0,1]
	v_pk_fma_f32 v[14:15], v[24:25], v[20:21], v[14:15] op_sel_hi:[1,0,1]
	v_bfe_i32 v23, v61, 16, 8
	v_cvt_f32_i32_e32 v22, v1
	v_ashrrev_i32_e32 v1, 24, v61
	v_pk_fma_f32 v[12:13], v[26:27], v[60:61], v[12:13] op_sel_hi:[1,0,1]
	v_pk_fma_f32 v[14:15], v[28:29], v[60:61], v[14:15] op_sel_hi:[1,0,1]
	v_cvt_f32_i32_e32 v24, v23
	v_bfe_i32 v25, v62, 0, 8
	v_cvt_f32_i32_e32 v26, v1
	v_pk_fma_f32 v[12:13], v[30:31], v[22:23], v[12:13] op_sel_hi:[1,0,1]
	v_pk_fma_f32 v[14:15], v[32:33], v[22:23], v[14:15] op_sel_hi:[1,0,1]
	v_cvt_f32_i32_e32 v39, v50
	v_cvt_f32_i32_e32 v38, v51
	v_bfe_i32 v1, v62, 8, 8
	v_pk_fma_f32 v[12:13], v[34:35], v[24:25], v[12:13] op_sel_hi:[1,0,1]
	v_pk_fma_f32 v[14:15], v[42:43], v[24:25], v[14:15] op_sel_hi:[1,0,1]
	v_cvt_f32_i32_e32 v24, v25
	v_cvt_f32_i32_e32 v25, v93
	;; [unrolled: 1-line block ×3, first 2 shown]
	v_pk_fma_f32 v[12:13], v[36:37], v[26:27], v[12:13] op_sel_hi:[1,0,1]
	v_pk_fma_f32 v[14:15], v[44:45], v[26:27], v[14:15] op_sel_hi:[1,0,1]
	v_cvt_f32_i32_e32 v48, v76
	v_bfe_i32 v27, v62, 16, 8
	v_cvt_f32_i32_e32 v26, v1
	v_pk_fma_f32 v[12:13], v[38:39], v[24:25], v[12:13] op_sel_hi:[1,0,1]
	v_pk_fma_f32 v[14:15], v[46:47], v[24:25], v[14:15] op_sel_hi:[1,0,1]
	v_cvt_f32_i32_e32 v51, v77
	v_cvt_f32_i32_e32 v50, v78
	;; [unrolled: 1-line block ×3, first 2 shown]
	v_ashrrev_i32_e32 v1, 24, v62
	v_cvt_f32_i32_e32 v28, v27
	v_pk_fma_f32 v[12:13], v[40:41], v[26:27], v[12:13] op_sel_hi:[1,0,1]
	v_pk_fma_f32 v[14:15], v[48:49], v[26:27], v[14:15] op_sel_hi:[1,0,1]
	s_wait_loadcnt 0x0
	v_bfe_i32 v29, v63, 0, 8
	v_cvt_f32_i32_e32 v55, v81
	v_cvt_f32_i32_e32 v54, v82
	;; [unrolled: 1-line block ×5, first 2 shown]
	v_pk_fma_f32 v[12:13], v[50:51], v[28:29], v[12:13] op_sel_hi:[1,0,1]
	v_pk_fma_f32 v[14:15], v[52:53], v[28:29], v[14:15] op_sel_hi:[1,0,1]
	v_cvt_f32_i32_e32 v57, v83
	v_cvt_f32_i32_e32 v56, v84
	;; [unrolled: 1-line block ×3, first 2 shown]
	v_bfe_i32 v1, v63, 8, 8
	v_cvt_f32_i32_e32 v28, v29
	v_pk_fma_f32 v[12:13], v[54:55], v[30:31], v[12:13] op_sel_hi:[1,0,1]
	v_pk_fma_f32 v[14:15], v[22:23], v[30:31], v[14:15] op_sel_hi:[1,0,1]
	v_bfe_i32 v29, v63, 16, 8
	v_cvt_f32_i32_e32 v59, v85
	v_cvt_f32_i32_e32 v58, v86
	;; [unrolled: 1-line block ×5, first 2 shown]
	v_pk_fma_f32 v[12:13], v[56:57], v[28:29], v[12:13] op_sel_hi:[1,0,1]
	v_pk_fma_f32 v[14:15], v[24:25], v[28:29], v[14:15] op_sel_hi:[1,0,1]
	v_cvt_f32_i32_e32 v19, v87
	v_cvt_f32_i32_e32 v18, v88
	;; [unrolled: 1-line block ×4, first 2 shown]
	v_ashrrev_i32_e32 v1, 24, v63
	v_cvt_f32_i32_e32 v24, v29
	v_pk_fma_f32 v[12:13], v[58:59], v[30:31], v[12:13] op_sel_hi:[1,0,1]
	v_pk_fma_f32 v[14:15], v[26:27], v[30:31], v[14:15] op_sel_hi:[1,0,1]
	v_cvt_f32_i32_e32 v21, v89
	v_cvt_f32_i32_e32 v20, v92
	;; [unrolled: 1-line block ×5, first 2 shown]
	v_pk_fma_f32 v[12:13], v[18:19], v[24:25], v[12:13] op_sel_hi:[1,0,1]
	v_pk_fma_f32 v[14:15], v[22:23], v[24:25], v[14:15] op_sel_hi:[1,0,1]
	s_delay_alu instid0(VALU_DEP_2) | instskip(NEXT) | instid1(VALU_DEP_2)
	v_pk_fma_f32 v[12:13], v[20:21], v[28:29], v[12:13] op_sel_hi:[1,0,1]
	v_pk_fma_f32 v[14:15], v[26:27], v[28:29], v[14:15] op_sel_hi:[1,0,1]
	s_and_not1_b32 exec_lo, exec_lo, s6
	s_cbranch_execnz .LBB85_35
; %bb.36:
	s_or_b32 exec_lo, exec_lo, s6
.LBB85_37:
	s_delay_alu instid0(SALU_CYCLE_1)
	s_or_b32 exec_lo, exec_lo, s2
.LBB85_38:
	s_delay_alu instid0(SALU_CYCLE_1)
	s_or_b32 exec_lo, exec_lo, s3
.LBB85_39:
	v_mbcnt_lo_u32_b32 v1, -1, 0
	s_mov_b32 s2, -1
	s_delay_alu instid0(VALU_DEP_1) | instskip(SKIP_1) | instid1(VALU_DEP_1)
	v_xor_b32_e32 v8, 1, v1
	v_xor_b32_e32 v4, 2, v1
	v_cmp_gt_i32_e32 vcc_lo, 32, v4
	v_cndmask_b32_e32 v4, v1, v4, vcc_lo
	s_delay_alu instid0(VALU_DEP_4) | instskip(SKIP_2) | instid1(VALU_DEP_2)
	v_cmp_gt_i32_e32 vcc_lo, 32, v8
	v_cndmask_b32_e32 v1, v1, v8, vcc_lo
	v_cmp_eq_u32_e32 vcc_lo, 3, v0
	v_dual_lshlrev_b32 v1, 2, v1 :: v_dual_lshlrev_b32 v7, 2, v4
	ds_bpermute_b32 v4, v7, v12
	ds_bpermute_b32 v5, v7, v13
	;; [unrolled: 1-line block ×4, first 2 shown]
	s_wait_dscnt 0x2
	v_pk_add_f32 v[4:5], v[12:13], v[4:5]
	s_wait_dscnt 0x0
	v_pk_add_f32 v[8:9], v[14:15], v[6:7]
	ds_bpermute_b32 v6, v1, v4
	ds_bpermute_b32 v7, v1, v5
	;; [unrolled: 1-line block ×4, first 2 shown]
	s_and_b32 exec_lo, exec_lo, vcc_lo
	s_cbranch_execz .LBB85_10
; %bb.40:
	s_load_b64 s[0:1], s[0:1], 0x58
	s_wait_dscnt 0x2
	v_pk_add_f32 v[6:7], v[4:5], v[6:7]
	s_wait_dscnt 0x0
	v_pk_add_f32 v[4:5], v[8:9], v[10:11]
	s_cmp_eq_f32 s16, 0
	s_wait_kmcnt 0x0
	v_lshl_add_u64 v[0:1], v[2:3], 4, s[0:1]
	s_cbranch_scc0 .LBB85_42
; %bb.41:
	v_pk_mul_f32 v[8:9], s[12:13], v[6:7] op_sel_hi:[0,1]
	v_pk_mul_f32 v[10:11], s[12:13], v[4:5] op_sel_hi:[0,1]
	s_mov_b32 s2, 0
	global_store_b128 v[0:1], v[8:11], off
.LBB85_42:
	s_and_not1_b32 vcc_lo, exec_lo, s2
	s_cbranch_vccnz .LBB85_10
; %bb.43:
	global_load_b128 v[8:11], v[0:1], off
	v_pk_mul_f32 v[2:3], s[12:13], v[6:7] op_sel_hi:[0,1]
	v_pk_mul_f32 v[4:5], s[12:13], v[4:5] op_sel_hi:[0,1]
	s_wait_loadcnt 0x0
	s_delay_alu instid0(VALU_DEP_2) | instskip(NEXT) | instid1(VALU_DEP_2)
	v_pk_fma_f32 v[2:3], s[16:17], v[8:9], v[2:3] op_sel_hi:[0,1,1]
	v_pk_fma_f32 v[4:5], s[16:17], v[10:11], v[4:5] op_sel_hi:[0,1,1]
	global_store_b128 v[0:1], v[2:5], off
	s_sendmsg sendmsg(MSG_DEALLOC_VGPRS)
	s_endpgm
	.section	.rodata,"a",@progbits
	.p2align	6, 0x0
	.amdhsa_kernel _ZN9rocsparseL18bsrxmvn_4x4_kernelILj128ELj4EfllaafEEvT3_20rocsparse_direction_NS_24const_host_device_scalarIT1_EES1_PKS1_PKT2_SA_S7_PKT4_PKT5_S5_PT6_21rocsparse_index_base_b
		.amdhsa_group_segment_fixed_size 0
		.amdhsa_private_segment_fixed_size 0
		.amdhsa_kernarg_size 104
		.amdhsa_user_sgpr_count 2
		.amdhsa_user_sgpr_dispatch_ptr 0
		.amdhsa_user_sgpr_queue_ptr 0
		.amdhsa_user_sgpr_kernarg_segment_ptr 1
		.amdhsa_user_sgpr_dispatch_id 0
		.amdhsa_user_sgpr_kernarg_preload_length 0
		.amdhsa_user_sgpr_kernarg_preload_offset 0
		.amdhsa_user_sgpr_private_segment_size 0
		.amdhsa_wavefront_size32 1
		.amdhsa_uses_dynamic_stack 0
		.amdhsa_enable_private_segment 0
		.amdhsa_system_sgpr_workgroup_id_x 1
		.amdhsa_system_sgpr_workgroup_id_y 0
		.amdhsa_system_sgpr_workgroup_id_z 0
		.amdhsa_system_sgpr_workgroup_info 0
		.amdhsa_system_vgpr_workitem_id 0
		.amdhsa_next_free_vgpr 103
		.amdhsa_next_free_sgpr 18
		.amdhsa_named_barrier_count 0
		.amdhsa_reserve_vcc 1
		.amdhsa_float_round_mode_32 0
		.amdhsa_float_round_mode_16_64 0
		.amdhsa_float_denorm_mode_32 3
		.amdhsa_float_denorm_mode_16_64 3
		.amdhsa_fp16_overflow 0
		.amdhsa_memory_ordered 1
		.amdhsa_forward_progress 1
		.amdhsa_inst_pref_size 40
		.amdhsa_round_robin_scheduling 0
		.amdhsa_exception_fp_ieee_invalid_op 0
		.amdhsa_exception_fp_denorm_src 0
		.amdhsa_exception_fp_ieee_div_zero 0
		.amdhsa_exception_fp_ieee_overflow 0
		.amdhsa_exception_fp_ieee_underflow 0
		.amdhsa_exception_fp_ieee_inexact 0
		.amdhsa_exception_int_div_zero 0
	.end_amdhsa_kernel
	.section	.text._ZN9rocsparseL18bsrxmvn_4x4_kernelILj128ELj4EfllaafEEvT3_20rocsparse_direction_NS_24const_host_device_scalarIT1_EES1_PKS1_PKT2_SA_S7_PKT4_PKT5_S5_PT6_21rocsparse_index_base_b,"axG",@progbits,_ZN9rocsparseL18bsrxmvn_4x4_kernelILj128ELj4EfllaafEEvT3_20rocsparse_direction_NS_24const_host_device_scalarIT1_EES1_PKS1_PKT2_SA_S7_PKT4_PKT5_S5_PT6_21rocsparse_index_base_b,comdat
.Lfunc_end85:
	.size	_ZN9rocsparseL18bsrxmvn_4x4_kernelILj128ELj4EfllaafEEvT3_20rocsparse_direction_NS_24const_host_device_scalarIT1_EES1_PKS1_PKT2_SA_S7_PKT4_PKT5_S5_PT6_21rocsparse_index_base_b, .Lfunc_end85-_ZN9rocsparseL18bsrxmvn_4x4_kernelILj128ELj4EfllaafEEvT3_20rocsparse_direction_NS_24const_host_device_scalarIT1_EES1_PKS1_PKT2_SA_S7_PKT4_PKT5_S5_PT6_21rocsparse_index_base_b
                                        ; -- End function
	.set _ZN9rocsparseL18bsrxmvn_4x4_kernelILj128ELj4EfllaafEEvT3_20rocsparse_direction_NS_24const_host_device_scalarIT1_EES1_PKS1_PKT2_SA_S7_PKT4_PKT5_S5_PT6_21rocsparse_index_base_b.num_vgpr, 103
	.set _ZN9rocsparseL18bsrxmvn_4x4_kernelILj128ELj4EfllaafEEvT3_20rocsparse_direction_NS_24const_host_device_scalarIT1_EES1_PKS1_PKT2_SA_S7_PKT4_PKT5_S5_PT6_21rocsparse_index_base_b.num_agpr, 0
	.set _ZN9rocsparseL18bsrxmvn_4x4_kernelILj128ELj4EfllaafEEvT3_20rocsparse_direction_NS_24const_host_device_scalarIT1_EES1_PKS1_PKT2_SA_S7_PKT4_PKT5_S5_PT6_21rocsparse_index_base_b.numbered_sgpr, 18
	.set _ZN9rocsparseL18bsrxmvn_4x4_kernelILj128ELj4EfllaafEEvT3_20rocsparse_direction_NS_24const_host_device_scalarIT1_EES1_PKS1_PKT2_SA_S7_PKT4_PKT5_S5_PT6_21rocsparse_index_base_b.num_named_barrier, 0
	.set _ZN9rocsparseL18bsrxmvn_4x4_kernelILj128ELj4EfllaafEEvT3_20rocsparse_direction_NS_24const_host_device_scalarIT1_EES1_PKS1_PKT2_SA_S7_PKT4_PKT5_S5_PT6_21rocsparse_index_base_b.private_seg_size, 0
	.set _ZN9rocsparseL18bsrxmvn_4x4_kernelILj128ELj4EfllaafEEvT3_20rocsparse_direction_NS_24const_host_device_scalarIT1_EES1_PKS1_PKT2_SA_S7_PKT4_PKT5_S5_PT6_21rocsparse_index_base_b.uses_vcc, 1
	.set _ZN9rocsparseL18bsrxmvn_4x4_kernelILj128ELj4EfllaafEEvT3_20rocsparse_direction_NS_24const_host_device_scalarIT1_EES1_PKS1_PKT2_SA_S7_PKT4_PKT5_S5_PT6_21rocsparse_index_base_b.uses_flat_scratch, 0
	.set _ZN9rocsparseL18bsrxmvn_4x4_kernelILj128ELj4EfllaafEEvT3_20rocsparse_direction_NS_24const_host_device_scalarIT1_EES1_PKS1_PKT2_SA_S7_PKT4_PKT5_S5_PT6_21rocsparse_index_base_b.has_dyn_sized_stack, 0
	.set _ZN9rocsparseL18bsrxmvn_4x4_kernelILj128ELj4EfllaafEEvT3_20rocsparse_direction_NS_24const_host_device_scalarIT1_EES1_PKS1_PKT2_SA_S7_PKT4_PKT5_S5_PT6_21rocsparse_index_base_b.has_recursion, 0
	.set _ZN9rocsparseL18bsrxmvn_4x4_kernelILj128ELj4EfllaafEEvT3_20rocsparse_direction_NS_24const_host_device_scalarIT1_EES1_PKS1_PKT2_SA_S7_PKT4_PKT5_S5_PT6_21rocsparse_index_base_b.has_indirect_call, 0
	.section	.AMDGPU.csdata,"",@progbits
; Kernel info:
; codeLenInByte = 5104
; TotalNumSgprs: 20
; NumVgprs: 103
; ScratchSize: 0
; MemoryBound: 0
; FloatMode: 240
; IeeeMode: 1
; LDSByteSize: 0 bytes/workgroup (compile time only)
; SGPRBlocks: 0
; VGPRBlocks: 6
; NumSGPRsForWavesPerEU: 20
; NumVGPRsForWavesPerEU: 103
; NamedBarCnt: 0
; Occupancy: 9
; WaveLimiterHint : 1
; COMPUTE_PGM_RSRC2:SCRATCH_EN: 0
; COMPUTE_PGM_RSRC2:USER_SGPR: 2
; COMPUTE_PGM_RSRC2:TRAP_HANDLER: 0
; COMPUTE_PGM_RSRC2:TGID_X_EN: 1
; COMPUTE_PGM_RSRC2:TGID_Y_EN: 0
; COMPUTE_PGM_RSRC2:TGID_Z_EN: 0
; COMPUTE_PGM_RSRC2:TIDIG_COMP_CNT: 0
	.section	.text._ZN9rocsparseL18bsrxmvn_4x4_kernelILj128ELj8EfllaafEEvT3_20rocsparse_direction_NS_24const_host_device_scalarIT1_EES1_PKS1_PKT2_SA_S7_PKT4_PKT5_S5_PT6_21rocsparse_index_base_b,"axG",@progbits,_ZN9rocsparseL18bsrxmvn_4x4_kernelILj128ELj8EfllaafEEvT3_20rocsparse_direction_NS_24const_host_device_scalarIT1_EES1_PKS1_PKT2_SA_S7_PKT4_PKT5_S5_PT6_21rocsparse_index_base_b,comdat
	.globl	_ZN9rocsparseL18bsrxmvn_4x4_kernelILj128ELj8EfllaafEEvT3_20rocsparse_direction_NS_24const_host_device_scalarIT1_EES1_PKS1_PKT2_SA_S7_PKT4_PKT5_S5_PT6_21rocsparse_index_base_b ; -- Begin function _ZN9rocsparseL18bsrxmvn_4x4_kernelILj128ELj8EfllaafEEvT3_20rocsparse_direction_NS_24const_host_device_scalarIT1_EES1_PKS1_PKT2_SA_S7_PKT4_PKT5_S5_PT6_21rocsparse_index_base_b
	.p2align	8
	.type	_ZN9rocsparseL18bsrxmvn_4x4_kernelILj128ELj8EfllaafEEvT3_20rocsparse_direction_NS_24const_host_device_scalarIT1_EES1_PKS1_PKT2_SA_S7_PKT4_PKT5_S5_PT6_21rocsparse_index_base_b,@function
_ZN9rocsparseL18bsrxmvn_4x4_kernelILj128ELj8EfllaafEEvT3_20rocsparse_direction_NS_24const_host_device_scalarIT1_EES1_PKS1_PKT2_SA_S7_PKT4_PKT5_S5_PT6_21rocsparse_index_base_b: ; @_ZN9rocsparseL18bsrxmvn_4x4_kernelILj128ELj8EfllaafEEvT3_20rocsparse_direction_NS_24const_host_device_scalarIT1_EES1_PKS1_PKT2_SA_S7_PKT4_PKT5_S5_PT6_21rocsparse_index_base_b
; %bb.0:
	s_clause 0x2
	s_load_b64 s[2:3], s[0:1], 0x60
	s_load_b128 s[12:15], s[0:1], 0x10
	s_load_b64 s[16:17], s[0:1], 0x50
	s_wait_kmcnt 0x0
	s_bitcmp1_b32 s3, 0
	s_cselect_b32 s3, -1, 0
	s_delay_alu instid0(SALU_CYCLE_1)
	s_and_b32 vcc_lo, exec_lo, s3
	s_xor_b32 s3, s3, -1
	s_cbranch_vccnz .LBB86_2
; %bb.1:
	s_load_b32 s12, s[12:13], 0x0
.LBB86_2:
	s_and_not1_b32 vcc_lo, exec_lo, s3
	s_cbranch_vccnz .LBB86_4
; %bb.3:
	s_load_b32 s16, s[16:17], 0x0
.LBB86_4:
	s_wait_kmcnt 0x0
	s_cmp_neq_f32 s12, 0
	s_mov_b32 s6, 0
	s_cselect_b32 s3, -1, 0
	s_cmp_neq_f32 s16, 1.0
	s_cselect_b32 s4, -1, 0
	s_delay_alu instid0(SALU_CYCLE_1) | instskip(NEXT) | instid1(SALU_CYCLE_1)
	s_or_b32 s3, s3, s4
	s_and_not1_b32 vcc_lo, exec_lo, s3
	s_cbranch_vccnz .LBB86_10
; %bb.5:
	s_load_b64 s[4:5], s[0:1], 0x20
	s_bfe_u32 s3, ttmp6, 0x4000c
	s_and_b32 s7, ttmp6, 15
	s_add_co_i32 s3, s3, 1
	s_getreg_b32 s8, hwreg(HW_REG_IB_STS2, 6, 4)
	s_mul_i32 s3, ttmp9, s3
	v_dual_lshrrev_b32 v1, 3, v0 :: v_dual_mov_b32 v7, 0
	s_add_co_i32 s7, s7, s3
	s_cmp_eq_u32 s8, 0
	s_cselect_b32 s3, ttmp9, s7
	s_delay_alu instid0(VALU_DEP_1) | instid1(SALU_CYCLE_1)
	v_lshl_or_b32 v6, s3, 4, v1
	s_wait_kmcnt 0x0
	s_cmp_lg_u64 s[4:5], 0
	s_cbranch_scc0 .LBB86_11
; %bb.6:
	s_mov_b32 s7, 0
                                        ; implicit-def: $vgpr2_vgpr3
                                        ; implicit-def: $vgpr4_vgpr5
	s_mov_b32 s3, exec_lo
	v_cmpx_gt_i64_e64 s[14:15], v[6:7]
	s_xor_b32 s8, exec_lo, s3
	s_cbranch_execz .LBB86_8
; %bb.7:
	v_lshl_add_u64 v[2:3], v[6:7], 3, s[4:5]
	s_mov_b32 s3, 0
	s_mov_b32 s6, exec_lo
	v_mov_b64_e32 v[4:5], s[2:3]
	global_load_b64 v[2:3], v[2:3], off
	s_wait_loadcnt 0x0
	v_sub_nc_u64_e64 v[2:3], v[2:3], s[2:3]
.LBB86_8:
	s_or_b32 exec_lo, exec_lo, s8
	s_delay_alu instid0(SALU_CYCLE_1)
	s_and_b32 vcc_lo, exec_lo, s7
	s_cbranch_vccnz .LBB86_12
.LBB86_9:
	s_and_saveexec_b32 s2, s6
	s_cbranch_execnz .LBB86_15
.LBB86_10:
	s_sendmsg sendmsg(MSG_DEALLOC_VGPRS)
	s_endpgm
.LBB86_11:
                                        ; implicit-def: $vgpr2_vgpr3
                                        ; implicit-def: $vgpr4_vgpr5
	s_cbranch_execz .LBB86_9
.LBB86_12:
	s_load_b64 s[4:5], s[0:1], 0x0
	s_wait_kmcnt 0x0
	v_cmp_gt_i64_e32 vcc_lo, s[4:5], v[6:7]
	s_and_saveexec_b32 s4, vcc_lo
; %bb.13:
	s_mov_b32 s3, 0
	s_or_b32 s6, s6, exec_lo
; %bb.14:
	s_or_b32 exec_lo, exec_lo, s4
	v_mov_b64_e32 v[4:5], s[2:3]
	v_mov_b64_e32 v[2:3], v[6:7]
	s_and_saveexec_b32 s2, s6
	s_cbranch_execz .LBB86_10
.LBB86_15:
	s_load_b256 s[4:11], s[0:1], 0x28
	s_delay_alu instid0(VALU_DEP_1) | instskip(SKIP_2) | instid1(VALU_DEP_2)
	v_lshlrev_b64_e32 v[6:7], 3, v[2:3]
	v_dual_mov_b32 v1, 0 :: v_dual_bitop2_b32 v0, 7, v0 bitop3:0x40
	s_wait_kmcnt 0x0
	v_add_nc_u64_e32 v[8:9], s[4:5], v[6:7]
	v_add_nc_u64_e32 v[6:7], s[6:7], v[6:7]
	s_cmp_eq_u64 s[6:7], 0
	s_cselect_b32 vcc_lo, -1, 0
	s_delay_alu instid0(VALU_DEP_2)
	v_add_nc_u64_e32 v[10:11], 8, v[8:9]
	global_load_b64 v[16:17], v[8:9], off
	v_dual_cndmask_b32 v7, v7, v11 :: v_dual_cndmask_b32 v6, v6, v10
	global_load_b64 v[6:7], v[6:7], off
	s_clause 0x1
	s_load_b32 s3, s[0:1], 0x8
	s_load_b64 s[4:5], s[0:1], 0x48
	s_wait_kmcnt 0x0
	s_cmp_eq_u32 s3, 1
	s_wait_loadcnt 0x1
	v_sub_nc_u64_e32 v[8:9], v[16:17], v[4:5]
	s_delay_alu instid0(VALU_DEP_1) | instskip(SKIP_2) | instid1(VALU_DEP_2)
	v_add_nc_u64_e32 v[8:9], v[8:9], v[0:1]
	s_wait_loadcnt 0x0
	v_sub_nc_u64_e32 v[6:7], v[6:7], v[4:5]
	v_lshl_add_u64 v[10:11], v[8:9], 4, s[10:11]
	s_delay_alu instid0(VALU_DEP_2)
	v_cmp_lt_i64_e64 s2, v[8:9], v[6:7]
	s_cbranch_scc1 .LBB86_27
; %bb.16:
	v_dual_mov_b32 v13, v1 :: v_dual_mov_b32 v12, v1
	v_dual_mov_b32 v15, v1 :: v_dual_mov_b32 v14, v1
	s_and_saveexec_b32 s3, s2
	s_cbranch_execz .LBB86_26
; %bb.17:
	v_dual_mov_b32 v13, v1 :: v_dual_bitop2_b32 v12, 8, v0 bitop3:0x54
	v_sub_nc_u64_e32 v[14:15], v[4:5], v[0:1]
	v_not_b32_e32 v19, v17
	v_not_b32_e32 v18, v16
	v_mov_b64_e32 v[20:21], v[10:11]
	v_sub_nc_u64_e32 v[12:13], v[12:13], v[4:5]
	s_delay_alu instid0(VALU_DEP_3) | instskip(SKIP_1) | instid1(VALU_DEP_3)
	v_add_nc_u64_e32 v[14:15], v[14:15], v[18:19]
	v_mov_b64_e32 v[18:19], v[8:9]
	v_add_nc_u64_e32 v[12:13], v[12:13], v[16:17]
	s_delay_alu instid0(VALU_DEP_1) | instskip(NEXT) | instid1(VALU_DEP_1)
	v_max_i64 v[12:13], v[12:13], v[6:7]
	v_add_nc_u64_e32 v[22:23], v[14:15], v[12:13]
	s_delay_alu instid0(VALU_DEP_1) | instskip(NEXT) | instid1(VALU_DEP_1)
	v_dual_mov_b32 v15, 0 :: v_dual_bitop2_b32 v14, 24, v22 bitop3:0x40
	v_dual_mov_b32 v12, v15 :: v_dual_mov_b32 v13, v15
	s_delay_alu instid0(VALU_DEP_2)
	v_cmp_ne_u64_e32 vcc_lo, 24, v[14:15]
	v_mov_b32_e32 v14, v15
	s_and_saveexec_b32 s6, vcc_lo
	s_cbranch_execz .LBB86_21
; %bb.18:
	v_dual_mov_b32 v13, 0 :: v_dual_lshrrev_b32 v12, 3, v22
	v_mov_b64_e32 v[20:21], v[10:11]
	v_mov_b64_e32 v[18:19], v[8:9]
	v_lshl_add_u64 v[24:25], v[8:9], 3, s[8:9]
	s_delay_alu instid0(VALU_DEP_4) | instskip(SKIP_1) | instid1(VALU_DEP_1)
	v_dual_mov_b32 v15, v13 :: v_dual_add_nc_u32 v12, 1, v12
	s_mov_b32 s7, 0
	v_dual_mov_b32 v14, v13 :: v_dual_bitop2_b32 v12, 3, v12 bitop3:0x40
	s_delay_alu instid0(VALU_DEP_1)
	v_sub_nc_u64_e32 v[26:27], 0, v[12:13]
	v_mov_b32_e32 v12, v13
.LBB86_19:                              ; =>This Inner Loop Header: Depth=1
	global_load_b64 v[28:29], v[24:25], off
	v_add_nc_u64_e32 v[26:27], 1, v[26:27]
	v_add_nc_u64_e32 v[18:19], 8, v[18:19]
	s_wait_xcnt 0x0
	v_add_nc_u64_e32 v[24:25], 64, v[24:25]
	s_delay_alu instid0(VALU_DEP_3) | instskip(SKIP_3) | instid1(VALU_DEP_1)
	v_cmp_eq_u64_e32 vcc_lo, 0, v[26:27]
	s_or_b32 s7, vcc_lo, s7
	s_wait_loadcnt 0x0
	v_sub_nc_u64_e32 v[28:29], v[28:29], v[4:5]
	v_lshl_add_u64 v[32:33], v[28:29], 2, s[4:5]
	global_load_b128 v[28:31], v[20:21], off
	global_load_b32 v43, v[32:33], off
	s_wait_xcnt 0x1
	v_add_nc_u64_e32 v[20:21], 0x80, v[20:21]
	s_wait_loadcnt 0x1
	s_wait_xcnt 0x0
	v_bfe_i32 v33, v29, 0, 8
	v_bfe_i32 v36, v29, 16, 8
	;; [unrolled: 1-line block ×6, first 2 shown]
	v_dual_ashrrev_i32 v38, 24, v29 :: v_dual_ashrrev_i32 v39, 24, v28
	v_bfe_i32 v41, v31, 0, 8
	v_bfe_i32 v42, v31, 8, 8
	;; [unrolled: 1-line block ×3, first 2 shown]
	v_cvt_f32_i32_e32 v29, v33
	v_cvt_f32_i32_e32 v33, v36
	;; [unrolled: 1-line block ×3, first 2 shown]
	s_wait_loadcnt 0x0
	v_bfe_i32 v40, v43, 0, 8
	v_bfe_i32 v35, v28, 8, 8
	v_bfe_i32 v44, v30, 8, 8
	v_dual_ashrrev_i32 v47, 24, v31 :: v_dual_ashrrev_i32 v48, 24, v30
	v_cvt_f32_i32_e32 v28, v32
	v_cvt_f32_i32_e32 v31, v34
	;; [unrolled: 1-line block ×6, first 2 shown]
	v_bfe_i32 v42, v43, 8, 8
	v_cvt_f32_i32_e32 v40, v40
	v_cvt_f32_i32_e32 v41, v45
	v_bfe_i32 v46, v30, 16, 8
	v_cvt_f32_i32_e32 v30, v35
	v_cvt_f32_i32_e32 v35, v38
	;; [unrolled: 1-line block ×3, first 2 shown]
	v_bfe_i32 v44, v43, 16, 8
	v_cvt_f32_i32_e32 v42, v42
	v_pk_fma_f32 v[14:15], v[28:29], v[40:41], v[14:15] op_sel_hi:[1,0,1]
	v_pk_fma_f32 v[12:13], v[36:37], v[40:41], v[12:13] op_sel_hi:[1,0,1]
	v_cvt_f32_i32_e32 v40, v46
	v_ashrrev_i32_e32 v29, 24, v43
	v_cvt_f32_i32_e32 v28, v44
	v_pk_fma_f32 v[14:15], v[30:31], v[42:43], v[14:15] op_sel_hi:[1,0,1]
	v_pk_fma_f32 v[12:13], v[38:39], v[42:43], v[12:13] op_sel_hi:[1,0,1]
	v_cvt_f32_i32_e32 v31, v47
	v_cvt_f32_i32_e32 v30, v48
	;; [unrolled: 1-line block ×3, first 2 shown]
	v_pk_fma_f32 v[14:15], v[32:33], v[28:29], v[14:15] op_sel_hi:[1,0,1]
	v_pk_fma_f32 v[12:13], v[40:41], v[28:29], v[12:13] op_sel_hi:[1,0,1]
	s_delay_alu instid0(VALU_DEP_2) | instskip(NEXT) | instid1(VALU_DEP_2)
	v_pk_fma_f32 v[14:15], v[34:35], v[36:37], v[14:15] op_sel_hi:[1,0,1]
	v_pk_fma_f32 v[12:13], v[30:31], v[36:37], v[12:13] op_sel_hi:[1,0,1]
	s_and_not1_b32 exec_lo, exec_lo, s7
	s_cbranch_execnz .LBB86_19
; %bb.20:
	s_or_b32 exec_lo, exec_lo, s7
.LBB86_21:
	s_delay_alu instid0(SALU_CYCLE_1) | instskip(NEXT) | instid1(SALU_CYCLE_1)
	s_or_b32 exec_lo, exec_lo, s6
	s_mov_b32 s6, exec_lo
	v_cmpx_lt_u64_e32 23, v[22:23]
	s_cbranch_execz .LBB86_25
; %bb.22:
	v_lshl_add_u64 v[22:23], v[18:19], 3, s[8:9]
	s_mov_b32 s7, 0
	s_delay_alu instid0(VALU_DEP_1)
	v_add_nc_u64_e32 v[22:23], 0x80, v[22:23]
.LBB86_23:                              ; =>This Inner Loop Header: Depth=1
	s_clause 0x3
	global_load_b64 v[36:37], v[22:23], off offset:-128
	global_load_b64 v[38:39], v[22:23], off offset:-64
	global_load_b64 v[40:41], v[22:23], off
	global_load_b64 v[42:43], v[22:23], off offset:64
	s_clause 0x2
	global_load_b128 v[24:27], v[20:21], off
	global_load_b128 v[28:31], v[20:21], off offset:256
	global_load_b128 v[32:35], v[20:21], off offset:128
	v_add_nc_u64_e32 v[18:19], 32, v[18:19]
	s_wait_xcnt 0x3
	v_add_nc_u64_e32 v[22:23], 0x100, v[22:23]
	s_delay_alu instid0(VALU_DEP_2)
	v_cmp_ge_i64_e32 vcc_lo, v[18:19], v[6:7]
	s_or_b32 s7, vcc_lo, s7
	s_wait_loadcnt 0x6
	v_sub_nc_u64_e32 v[36:37], v[36:37], v[4:5]
	s_wait_loadcnt 0x5
	v_sub_nc_u64_e32 v[38:39], v[38:39], v[4:5]
	;; [unrolled: 2-line block ×4, first 2 shown]
	s_wait_loadcnt 0x2
	v_bfe_i32 v65, v26, 16, 8
	s_wait_loadcnt 0x0
	v_dual_ashrrev_i32 v71, 24, v26 :: v_dual_ashrrev_i32 v78, 24, v35
	v_lshl_add_u64 v[44:45], v[36:37], 2, s[4:5]
	v_lshl_add_u64 v[46:47], v[38:39], 2, s[4:5]
	;; [unrolled: 1-line block ×4, first 2 shown]
	v_bfe_i32 v52, v32, 0, 8
	s_clause 0x2
	global_load_b32 v66, v[44:45], off
	global_load_b32 v67, v[46:47], off
	;; [unrolled: 1-line block ×3, first 2 shown]
	global_load_b128 v[36:39], v[20:21], off offset:384
	global_load_b32 v69, v[42:43], off
	s_wait_xcnt 0x2
	v_bfe_i32 v40, v24, 0, 8
	v_bfe_i32 v41, v25, 0, 8
	s_wait_xcnt 0x0
	v_bfe_i32 v42, v26, 0, 8
	v_bfe_i32 v54, v32, 8, 8
	;; [unrolled: 1-line block ×3, first 2 shown]
	v_dual_ashrrev_i32 v58, 24, v32 :: v_dual_ashrrev_i32 v70, 24, v27
	v_bfe_i32 v32, v26, 8, 8
	v_bfe_i32 v43, v27, 0, 8
	v_dual_ashrrev_i32 v44, 24, v28 :: v_dual_ashrrev_i32 v49, 24, v25
	v_bfe_i32 v45, v25, 8, 8
	v_bfe_i32 v46, v24, 8, 8
	;; [unrolled: 1-line block ×4, first 2 shown]
	v_dual_ashrrev_i32 v50, 24, v24 :: v_dual_ashrrev_i32 v57, 24, v33
	v_cvt_f32_i32_e32 v24, v40
	v_cvt_f32_i32_e32 v25, v41
	v_bfe_i32 v60, v28, 0, 8
	v_bfe_i32 v62, v28, 8, 8
	;; [unrolled: 1-line block ×8, first 2 shown]
	v_dual_ashrrev_i32 v81, 24, v30 :: v_dual_ashrrev_i32 v88, 24, v31
	v_bfe_i32 v82, v31, 0, 8
	v_bfe_i32 v84, v31, 8, 8
	;; [unrolled: 1-line block ×3, first 2 shown]
	v_cvt_f32_i32_e32 v31, v70
	v_bfe_i32 v83, v30, 0, 8
	v_bfe_i32 v85, v30, 8, 8
	;; [unrolled: 1-line block ×3, first 2 shown]
	v_cvt_f32_i32_e32 v30, v71
	v_bfe_i32 v59, v29, 0, 8
	v_bfe_i32 v61, v29, 8, 8
	;; [unrolled: 1-line block ×5, first 2 shown]
	v_dual_ashrrev_i32 v79, 24, v34 :: v_dual_ashrrev_i32 v80, 24, v29
	v_cvt_f32_i32_e32 v29, v49
	v_bfe_i32 v74, v35, 8, 8
	v_bfe_i32 v75, v34, 8, 8
	;; [unrolled: 1-line block ×4, first 2 shown]
	v_cvt_f32_i32_e32 v35, v72
	v_cvt_f32_i32_e32 v34, v73
	;; [unrolled: 1-line block ×8, first 2 shown]
	v_add_nc_u64_e32 v[20:21], 0x200, v[20:21]
	s_wait_loadcnt 0x4
	v_bfe_i32 v26, v66, 0, 8
	v_bfe_i32 v70, v66, 16, 8
	v_ashrrev_i32_e32 v71, 24, v66
	s_wait_loadcnt 0x1
	v_bfe_i32 v89, v37, 0, 8
	v_bfe_i32 v90, v36, 0, 8
	v_cvt_f32_i32_e32 v26, v26
	v_bfe_i32 v91, v37, 8, 8
	v_bfe_i32 v92, v36, 8, 8
	;; [unrolled: 1-line block ×4, first 2 shown]
	v_pk_fma_f32 v[14:15], v[24:25], v[26:27], v[14:15] op_sel_hi:[1,0,1]
	v_cvt_f32_i32_e32 v24, v42
	v_cvt_f32_i32_e32 v25, v43
	v_dual_ashrrev_i32 v95, 24, v37 :: v_dual_ashrrev_i32 v96, 24, v36
	v_bfe_i32 v97, v39, 0, 8
	v_bfe_i32 v98, v38, 0, 8
	s_delay_alu instid0(VALU_DEP_4)
	v_pk_fma_f32 v[12:13], v[24:25], v[26:27], v[12:13] op_sel_hi:[1,0,1]
	v_bfe_i32 v26, v66, 8, 8
	v_cvt_f32_i32_e32 v25, v45
	v_cvt_f32_i32_e32 v24, v46
	;; [unrolled: 1-line block ×3, first 2 shown]
	v_bfe_i32 v70, v67, 0, 8
	v_cvt_f32_i32_e32 v26, v26
	v_bfe_i32 v99, v39, 8, 8
	v_bfe_i32 v100, v38, 8, 8
	;; [unrolled: 1-line block ×4, first 2 shown]
	v_pk_fma_f32 v[14:15], v[24:25], v[26:27], v[14:15] op_sel_hi:[1,0,1]
	v_cvt_f32_i32_e32 v25, v28
	v_cvt_f32_i32_e32 v24, v32
	;; [unrolled: 1-line block ×4, first 2 shown]
	v_dual_ashrrev_i32 v103, 24, v39 :: v_dual_ashrrev_i32 v104, 24, v38
	s_delay_alu instid0(VALU_DEP_4)
	v_pk_fma_f32 v[12:13], v[24:25], v[26:27], v[12:13] op_sel_hi:[1,0,1]
	v_cvt_f32_i32_e32 v25, v47
	v_cvt_f32_i32_e32 v24, v48
	;; [unrolled: 1-line block ×6, first 2 shown]
	v_pk_fma_f32 v[14:15], v[24:25], v[66:67], v[14:15] op_sel_hi:[1,0,1]
	v_cvt_f32_i32_e32 v36, v54
	v_pk_fma_f32 v[12:13], v[26:27], v[66:67], v[12:13] op_sel_hi:[1,0,1]
	v_cvt_f32_i32_e32 v26, v71
	v_bfe_i32 v71, v67, 8, 8
	v_cvt_f32_i32_e32 v66, v70
	v_cvt_f32_i32_e32 v39, v74
	;; [unrolled: 1-line block ×3, first 2 shown]
	v_pk_fma_f32 v[14:15], v[28:29], v[26:27], v[14:15] op_sel_hi:[1,0,1]
	v_pk_fma_f32 v[12:13], v[30:31], v[26:27], v[12:13] op_sel_hi:[1,0,1]
	v_bfe_i32 v29, v67, 16, 8
	v_cvt_f32_i32_e32 v28, v71
	v_cvt_f32_i32_e32 v43, v55
	v_pk_fma_f32 v[14:15], v[32:33], v[66:67], v[14:15] op_sel_hi:[1,0,1]
	v_pk_fma_f32 v[12:13], v[34:35], v[66:67], v[12:13] op_sel_hi:[1,0,1]
	v_cvt_f32_i32_e32 v42, v56
	v_cvt_f32_i32_e32 v55, v76
	;; [unrolled: 1-line block ×3, first 2 shown]
	v_ashrrev_i32_e32 v31, 24, v67
	v_cvt_f32_i32_e32 v30, v29
	v_pk_fma_f32 v[14:15], v[36:37], v[28:29], v[14:15] op_sel_hi:[1,0,1]
	v_pk_fma_f32 v[12:13], v[38:39], v[28:29], v[12:13] op_sel_hi:[1,0,1]
	v_cvt_f32_i32_e32 v45, v57
	v_cvt_f32_i32_e32 v57, v78
	v_cvt_f32_i32_e32 v56, v79
	v_bfe_i32 v33, v68, 0, 8
	v_cvt_f32_i32_e32 v32, v31
	v_pk_fma_f32 v[14:15], v[42:43], v[30:31], v[14:15] op_sel_hi:[1,0,1]
	v_pk_fma_f32 v[12:13], v[54:55], v[30:31], v[12:13] op_sel_hi:[1,0,1]
	v_cvt_f32_i32_e32 v47, v59
	v_cvt_f32_i32_e32 v46, v60
	v_cvt_f32_i32_e32 v59, v82
	v_bfe_i32 v34, v68, 8, 8
	;; [unrolled: 7-line block ×3, first 2 shown]
	v_cvt_f32_i32_e32 v32, v34
	v_pk_fma_f32 v[14:15], v[46:47], v[30:31], v[14:15] op_sel_hi:[1,0,1]
	v_pk_fma_f32 v[12:13], v[58:59], v[30:31], v[12:13] op_sel_hi:[1,0,1]
	v_cvt_f32_i32_e32 v51, v63
	v_cvt_f32_i32_e32 v50, v64
	v_cvt_f32_i32_e32 v63, v86
	v_cvt_f32_i32_e32 v62, v87
	v_ashrrev_i32_e32 v35, 24, v68
	v_cvt_f32_i32_e32 v34, v33
	v_pk_fma_f32 v[14:15], v[48:49], v[32:33], v[14:15] op_sel_hi:[1,0,1]
	v_pk_fma_f32 v[12:13], v[60:61], v[32:33], v[12:13] op_sel_hi:[1,0,1]
	v_cvt_f32_i32_e32 v52, v81
	v_cvt_f32_i32_e32 v53, v88
	s_wait_loadcnt 0x0
	v_bfe_i32 v37, v69, 0, 8
	v_cvt_f32_i32_e32 v36, v35
	v_pk_fma_f32 v[14:15], v[50:51], v[34:35], v[14:15] op_sel_hi:[1,0,1]
	v_pk_fma_f32 v[12:13], v[62:63], v[34:35], v[12:13] op_sel_hi:[1,0,1]
	v_cvt_f32_i32_e32 v65, v89
	v_cvt_f32_i32_e32 v64, v90
	;; [unrolled: 1-line block ×3, first 2 shown]
	v_bfe_i32 v38, v69, 8, 8
	v_cvt_f32_i32_e32 v34, v37
	v_pk_fma_f32 v[14:15], v[40:41], v[36:37], v[14:15] op_sel_hi:[1,0,1]
	v_pk_fma_f32 v[12:13], v[52:53], v[36:37], v[12:13] op_sel_hi:[1,0,1]
	v_cvt_f32_i32_e32 v35, v101
	v_cvt_f32_i32_e32 v25, v91
	;; [unrolled: 1-line block ×5, first 2 shown]
	v_bfe_i32 v37, v69, 16, 8
	v_cvt_f32_i32_e32 v36, v38
	v_pk_fma_f32 v[14:15], v[64:65], v[34:35], v[14:15] op_sel_hi:[1,0,1]
	v_pk_fma_f32 v[12:13], v[30:31], v[34:35], v[12:13] op_sel_hi:[1,0,1]
	v_cvt_f32_i32_e32 v27, v93
	v_cvt_f32_i32_e32 v26, v94
	;; [unrolled: 1-line block ×3, first 2 shown]
	v_ashrrev_i32_e32 v31, 24, v69
	v_cvt_f32_i32_e32 v30, v37
	v_pk_fma_f32 v[14:15], v[24:25], v[36:37], v[14:15] op_sel_hi:[1,0,1]
	v_pk_fma_f32 v[12:13], v[32:33], v[36:37], v[12:13] op_sel_hi:[1,0,1]
	v_cvt_f32_i32_e32 v29, v95
	v_cvt_f32_i32_e32 v28, v96
	;; [unrolled: 1-line block ×5, first 2 shown]
	v_pk_fma_f32 v[14:15], v[26:27], v[30:31], v[14:15] op_sel_hi:[1,0,1]
	v_pk_fma_f32 v[12:13], v[34:35], v[30:31], v[12:13] op_sel_hi:[1,0,1]
	s_delay_alu instid0(VALU_DEP_2) | instskip(NEXT) | instid1(VALU_DEP_2)
	v_pk_fma_f32 v[14:15], v[28:29], v[32:33], v[14:15] op_sel_hi:[1,0,1]
	v_pk_fma_f32 v[12:13], v[24:25], v[32:33], v[12:13] op_sel_hi:[1,0,1]
	s_and_not1_b32 exec_lo, exec_lo, s7
	s_cbranch_execnz .LBB86_23
; %bb.24:
	s_or_b32 exec_lo, exec_lo, s7
.LBB86_25:
	s_delay_alu instid0(SALU_CYCLE_1)
	s_or_b32 exec_lo, exec_lo, s6
.LBB86_26:
	s_delay_alu instid0(SALU_CYCLE_1)
	s_or_b32 exec_lo, exec_lo, s3
	s_cbranch_execz .LBB86_28
	s_branch .LBB86_39
.LBB86_27:
                                        ; implicit-def: $vgpr13
                                        ; implicit-def: $vgpr15
.LBB86_28:
	v_dual_mov_b32 v13, 0 :: v_dual_mov_b32 v12, 0
	v_dual_mov_b32 v15, 0 :: v_dual_mov_b32 v14, 0
	s_and_saveexec_b32 s3, s2
	s_cbranch_execz .LBB86_38
; %bb.29:
	v_dual_mov_b32 v13, v1 :: v_dual_bitop2_b32 v12, 8, v0 bitop3:0x54
	v_sub_nc_u64_e32 v[14:15], v[4:5], v[0:1]
	s_delay_alu instid0(VALU_DEP_2) | instskip(NEXT) | instid1(VALU_DEP_1)
	v_sub_nc_u64_e32 v[12:13], v[12:13], v[4:5]
	v_add_nc_u64_e32 v[12:13], v[12:13], v[16:17]
	v_not_b32_e32 v17, v17
	v_not_b32_e32 v16, v16
	s_delay_alu instid0(VALU_DEP_1) | instskip(NEXT) | instid1(VALU_DEP_4)
	v_add_nc_u64_e32 v[14:15], v[14:15], v[16:17]
	v_max_i64 v[12:13], v[12:13], v[6:7]
	s_delay_alu instid0(VALU_DEP_1) | instskip(NEXT) | instid1(VALU_DEP_1)
	v_add_nc_u64_e32 v[16:17], v[14:15], v[12:13]
	v_dual_mov_b32 v15, 0 :: v_dual_bitop2_b32 v14, 24, v16 bitop3:0x40
	s_delay_alu instid0(VALU_DEP_1) | instskip(NEXT) | instid1(VALU_DEP_2)
	v_dual_mov_b32 v13, v15 :: v_dual_mov_b32 v12, v15
	v_cmp_ne_u64_e32 vcc_lo, 24, v[14:15]
	v_mov_b32_e32 v14, v15
	s_and_saveexec_b32 s2, vcc_lo
	s_cbranch_execz .LBB86_33
; %bb.30:
	v_dual_lshrrev_b32 v1, 3, v16 :: v_dual_mov_b32 v13, 0
	v_lshl_add_u64 v[18:19], v[8:9], 3, s[8:9]
	s_mov_b32 s6, 0
	s_delay_alu instid0(VALU_DEP_2) | instskip(NEXT) | instid1(VALU_DEP_1)
	v_dual_mov_b32 v14, v13 :: v_dual_add_nc_u32 v1, 1, v1
	v_dual_mov_b32 v15, v13 :: v_dual_bitop2_b32 v12, 3, v1 bitop3:0x40
	s_delay_alu instid0(VALU_DEP_1)
	v_sub_nc_u64_e32 v[20:21], 0, v[12:13]
	v_mov_b32_e32 v12, v13
.LBB86_31:                              ; =>This Inner Loop Header: Depth=1
	global_load_b64 v[22:23], v[18:19], off
	v_add_nc_u64_e32 v[20:21], 1, v[20:21]
	v_add_nc_u64_e32 v[8:9], 8, v[8:9]
	s_wait_xcnt 0x0
	v_add_nc_u64_e32 v[18:19], 64, v[18:19]
	s_delay_alu instid0(VALU_DEP_3) | instskip(SKIP_3) | instid1(VALU_DEP_1)
	v_cmp_eq_u64_e32 vcc_lo, 0, v[20:21]
	s_or_b32 s6, vcc_lo, s6
	s_wait_loadcnt 0x0
	v_sub_nc_u64_e32 v[22:23], v[22:23], v[4:5]
	v_lshl_add_u64 v[26:27], v[22:23], 2, s[4:5]
	global_load_b128 v[22:25], v[10:11], off
	global_load_b32 v1, v[26:27], off
	s_wait_xcnt 0x1
	v_add_nc_u64_e32 v[10:11], 0x80, v[10:11]
	s_wait_loadcnt 0x1
	s_wait_xcnt 0x0
	v_bfe_i32 v26, v22, 8, 8
	v_bfe_i32 v31, v23, 0, 8
	;; [unrolled: 1-line block ×4, first 2 shown]
	v_dual_ashrrev_i32 v28, 24, v22 :: v_dual_ashrrev_i32 v36, 24, v23
	v_bfe_i32 v29, v22, 16, 8
	v_bfe_i32 v30, v23, 8, 8
	;; [unrolled: 1-line block ×5, first 2 shown]
	v_dual_ashrrev_i32 v38, 24, v24 :: v_dual_ashrrev_i32 v40, 24, v25
	v_cvt_f32_i32_e32 v23, v26
	v_cvt_f32_i32_e32 v26, v31
	v_cvt_f32_i32_e32 v31, v34
	s_wait_loadcnt 0x0
	v_bfe_i32 v34, v1, 0, 8
	v_bfe_i32 v32, v24, 8, 8
	;; [unrolled: 1-line block ×4, first 2 shown]
	v_cvt_f32_i32_e32 v22, v27
	v_cvt_f32_i32_e32 v25, v28
	;; [unrolled: 1-line block ×7, first 2 shown]
	v_bfe_i32 v36, v1, 8, 8
	v_cvt_f32_i32_e32 v34, v34
	v_cvt_f32_i32_e32 v35, v38
	;; [unrolled: 1-line block ×4, first 2 shown]
	v_bfe_i32 v37, v1, 16, 8
	v_cvt_f32_i32_e32 v36, v36
	v_pk_fma_f32 v[14:15], v[22:23], v[34:35], v[14:15] op_sel_hi:[1,0,1]
	v_pk_fma_f32 v[12:13], v[24:25], v[34:35], v[12:13] op_sel_hi:[1,0,1]
	v_cvt_f32_i32_e32 v34, v39
	v_ashrrev_i32_e32 v1, 24, v1
	v_cvt_f32_i32_e32 v22, v37
	v_pk_fma_f32 v[14:15], v[26:27], v[36:37], v[14:15] op_sel_hi:[1,0,1]
	v_pk_fma_f32 v[12:13], v[32:33], v[36:37], v[12:13] op_sel_hi:[1,0,1]
	v_cvt_f32_i32_e32 v25, v40
	v_cvt_f32_i32_e32 v24, v41
	;; [unrolled: 1-line block ×3, first 2 shown]
	v_pk_fma_f32 v[14:15], v[28:29], v[22:23], v[14:15] op_sel_hi:[1,0,1]
	v_pk_fma_f32 v[12:13], v[34:35], v[22:23], v[12:13] op_sel_hi:[1,0,1]
	s_delay_alu instid0(VALU_DEP_2) | instskip(NEXT) | instid1(VALU_DEP_2)
	v_pk_fma_f32 v[14:15], v[30:31], v[26:27], v[14:15] op_sel_hi:[1,0,1]
	v_pk_fma_f32 v[12:13], v[24:25], v[26:27], v[12:13] op_sel_hi:[1,0,1]
	s_and_not1_b32 exec_lo, exec_lo, s6
	s_cbranch_execnz .LBB86_31
; %bb.32:
	s_or_b32 exec_lo, exec_lo, s6
.LBB86_33:
	s_delay_alu instid0(SALU_CYCLE_1) | instskip(NEXT) | instid1(SALU_CYCLE_1)
	s_or_b32 exec_lo, exec_lo, s2
	s_mov_b32 s2, exec_lo
	v_cmpx_lt_u64_e32 23, v[16:17]
	s_cbranch_execz .LBB86_37
; %bb.34:
	v_lshl_add_u64 v[16:17], v[8:9], 3, s[8:9]
	s_mov_b32 s6, 0
	s_delay_alu instid0(VALU_DEP_1)
	v_add_nc_u64_e32 v[16:17], 0x80, v[16:17]
.LBB86_35:                              ; =>This Inner Loop Header: Depth=1
	s_clause 0x3
	global_load_b64 v[30:31], v[16:17], off offset:-128
	global_load_b64 v[32:33], v[16:17], off offset:-64
	global_load_b64 v[34:35], v[16:17], off
	global_load_b64 v[36:37], v[16:17], off offset:64
	s_clause 0x2
	global_load_b128 v[18:21], v[10:11], off
	global_load_b128 v[22:25], v[10:11], off offset:128
	global_load_b128 v[26:29], v[10:11], off offset:256
	v_add_nc_u64_e32 v[8:9], 32, v[8:9]
	s_wait_xcnt 0x3
	v_add_nc_u64_e32 v[16:17], 0x100, v[16:17]
	s_delay_alu instid0(VALU_DEP_2)
	v_cmp_ge_i64_e32 vcc_lo, v[8:9], v[6:7]
	s_or_b32 s6, vcc_lo, s6
	s_wait_loadcnt 0x6
	v_sub_nc_u64_e32 v[30:31], v[30:31], v[4:5]
	s_wait_loadcnt 0x5
	v_sub_nc_u64_e32 v[32:33], v[32:33], v[4:5]
	;; [unrolled: 2-line block ×4, first 2 shown]
	s_wait_loadcnt 0x2
	v_dual_ashrrev_i32 v57, 24, v20 :: v_dual_ashrrev_i32 v59, 24, v21
	v_bfe_i32 v58, v20, 16, 8
	v_lshl_add_u64 v[38:39], v[30:31], 2, s[4:5]
	v_lshl_add_u64 v[40:41], v[32:33], 2, s[4:5]
	;; [unrolled: 1-line block ×4, first 2 shown]
	v_bfe_i32 v56, v19, 16, 8
	s_clause 0x2
	global_load_b32 v1, v[38:39], off
	global_load_b32 v61, v[40:41], off
	;; [unrolled: 1-line block ×3, first 2 shown]
	global_load_b128 v[30:33], v[10:11], off offset:384
	global_load_b32 v63, v[36:37], off
	s_wait_xcnt 0x2
	v_bfe_i32 v34, v18, 8, 8
	v_bfe_i32 v35, v18, 0, 8
	;; [unrolled: 1-line block ×4, first 2 shown]
	s_wait_xcnt 0x0
	v_dual_ashrrev_i32 v36, 24, v18 :: v_dual_ashrrev_i32 v55, 24, v19
	v_bfe_i32 v37, v18, 16, 8
	v_bfe_i32 v38, v19, 8, 8
	v_bfe_i32 v39, v19, 0, 8
	v_cvt_f32_i32_e32 v19, v34
	v_cvt_f32_i32_e32 v18, v35
	v_bfe_i32 v60, v21, 16, 8
	s_wait_loadcnt 0x6
	v_bfe_i32 v48, v24, 8, 8
	v_bfe_i32 v49, v24, 0, 8
	v_dual_ashrrev_i32 v68, 24, v24 :: v_dual_ashrrev_i32 v70, 24, v25
	v_bfe_i32 v69, v24, 16, 8
	v_cvt_f32_i32_e32 v24, v60
	v_bfe_i32 v42, v21, 8, 8
	v_bfe_i32 v43, v21, 0, 8
	v_dual_ashrrev_i32 v64, 24, v22 :: v_dual_ashrrev_i32 v66, 24, v23
	v_bfe_i32 v44, v22, 8, 8
	v_bfe_i32 v45, v22, 0, 8
	;; [unrolled: 1-line block ×9, first 2 shown]
	s_wait_loadcnt 0x5
	v_dual_ashrrev_i32 v79, 24, v28 :: v_dual_ashrrev_i32 v83, 24, v29
	v_bfe_i32 v81, v29, 8, 8
	v_bfe_i32 v82, v29, 0, 8
	v_bfe_i32 v84, v29, 16, 8
	v_cvt_f32_i32_e32 v23, v42
	v_cvt_f32_i32_e32 v22, v43
	;; [unrolled: 1-line block ×4, first 2 shown]
	v_bfe_i32 v52, v26, 8, 8
	v_bfe_i32 v53, v26, 0, 8
	;; [unrolled: 1-line block ×6, first 2 shown]
	v_dual_ashrrev_i32 v75, 24, v26 :: v_dual_ashrrev_i32 v77, 24, v27
	v_bfe_i32 v76, v26, 16, 8
	v_bfe_i32 v78, v27, 16, 8
	;; [unrolled: 1-line block ×3, first 2 shown]
	v_cvt_f32_i32_e32 v27, v44
	v_cvt_f32_i32_e32 v26, v45
	;; [unrolled: 1-line block ×11, first 2 shown]
	v_add_nc_u64_e32 v[10:11], 0x200, v[10:11]
	s_wait_loadcnt 0x4
	v_bfe_i32 v20, v1, 0, 8
	v_bfe_i32 v60, v1, 16, 8
	s_wait_loadcnt 0x3
	v_bfe_i32 v64, v61, 0, 8
	s_wait_loadcnt 0x1
	v_bfe_i32 v85, v30, 8, 8
	v_bfe_i32 v86, v30, 0, 8
	v_cvt_f32_i32_e32 v20, v20
	v_cvt_f32_i32_e32 v60, v60
	v_bfe_i32 v87, v31, 8, 8
	v_bfe_i32 v88, v31, 0, 8
	;; [unrolled: 1-line block ×3, first 2 shown]
	v_pk_fma_f32 v[14:15], v[18:19], v[20:21], v[14:15] op_sel_hi:[1,0,1]
	v_cvt_f32_i32_e32 v19, v36
	v_cvt_f32_i32_e32 v18, v37
	v_bfe_i32 v90, v32, 0, 8
	v_bfe_i32 v91, v33, 8, 8
	;; [unrolled: 1-line block ×3, first 2 shown]
	v_dual_ashrrev_i32 v93, 24, v30 :: v_dual_ashrrev_i32 v95, 24, v31
	v_pk_fma_f32 v[12:13], v[18:19], v[20:21], v[12:13] op_sel_hi:[1,0,1]
	v_bfe_i32 v20, v1, 8, 8
	v_cvt_f32_i32_e32 v19, v38
	v_cvt_f32_i32_e32 v18, v39
	v_ashrrev_i32_e32 v1, 24, v1
	v_bfe_i32 v94, v30, 16, 8
	v_cvt_f32_i32_e32 v20, v20
	v_bfe_i32 v96, v31, 16, 8
	v_dual_ashrrev_i32 v97, 24, v32 :: v_dual_ashrrev_i32 v99, 24, v33
	v_bfe_i32 v98, v32, 16, 8
	s_delay_alu instid0(VALU_DEP_4)
	v_pk_fma_f32 v[14:15], v[18:19], v[20:21], v[14:15] op_sel_hi:[1,0,1]
	v_cvt_f32_i32_e32 v19, v55
	v_cvt_f32_i32_e32 v18, v56
	v_bfe_i32 v100, v33, 16, 8
	v_cvt_f32_i32_e32 v31, v46
	v_cvt_f32_i32_e32 v30, v47
	;; [unrolled: 1-line block ×3, first 2 shown]
	v_pk_fma_f32 v[12:13], v[18:19], v[20:21], v[12:13] op_sel_hi:[1,0,1]
	v_cvt_f32_i32_e32 v19, v40
	v_cvt_f32_i32_e32 v18, v41
	;; [unrolled: 1-line block ×6, first 2 shown]
	v_pk_fma_f32 v[14:15], v[18:19], v[60:61], v[14:15] op_sel_hi:[1,0,1]
	v_cvt_f32_i32_e32 v36, v51
	v_pk_fma_f32 v[12:13], v[20:21], v[60:61], v[12:13] op_sel_hi:[1,0,1]
	v_cvt_f32_i32_e32 v20, v1
	v_bfe_i32 v1, v61, 8, 8
	v_cvt_f32_i32_e32 v60, v64
	v_cvt_f32_i32_e32 v47, v70
	;; [unrolled: 1-line block ×3, first 2 shown]
	v_pk_fma_f32 v[14:15], v[22:23], v[20:21], v[14:15] op_sel_hi:[1,0,1]
	v_pk_fma_f32 v[12:13], v[24:25], v[20:21], v[12:13] op_sel_hi:[1,0,1]
	v_bfe_i32 v23, v61, 16, 8
	v_cvt_f32_i32_e32 v22, v1
	v_ashrrev_i32_e32 v1, 24, v61
	v_pk_fma_f32 v[14:15], v[26:27], v[60:61], v[14:15] op_sel_hi:[1,0,1]
	v_pk_fma_f32 v[12:13], v[28:29], v[60:61], v[12:13] op_sel_hi:[1,0,1]
	v_cvt_f32_i32_e32 v24, v23
	v_bfe_i32 v25, v62, 0, 8
	v_cvt_f32_i32_e32 v26, v1
	v_pk_fma_f32 v[14:15], v[30:31], v[22:23], v[14:15] op_sel_hi:[1,0,1]
	v_pk_fma_f32 v[12:13], v[32:33], v[22:23], v[12:13] op_sel_hi:[1,0,1]
	v_cvt_f32_i32_e32 v39, v52
	v_cvt_f32_i32_e32 v38, v53
	v_bfe_i32 v1, v62, 8, 8
	v_pk_fma_f32 v[14:15], v[34:35], v[24:25], v[14:15] op_sel_hi:[1,0,1]
	v_pk_fma_f32 v[12:13], v[44:45], v[24:25], v[12:13] op_sel_hi:[1,0,1]
	v_cvt_f32_i32_e32 v24, v25
	v_cvt_f32_i32_e32 v25, v93
	;; [unrolled: 1-line block ×3, first 2 shown]
	v_pk_fma_f32 v[14:15], v[36:37], v[26:27], v[14:15] op_sel_hi:[1,0,1]
	v_pk_fma_f32 v[12:13], v[46:47], v[26:27], v[12:13] op_sel_hi:[1,0,1]
	v_cvt_f32_i32_e32 v40, v72
	v_cvt_f32_i32_e32 v51, v77
	;; [unrolled: 1-line block ×3, first 2 shown]
	v_bfe_i32 v27, v62, 16, 8
	v_cvt_f32_i32_e32 v26, v1
	v_pk_fma_f32 v[14:15], v[38:39], v[24:25], v[14:15] op_sel_hi:[1,0,1]
	v_pk_fma_f32 v[12:13], v[48:49], v[24:25], v[12:13] op_sel_hi:[1,0,1]
	v_cvt_f32_i32_e32 v53, v79
	v_cvt_f32_i32_e32 v52, v80
	v_ashrrev_i32_e32 v1, 24, v62
	v_cvt_f32_i32_e32 v28, v27
	v_pk_fma_f32 v[14:15], v[40:41], v[26:27], v[14:15] op_sel_hi:[1,0,1]
	v_pk_fma_f32 v[12:13], v[50:51], v[26:27], v[12:13] op_sel_hi:[1,0,1]
	s_wait_loadcnt 0x0
	v_bfe_i32 v29, v63, 0, 8
	v_cvt_f32_i32_e32 v55, v81
	v_cvt_f32_i32_e32 v54, v82
	;; [unrolled: 1-line block ×5, first 2 shown]
	v_pk_fma_f32 v[14:15], v[42:43], v[28:29], v[14:15] op_sel_hi:[1,0,1]
	v_pk_fma_f32 v[12:13], v[52:53], v[28:29], v[12:13] op_sel_hi:[1,0,1]
	v_cvt_f32_i32_e32 v59, v85
	v_cvt_f32_i32_e32 v58, v86
	v_cvt_f32_i32_e32 v24, v94
	v_bfe_i32 v1, v63, 8, 8
	v_cvt_f32_i32_e32 v28, v29
	v_pk_fma_f32 v[14:15], v[54:55], v[30:31], v[14:15] op_sel_hi:[1,0,1]
	v_pk_fma_f32 v[12:13], v[56:57], v[30:31], v[12:13] op_sel_hi:[1,0,1]
	v_cvt_f32_i32_e32 v29, v97
	v_cvt_f32_i32_e32 v19, v87
	;; [unrolled: 1-line block ×5, first 2 shown]
	v_bfe_i32 v31, v63, 16, 8
	v_cvt_f32_i32_e32 v30, v1
	v_pk_fma_f32 v[14:15], v[58:59], v[28:29], v[14:15] op_sel_hi:[1,0,1]
	v_pk_fma_f32 v[12:13], v[24:25], v[28:29], v[12:13] op_sel_hi:[1,0,1]
	v_cvt_f32_i32_e32 v21, v89
	v_cvt_f32_i32_e32 v20, v90
	;; [unrolled: 1-line block ×3, first 2 shown]
	v_ashrrev_i32_e32 v1, 24, v63
	v_cvt_f32_i32_e32 v24, v31
	v_pk_fma_f32 v[14:15], v[18:19], v[30:31], v[14:15] op_sel_hi:[1,0,1]
	v_pk_fma_f32 v[12:13], v[26:27], v[30:31], v[12:13] op_sel_hi:[1,0,1]
	v_cvt_f32_i32_e32 v23, v91
	v_cvt_f32_i32_e32 v22, v92
	;; [unrolled: 1-line block ×5, first 2 shown]
	v_pk_fma_f32 v[14:15], v[20:21], v[24:25], v[14:15] op_sel_hi:[1,0,1]
	v_pk_fma_f32 v[12:13], v[28:29], v[24:25], v[12:13] op_sel_hi:[1,0,1]
	s_delay_alu instid0(VALU_DEP_2) | instskip(NEXT) | instid1(VALU_DEP_2)
	v_pk_fma_f32 v[14:15], v[22:23], v[26:27], v[14:15] op_sel_hi:[1,0,1]
	v_pk_fma_f32 v[12:13], v[18:19], v[26:27], v[12:13] op_sel_hi:[1,0,1]
	s_and_not1_b32 exec_lo, exec_lo, s6
	s_cbranch_execnz .LBB86_35
; %bb.36:
	s_or_b32 exec_lo, exec_lo, s6
.LBB86_37:
	s_delay_alu instid0(SALU_CYCLE_1)
	s_or_b32 exec_lo, exec_lo, s2
.LBB86_38:
	s_delay_alu instid0(SALU_CYCLE_1)
	s_or_b32 exec_lo, exec_lo, s3
.LBB86_39:
	v_mbcnt_lo_u32_b32 v1, -1, 0
	s_mov_b32 s2, -1
	s_delay_alu instid0(VALU_DEP_1) | instskip(SKIP_1) | instid1(VALU_DEP_1)
	v_xor_b32_e32 v8, 2, v1
	v_xor_b32_e32 v4, 4, v1
	v_cmp_gt_i32_e32 vcc_lo, 32, v4
	v_cndmask_b32_e32 v4, v1, v4, vcc_lo
	s_delay_alu instid0(VALU_DEP_4) | instskip(NEXT) | instid1(VALU_DEP_2)
	v_cmp_gt_i32_e32 vcc_lo, 32, v8
	v_lshlrev_b32_e32 v7, 2, v4
	v_cndmask_b32_e32 v8, v1, v8, vcc_lo
	ds_bpermute_b32 v4, v7, v14
	ds_bpermute_b32 v5, v7, v15
	;; [unrolled: 1-line block ×4, first 2 shown]
	v_lshlrev_b32_e32 v11, 2, v8
	s_wait_dscnt 0x2
	v_pk_add_f32 v[4:5], v[14:15], v[4:5]
	s_wait_dscnt 0x0
	v_pk_add_f32 v[6:7], v[12:13], v[6:7]
	v_xor_b32_e32 v12, 1, v1
	ds_bpermute_b32 v8, v11, v4
	ds_bpermute_b32 v9, v11, v5
	;; [unrolled: 1-line block ×4, first 2 shown]
	v_cmp_gt_i32_e32 vcc_lo, 32, v12
	v_cndmask_b32_e32 v1, v1, v12, vcc_lo
	v_cmp_eq_u32_e32 vcc_lo, 7, v0
	s_delay_alu instid0(VALU_DEP_2)
	v_lshlrev_b32_e32 v1, 2, v1
	s_wait_dscnt 0x2
	v_pk_add_f32 v[4:5], v[4:5], v[8:9]
	s_wait_dscnt 0x0
	v_pk_add_f32 v[8:9], v[6:7], v[10:11]
	ds_bpermute_b32 v6, v1, v4
	ds_bpermute_b32 v7, v1, v5
	;; [unrolled: 1-line block ×4, first 2 shown]
	s_and_b32 exec_lo, exec_lo, vcc_lo
	s_cbranch_execz .LBB86_10
; %bb.40:
	s_load_b64 s[0:1], s[0:1], 0x58
	s_wait_dscnt 0x2
	v_pk_add_f32 v[6:7], v[4:5], v[6:7]
	s_wait_dscnt 0x0
	v_pk_add_f32 v[4:5], v[8:9], v[10:11]
	s_cmp_eq_f32 s16, 0
	s_wait_kmcnt 0x0
	v_lshl_add_u64 v[0:1], v[2:3], 4, s[0:1]
	s_cbranch_scc0 .LBB86_42
; %bb.41:
	v_pk_mul_f32 v[8:9], s[12:13], v[6:7] op_sel_hi:[0,1]
	v_pk_mul_f32 v[10:11], s[12:13], v[4:5] op_sel_hi:[0,1]
	s_mov_b32 s2, 0
	global_store_b128 v[0:1], v[8:11], off
.LBB86_42:
	s_and_not1_b32 vcc_lo, exec_lo, s2
	s_cbranch_vccnz .LBB86_10
; %bb.43:
	global_load_b128 v[8:11], v[0:1], off
	v_pk_mul_f32 v[2:3], s[12:13], v[6:7] op_sel_hi:[0,1]
	v_pk_mul_f32 v[4:5], s[12:13], v[4:5] op_sel_hi:[0,1]
	s_wait_loadcnt 0x0
	s_delay_alu instid0(VALU_DEP_2) | instskip(NEXT) | instid1(VALU_DEP_2)
	v_pk_fma_f32 v[2:3], s[16:17], v[8:9], v[2:3] op_sel_hi:[0,1,1]
	v_pk_fma_f32 v[4:5], s[16:17], v[10:11], v[4:5] op_sel_hi:[0,1,1]
	global_store_b128 v[0:1], v[2:5], off
	s_sendmsg sendmsg(MSG_DEALLOC_VGPRS)
	s_endpgm
	.section	.rodata,"a",@progbits
	.p2align	6, 0x0
	.amdhsa_kernel _ZN9rocsparseL18bsrxmvn_4x4_kernelILj128ELj8EfllaafEEvT3_20rocsparse_direction_NS_24const_host_device_scalarIT1_EES1_PKS1_PKT2_SA_S7_PKT4_PKT5_S5_PT6_21rocsparse_index_base_b
		.amdhsa_group_segment_fixed_size 0
		.amdhsa_private_segment_fixed_size 0
		.amdhsa_kernarg_size 104
		.amdhsa_user_sgpr_count 2
		.amdhsa_user_sgpr_dispatch_ptr 0
		.amdhsa_user_sgpr_queue_ptr 0
		.amdhsa_user_sgpr_kernarg_segment_ptr 1
		.amdhsa_user_sgpr_dispatch_id 0
		.amdhsa_user_sgpr_kernarg_preload_length 0
		.amdhsa_user_sgpr_kernarg_preload_offset 0
		.amdhsa_user_sgpr_private_segment_size 0
		.amdhsa_wavefront_size32 1
		.amdhsa_uses_dynamic_stack 0
		.amdhsa_enable_private_segment 0
		.amdhsa_system_sgpr_workgroup_id_x 1
		.amdhsa_system_sgpr_workgroup_id_y 0
		.amdhsa_system_sgpr_workgroup_id_z 0
		.amdhsa_system_sgpr_workgroup_info 0
		.amdhsa_system_vgpr_workitem_id 0
		.amdhsa_next_free_vgpr 105
		.amdhsa_next_free_sgpr 18
		.amdhsa_named_barrier_count 0
		.amdhsa_reserve_vcc 1
		.amdhsa_float_round_mode_32 0
		.amdhsa_float_round_mode_16_64 0
		.amdhsa_float_denorm_mode_32 3
		.amdhsa_float_denorm_mode_16_64 3
		.amdhsa_fp16_overflow 0
		.amdhsa_memory_ordered 1
		.amdhsa_forward_progress 1
		.amdhsa_inst_pref_size 41
		.amdhsa_round_robin_scheduling 0
		.amdhsa_exception_fp_ieee_invalid_op 0
		.amdhsa_exception_fp_denorm_src 0
		.amdhsa_exception_fp_ieee_div_zero 0
		.amdhsa_exception_fp_ieee_overflow 0
		.amdhsa_exception_fp_ieee_underflow 0
		.amdhsa_exception_fp_ieee_inexact 0
		.amdhsa_exception_int_div_zero 0
	.end_amdhsa_kernel
	.section	.text._ZN9rocsparseL18bsrxmvn_4x4_kernelILj128ELj8EfllaafEEvT3_20rocsparse_direction_NS_24const_host_device_scalarIT1_EES1_PKS1_PKT2_SA_S7_PKT4_PKT5_S5_PT6_21rocsparse_index_base_b,"axG",@progbits,_ZN9rocsparseL18bsrxmvn_4x4_kernelILj128ELj8EfllaafEEvT3_20rocsparse_direction_NS_24const_host_device_scalarIT1_EES1_PKS1_PKT2_SA_S7_PKT4_PKT5_S5_PT6_21rocsparse_index_base_b,comdat
.Lfunc_end86:
	.size	_ZN9rocsparseL18bsrxmvn_4x4_kernelILj128ELj8EfllaafEEvT3_20rocsparse_direction_NS_24const_host_device_scalarIT1_EES1_PKS1_PKT2_SA_S7_PKT4_PKT5_S5_PT6_21rocsparse_index_base_b, .Lfunc_end86-_ZN9rocsparseL18bsrxmvn_4x4_kernelILj128ELj8EfllaafEEvT3_20rocsparse_direction_NS_24const_host_device_scalarIT1_EES1_PKS1_PKT2_SA_S7_PKT4_PKT5_S5_PT6_21rocsparse_index_base_b
                                        ; -- End function
	.set _ZN9rocsparseL18bsrxmvn_4x4_kernelILj128ELj8EfllaafEEvT3_20rocsparse_direction_NS_24const_host_device_scalarIT1_EES1_PKS1_PKT2_SA_S7_PKT4_PKT5_S5_PT6_21rocsparse_index_base_b.num_vgpr, 105
	.set _ZN9rocsparseL18bsrxmvn_4x4_kernelILj128ELj8EfllaafEEvT3_20rocsparse_direction_NS_24const_host_device_scalarIT1_EES1_PKS1_PKT2_SA_S7_PKT4_PKT5_S5_PT6_21rocsparse_index_base_b.num_agpr, 0
	.set _ZN9rocsparseL18bsrxmvn_4x4_kernelILj128ELj8EfllaafEEvT3_20rocsparse_direction_NS_24const_host_device_scalarIT1_EES1_PKS1_PKT2_SA_S7_PKT4_PKT5_S5_PT6_21rocsparse_index_base_b.numbered_sgpr, 18
	.set _ZN9rocsparseL18bsrxmvn_4x4_kernelILj128ELj8EfllaafEEvT3_20rocsparse_direction_NS_24const_host_device_scalarIT1_EES1_PKS1_PKT2_SA_S7_PKT4_PKT5_S5_PT6_21rocsparse_index_base_b.num_named_barrier, 0
	.set _ZN9rocsparseL18bsrxmvn_4x4_kernelILj128ELj8EfllaafEEvT3_20rocsparse_direction_NS_24const_host_device_scalarIT1_EES1_PKS1_PKT2_SA_S7_PKT4_PKT5_S5_PT6_21rocsparse_index_base_b.private_seg_size, 0
	.set _ZN9rocsparseL18bsrxmvn_4x4_kernelILj128ELj8EfllaafEEvT3_20rocsparse_direction_NS_24const_host_device_scalarIT1_EES1_PKS1_PKT2_SA_S7_PKT4_PKT5_S5_PT6_21rocsparse_index_base_b.uses_vcc, 1
	.set _ZN9rocsparseL18bsrxmvn_4x4_kernelILj128ELj8EfllaafEEvT3_20rocsparse_direction_NS_24const_host_device_scalarIT1_EES1_PKS1_PKT2_SA_S7_PKT4_PKT5_S5_PT6_21rocsparse_index_base_b.uses_flat_scratch, 0
	.set _ZN9rocsparseL18bsrxmvn_4x4_kernelILj128ELj8EfllaafEEvT3_20rocsparse_direction_NS_24const_host_device_scalarIT1_EES1_PKS1_PKT2_SA_S7_PKT4_PKT5_S5_PT6_21rocsparse_index_base_b.has_dyn_sized_stack, 0
	.set _ZN9rocsparseL18bsrxmvn_4x4_kernelILj128ELj8EfllaafEEvT3_20rocsparse_direction_NS_24const_host_device_scalarIT1_EES1_PKS1_PKT2_SA_S7_PKT4_PKT5_S5_PT6_21rocsparse_index_base_b.has_recursion, 0
	.set _ZN9rocsparseL18bsrxmvn_4x4_kernelILj128ELj8EfllaafEEvT3_20rocsparse_direction_NS_24const_host_device_scalarIT1_EES1_PKS1_PKT2_SA_S7_PKT4_PKT5_S5_PT6_21rocsparse_index_base_b.has_indirect_call, 0
	.section	.AMDGPU.csdata,"",@progbits
; Kernel info:
; codeLenInByte = 5196
; TotalNumSgprs: 20
; NumVgprs: 105
; ScratchSize: 0
; MemoryBound: 0
; FloatMode: 240
; IeeeMode: 1
; LDSByteSize: 0 bytes/workgroup (compile time only)
; SGPRBlocks: 0
; VGPRBlocks: 6
; NumSGPRsForWavesPerEU: 20
; NumVGPRsForWavesPerEU: 105
; NamedBarCnt: 0
; Occupancy: 9
; WaveLimiterHint : 1
; COMPUTE_PGM_RSRC2:SCRATCH_EN: 0
; COMPUTE_PGM_RSRC2:USER_SGPR: 2
; COMPUTE_PGM_RSRC2:TRAP_HANDLER: 0
; COMPUTE_PGM_RSRC2:TGID_X_EN: 1
; COMPUTE_PGM_RSRC2:TGID_Y_EN: 0
; COMPUTE_PGM_RSRC2:TGID_Z_EN: 0
; COMPUTE_PGM_RSRC2:TIDIG_COMP_CNT: 0
	.section	.text._ZN9rocsparseL18bsrxmvn_4x4_kernelILj128ELj16EfllaafEEvT3_20rocsparse_direction_NS_24const_host_device_scalarIT1_EES1_PKS1_PKT2_SA_S7_PKT4_PKT5_S5_PT6_21rocsparse_index_base_b,"axG",@progbits,_ZN9rocsparseL18bsrxmvn_4x4_kernelILj128ELj16EfllaafEEvT3_20rocsparse_direction_NS_24const_host_device_scalarIT1_EES1_PKS1_PKT2_SA_S7_PKT4_PKT5_S5_PT6_21rocsparse_index_base_b,comdat
	.globl	_ZN9rocsparseL18bsrxmvn_4x4_kernelILj128ELj16EfllaafEEvT3_20rocsparse_direction_NS_24const_host_device_scalarIT1_EES1_PKS1_PKT2_SA_S7_PKT4_PKT5_S5_PT6_21rocsparse_index_base_b ; -- Begin function _ZN9rocsparseL18bsrxmvn_4x4_kernelILj128ELj16EfllaafEEvT3_20rocsparse_direction_NS_24const_host_device_scalarIT1_EES1_PKS1_PKT2_SA_S7_PKT4_PKT5_S5_PT6_21rocsparse_index_base_b
	.p2align	8
	.type	_ZN9rocsparseL18bsrxmvn_4x4_kernelILj128ELj16EfllaafEEvT3_20rocsparse_direction_NS_24const_host_device_scalarIT1_EES1_PKS1_PKT2_SA_S7_PKT4_PKT5_S5_PT6_21rocsparse_index_base_b,@function
_ZN9rocsparseL18bsrxmvn_4x4_kernelILj128ELj16EfllaafEEvT3_20rocsparse_direction_NS_24const_host_device_scalarIT1_EES1_PKS1_PKT2_SA_S7_PKT4_PKT5_S5_PT6_21rocsparse_index_base_b: ; @_ZN9rocsparseL18bsrxmvn_4x4_kernelILj128ELj16EfllaafEEvT3_20rocsparse_direction_NS_24const_host_device_scalarIT1_EES1_PKS1_PKT2_SA_S7_PKT4_PKT5_S5_PT6_21rocsparse_index_base_b
; %bb.0:
	s_clause 0x2
	s_load_b64 s[2:3], s[0:1], 0x60
	s_load_b128 s[12:15], s[0:1], 0x10
	s_load_b64 s[16:17], s[0:1], 0x50
	s_wait_kmcnt 0x0
	s_bitcmp1_b32 s3, 0
	s_cselect_b32 s3, -1, 0
	s_delay_alu instid0(SALU_CYCLE_1)
	s_and_b32 vcc_lo, exec_lo, s3
	s_xor_b32 s3, s3, -1
	s_cbranch_vccnz .LBB87_2
; %bb.1:
	s_load_b32 s12, s[12:13], 0x0
.LBB87_2:
	s_and_not1_b32 vcc_lo, exec_lo, s3
	s_cbranch_vccnz .LBB87_4
; %bb.3:
	s_load_b32 s16, s[16:17], 0x0
.LBB87_4:
	s_wait_kmcnt 0x0
	s_cmp_neq_f32 s12, 0
	s_mov_b32 s6, 0
	s_cselect_b32 s3, -1, 0
	s_cmp_neq_f32 s16, 1.0
	s_cselect_b32 s4, -1, 0
	s_delay_alu instid0(SALU_CYCLE_1) | instskip(NEXT) | instid1(SALU_CYCLE_1)
	s_or_b32 s3, s3, s4
	s_and_not1_b32 vcc_lo, exec_lo, s3
	s_cbranch_vccnz .LBB87_10
; %bb.5:
	s_load_b64 s[4:5], s[0:1], 0x20
	s_bfe_u32 s3, ttmp6, 0x4000c
	s_and_b32 s7, ttmp6, 15
	s_add_co_i32 s3, s3, 1
	s_getreg_b32 s8, hwreg(HW_REG_IB_STS2, 6, 4)
	s_mul_i32 s3, ttmp9, s3
	v_dual_lshrrev_b32 v1, 4, v0 :: v_dual_mov_b32 v7, 0
	s_add_co_i32 s7, s7, s3
	s_cmp_eq_u32 s8, 0
	s_cselect_b32 s3, ttmp9, s7
	s_delay_alu instid0(VALU_DEP_1) | instid1(SALU_CYCLE_1)
	v_lshl_or_b32 v6, s3, 3, v1
	s_wait_kmcnt 0x0
	s_cmp_lg_u64 s[4:5], 0
	s_cbranch_scc0 .LBB87_11
; %bb.6:
	s_mov_b32 s7, 0
                                        ; implicit-def: $vgpr2_vgpr3
                                        ; implicit-def: $vgpr4_vgpr5
	s_mov_b32 s3, exec_lo
	v_cmpx_gt_i64_e64 s[14:15], v[6:7]
	s_xor_b32 s8, exec_lo, s3
	s_cbranch_execz .LBB87_8
; %bb.7:
	v_lshl_add_u64 v[2:3], v[6:7], 3, s[4:5]
	s_mov_b32 s3, 0
	s_mov_b32 s6, exec_lo
	v_mov_b64_e32 v[4:5], s[2:3]
	global_load_b64 v[2:3], v[2:3], off
	s_wait_loadcnt 0x0
	v_sub_nc_u64_e64 v[2:3], v[2:3], s[2:3]
.LBB87_8:
	s_or_b32 exec_lo, exec_lo, s8
	s_delay_alu instid0(SALU_CYCLE_1)
	s_and_b32 vcc_lo, exec_lo, s7
	s_cbranch_vccnz .LBB87_12
.LBB87_9:
	s_and_saveexec_b32 s2, s6
	s_cbranch_execnz .LBB87_15
.LBB87_10:
	s_sendmsg sendmsg(MSG_DEALLOC_VGPRS)
	s_endpgm
.LBB87_11:
                                        ; implicit-def: $vgpr2_vgpr3
                                        ; implicit-def: $vgpr4_vgpr5
	s_cbranch_execz .LBB87_9
.LBB87_12:
	s_load_b64 s[4:5], s[0:1], 0x0
	s_wait_kmcnt 0x0
	v_cmp_gt_i64_e32 vcc_lo, s[4:5], v[6:7]
	s_and_saveexec_b32 s4, vcc_lo
; %bb.13:
	s_mov_b32 s3, 0
	s_or_b32 s6, s6, exec_lo
; %bb.14:
	s_or_b32 exec_lo, exec_lo, s4
	v_mov_b64_e32 v[4:5], s[2:3]
	v_mov_b64_e32 v[2:3], v[6:7]
	s_and_saveexec_b32 s2, s6
	s_cbranch_execz .LBB87_10
.LBB87_15:
	s_load_b256 s[4:11], s[0:1], 0x28
	s_delay_alu instid0(VALU_DEP_1) | instskip(SKIP_2) | instid1(VALU_DEP_2)
	v_lshlrev_b64_e32 v[6:7], 3, v[2:3]
	v_dual_mov_b32 v1, 0 :: v_dual_bitop2_b32 v0, 15, v0 bitop3:0x40
	s_wait_kmcnt 0x0
	v_add_nc_u64_e32 v[8:9], s[4:5], v[6:7]
	v_add_nc_u64_e32 v[6:7], s[6:7], v[6:7]
	s_cmp_eq_u64 s[6:7], 0
	s_cselect_b32 vcc_lo, -1, 0
	s_delay_alu instid0(VALU_DEP_2)
	v_add_nc_u64_e32 v[10:11], 8, v[8:9]
	global_load_b64 v[14:15], v[8:9], off
	v_dual_cndmask_b32 v7, v7, v11 :: v_dual_cndmask_b32 v6, v6, v10
	global_load_b64 v[6:7], v[6:7], off
	s_clause 0x1
	s_load_b32 s3, s[0:1], 0x8
	s_load_b64 s[4:5], s[0:1], 0x48
	s_wait_kmcnt 0x0
	s_cmp_eq_u32 s3, 1
	s_wait_loadcnt 0x1
	v_sub_nc_u64_e32 v[8:9], v[14:15], v[4:5]
	s_delay_alu instid0(VALU_DEP_1) | instskip(SKIP_2) | instid1(VALU_DEP_2)
	v_add_nc_u64_e32 v[8:9], v[8:9], v[0:1]
	s_wait_loadcnt 0x0
	v_sub_nc_u64_e32 v[6:7], v[6:7], v[4:5]
	v_lshl_add_u64 v[10:11], v[8:9], 4, s[10:11]
	s_delay_alu instid0(VALU_DEP_2)
	v_cmp_lt_i64_e64 s2, v[8:9], v[6:7]
	s_cbranch_scc1 .LBB87_27
; %bb.16:
	v_dual_mov_b32 v17, v1 :: v_dual_mov_b32 v16, v1
	v_dual_mov_b32 v13, v1 :: v_dual_mov_b32 v12, v1
	s_and_saveexec_b32 s3, s2
	s_cbranch_execz .LBB87_26
; %bb.17:
	v_dual_mov_b32 v13, v1 :: v_dual_bitop2_b32 v12, 16, v0 bitop3:0x54
	v_sub_nc_u64_e32 v[16:17], v[4:5], v[0:1]
	v_not_b32_e32 v19, v15
	v_not_b32_e32 v18, v14
	v_mov_b64_e32 v[20:21], v[10:11]
	v_sub_nc_u64_e32 v[12:13], v[12:13], v[4:5]
	s_delay_alu instid0(VALU_DEP_3) | instskip(SKIP_1) | instid1(VALU_DEP_3)
	v_add_nc_u64_e32 v[16:17], v[16:17], v[18:19]
	v_mov_b64_e32 v[18:19], v[8:9]
	v_add_nc_u64_e32 v[12:13], v[12:13], v[14:15]
	s_delay_alu instid0(VALU_DEP_1) | instskip(NEXT) | instid1(VALU_DEP_1)
	v_max_i64 v[12:13], v[12:13], v[6:7]
	v_add_nc_u64_e32 v[22:23], v[16:17], v[12:13]
	s_delay_alu instid0(VALU_DEP_1) | instskip(NEXT) | instid1(VALU_DEP_1)
	v_dual_mov_b32 v13, 0 :: v_dual_bitop2_b32 v12, 48, v22 bitop3:0x40
	v_dual_mov_b32 v16, v13 :: v_dual_mov_b32 v17, v13
	s_delay_alu instid0(VALU_DEP_2)
	v_cmp_ne_u64_e32 vcc_lo, 48, v[12:13]
	v_mov_b32_e32 v12, v13
	s_and_saveexec_b32 s6, vcc_lo
	s_cbranch_execz .LBB87_21
; %bb.18:
	v_dual_mov_b32 v17, 0 :: v_dual_lshrrev_b32 v12, 4, v22
	v_mov_b64_e32 v[20:21], v[10:11]
	v_mov_b64_e32 v[18:19], v[8:9]
	v_lshl_add_u64 v[24:25], v[8:9], 3, s[8:9]
	s_delay_alu instid0(VALU_DEP_4) | instskip(SKIP_1) | instid1(VALU_DEP_1)
	v_add_nc_u32_e32 v12, 1, v12
	s_mov_b32 s7, 0
	v_dual_mov_b32 v13, v17 :: v_dual_bitop2_b32 v16, 3, v12 bitop3:0x40
	v_mov_b32_e32 v12, v17
	s_delay_alu instid0(VALU_DEP_2)
	v_sub_nc_u64_e32 v[26:27], 0, v[16:17]
	v_mov_b32_e32 v16, v17
.LBB87_19:                              ; =>This Inner Loop Header: Depth=1
	global_load_b64 v[28:29], v[24:25], off
	v_add_nc_u64_e32 v[26:27], 1, v[26:27]
	v_add_nc_u64_e32 v[18:19], 16, v[18:19]
	s_wait_xcnt 0x0
	v_add_nc_u64_e32 v[24:25], 0x80, v[24:25]
	s_delay_alu instid0(VALU_DEP_3) | instskip(SKIP_3) | instid1(VALU_DEP_1)
	v_cmp_eq_u64_e32 vcc_lo, 0, v[26:27]
	s_or_b32 s7, vcc_lo, s7
	s_wait_loadcnt 0x0
	v_sub_nc_u64_e32 v[28:29], v[28:29], v[4:5]
	v_lshl_add_u64 v[32:33], v[28:29], 2, s[4:5]
	global_load_b128 v[28:31], v[20:21], off
	global_load_b32 v39, v[32:33], off
	s_wait_xcnt 0x1
	v_add_nc_u64_e32 v[20:21], 0x100, v[20:21]
	s_wait_loadcnt 0x1
	s_wait_xcnt 0x0
	v_bfe_i32 v33, v28, 8, 8
	v_dual_ashrrev_i32 v38, 24, v29 :: v_dual_ashrrev_i32 v40, 24, v28
	v_bfe_i32 v32, v28, 0, 8
	v_bfe_i32 v34, v29, 0, 8
	;; [unrolled: 1-line block ×6, first 2 shown]
	v_cvt_f32_i32_e32 v28, v33
	v_cvt_f32_i32_e32 v33, v38
	s_wait_loadcnt 0x0
	v_bfe_i32 v38, v39, 0, 8
	v_bfe_i32 v35, v29, 8, 8
	;; [unrolled: 1-line block ×5, first 2 shown]
	v_dual_ashrrev_i32 v47, 24, v31 :: v_dual_ashrrev_i32 v48, 24, v30
	v_cvt_f32_i32_e32 v49, v32
	v_cvt_f32_i32_e32 v50, v34
	;; [unrolled: 1-line block ×6, first 2 shown]
	v_bfe_i32 v41, v39, 8, 8
	v_cvt_f32_i32_e32 v43, v38
	v_bfe_i32 v46, v30, 16, 8
	v_cvt_f32_i32_e32 v29, v35
	v_cvt_f32_i32_e32 v34, v42
	;; [unrolled: 1-line block ×3, first 2 shown]
	v_bfe_i32 v42, v39, 16, 8
	v_cvt_f32_i32_e32 v38, v41
	v_dual_fmac_f32 v12, v49, v43 :: v_dual_fmac_f32 v13, v50, v43
	v_fmac_f32_e32 v16, v36, v43
	v_fmac_f32_e32 v17, v40, v43
	v_ashrrev_i32_e32 v39, 24, v39
	v_cvt_f32_i32_e32 v30, v37
	v_cvt_f32_i32_e32 v37, v45
	;; [unrolled: 1-line block ×4, first 2 shown]
	v_pk_fma_f32 v[12:13], v[28:29], v[38:39], v[12:13] op_sel_hi:[1,0,1]
	v_pk_fma_f32 v[16:17], v[34:35], v[38:39], v[16:17] op_sel_hi:[1,0,1]
	v_cvt_f32_i32_e32 v29, v47
	v_cvt_f32_i32_e32 v28, v48
	;; [unrolled: 1-line block ×3, first 2 shown]
	v_pk_fma_f32 v[12:13], v[30:31], v[40:41], v[12:13] op_sel_hi:[1,0,1]
	v_pk_fma_f32 v[16:17], v[36:37], v[40:41], v[16:17] op_sel_hi:[1,0,1]
	s_delay_alu instid0(VALU_DEP_2) | instskip(NEXT) | instid1(VALU_DEP_2)
	v_pk_fma_f32 v[12:13], v[32:33], v[34:35], v[12:13] op_sel_hi:[1,0,1]
	v_pk_fma_f32 v[16:17], v[28:29], v[34:35], v[16:17] op_sel_hi:[1,0,1]
	s_and_not1_b32 exec_lo, exec_lo, s7
	s_cbranch_execnz .LBB87_19
; %bb.20:
	s_or_b32 exec_lo, exec_lo, s7
.LBB87_21:
	s_delay_alu instid0(SALU_CYCLE_1) | instskip(NEXT) | instid1(SALU_CYCLE_1)
	s_or_b32 exec_lo, exec_lo, s6
	s_mov_b32 s6, exec_lo
	v_cmpx_lt_u64_e32 47, v[22:23]
	s_cbranch_execz .LBB87_25
; %bb.22:
	v_lshl_add_u64 v[22:23], v[18:19], 3, s[8:9]
	s_mov_b32 s7, 0
	s_delay_alu instid0(VALU_DEP_1)
	v_add_nc_u64_e32 v[22:23], 0x100, v[22:23]
.LBB87_23:                              ; =>This Inner Loop Header: Depth=1
	s_clause 0x3
	global_load_b64 v[36:37], v[22:23], off offset:-256
	global_load_b64 v[38:39], v[22:23], off offset:-128
	global_load_b64 v[40:41], v[22:23], off
	global_load_b64 v[42:43], v[22:23], off offset:128
	s_clause 0x2
	global_load_b128 v[24:27], v[20:21], off
	global_load_b128 v[28:31], v[20:21], off offset:256
	global_load_b128 v[32:35], v[20:21], off offset:512
	v_add_nc_u64_e32 v[18:19], 64, v[18:19]
	s_wait_xcnt 0x3
	v_add_nc_u64_e32 v[22:23], 0x200, v[22:23]
	s_delay_alu instid0(VALU_DEP_2)
	v_cmp_ge_i64_e32 vcc_lo, v[18:19], v[6:7]
	s_or_b32 s7, vcc_lo, s7
	s_wait_loadcnt 0x6
	v_sub_nc_u64_e32 v[36:37], v[36:37], v[4:5]
	s_wait_loadcnt 0x5
	v_sub_nc_u64_e32 v[38:39], v[38:39], v[4:5]
	;; [unrolled: 2-line block ×4, first 2 shown]
	s_wait_loadcnt 0x2
	v_dual_ashrrev_i32 v63, 24, v27 :: v_dual_ashrrev_i32 v64, 24, v26
	s_wait_loadcnt 0x1
	v_bfe_i32 v53, v28, 0, 8
	v_lshl_add_u64 v[44:45], v[36:37], 2, s[4:5]
	v_lshl_add_u64 v[46:47], v[38:39], 2, s[4:5]
	;; [unrolled: 1-line block ×4, first 2 shown]
	v_bfe_i32 v55, v28, 8, 8
	s_clause 0x2
	global_load_b32 v66, v[44:45], off
	global_load_b32 v67, v[46:47], off
	;; [unrolled: 1-line block ×3, first 2 shown]
	global_load_b128 v[36:39], v[20:21], off offset:768
	global_load_b32 v69, v[42:43], off
	s_wait_xcnt 0x2
	v_bfe_i32 v40, v24, 0, 8
	v_bfe_i32 v46, v27, 0, 8
	;; [unrolled: 1-line block ×4, first 2 shown]
	v_dual_ashrrev_i32 v58, 24, v29 :: v_dual_ashrrev_i32 v59, 24, v28
	v_bfe_i32 v28, v27, 16, 8
	s_wait_xcnt 0x0
	v_bfe_i32 v42, v25, 0, 8
	v_bfe_i32 v44, v26, 0, 8
	v_bfe_i32 v45, v26, 8, 8
	v_bfe_i32 v52, v29, 0, 8
	v_bfe_i32 v54, v29, 8, 8
	v_bfe_i32 v56, v29, 16, 8
	v_bfe_i32 v29, v26, 16, 8
	v_cvt_f32_i32_e32 v26, v40
	v_bfe_i32 v41, v24, 8, 8
	v_bfe_i32 v43, v25, 8, 8
	;; [unrolled: 1-line block ×4, first 2 shown]
	v_dual_ashrrev_i32 v50, 24, v25 :: v_dual_ashrrev_i32 v51, 24, v24
	v_cvt_f32_i32_e32 v24, v41
	v_cvt_f32_i32_e32 v25, v43
	s_wait_loadcnt 0x5
	v_bfe_i32 v70, v33, 16, 8
	v_bfe_i32 v71, v32, 16, 8
	v_dual_ashrrev_i32 v72, 24, v33 :: v_dual_ashrrev_i32 v79, 24, v31
	v_bfe_i32 v73, v31, 0, 8
	v_bfe_i32 v74, v30, 0, 8
	v_bfe_i32 v75, v31, 8, 8
	v_bfe_i32 v76, v30, 8, 8
	v_bfe_i32 v77, v31, 16, 8
	v_bfe_i32 v78, v30, 16, 8
	v_dual_ashrrev_i32 v80, 24, v30 :: v_dual_ashrrev_i32 v81, 24, v32
	v_cvt_f32_i32_e32 v31, v63
	v_cvt_f32_i32_e32 v30, v64
	v_bfe_i32 v60, v33, 0, 8
	v_bfe_i32 v61, v32, 0, 8
	;; [unrolled: 1-line block ×10, first 2 shown]
	v_dual_ashrrev_i32 v88, 24, v35 :: v_dual_ashrrev_i32 v89, 24, v34
	v_cvt_f32_i32_e32 v33, v52
	v_cvt_f32_i32_e32 v32, v53
	;; [unrolled: 1-line block ×13, first 2 shown]
	v_add_nc_u64_e32 v[20:21], 0x400, v[20:21]
	s_wait_loadcnt 0x4
	v_bfe_i32 v27, v66, 0, 8
	s_wait_loadcnt 0x1
	v_bfe_i32 v90, v36, 0, 8
	v_bfe_i32 v91, v37, 0, 8
	s_delay_alu instid0(VALU_DEP_3)
	v_cvt_f32_i32_e32 v27, v27
	v_bfe_i32 v92, v37, 8, 8
	v_bfe_i32 v93, v36, 8, 8
	;; [unrolled: 1-line block ×4, first 2 shown]
	v_fmac_f32_e32 v12, v26, v27
	v_cvt_f32_i32_e32 v26, v42
	v_bfe_i32 v98, v38, 0, 8
	v_bfe_i32 v99, v39, 0, 8
	;; [unrolled: 1-line block ×4, first 2 shown]
	v_fmac_f32_e32 v13, v26, v27
	v_cvt_f32_i32_e32 v26, v44
	v_ashrrev_i32_e32 v96, 24, v37
	v_bfe_i32 v102, v39, 16, 8
	v_bfe_i32 v103, v38, 16, 8
	v_dual_ashrrev_i32 v104, 24, v39 :: v_dual_ashrrev_i32 v105, 24, v38
	v_fmac_f32_e32 v16, v26, v27
	v_cvt_f32_i32_e32 v26, v46
	v_ashrrev_i32_e32 v97, 24, v36
	v_cvt_f32_i32_e32 v37, v54
	v_cvt_f32_i32_e32 v36, v55
	;; [unrolled: 1-line block ×3, first 2 shown]
	v_fmac_f32_e32 v17, v26, v27
	v_bfe_i32 v26, v66, 8, 8
	v_cvt_f32_i32_e32 v38, v76
	v_cvt_f32_i32_e32 v42, v59
	;; [unrolled: 1-line block ×9, first 2 shown]
	v_pk_fma_f32 v[12:13], v[24:25], v[26:27], v[12:13] op_sel_hi:[1,0,1]
	v_cvt_f32_i32_e32 v24, v45
	v_cvt_f32_i32_e32 v25, v47
	;; [unrolled: 1-line block ×6, first 2 shown]
	v_pk_fma_f32 v[16:17], v[24:25], v[26:27], v[16:17] op_sel_hi:[1,0,1]
	v_cvt_f32_i32_e32 v24, v49
	v_cvt_f32_i32_e32 v49, v70
	v_bfe_i32 v70, v66, 16, 8
	v_cvt_f32_i32_e32 v25, v48
	v_cvt_f32_i32_e32 v27, v28
	;; [unrolled: 1-line block ×4, first 2 shown]
	v_ashrrev_i32_e32 v71, 24, v66
	v_cvt_f32_i32_e32 v66, v70
	v_cvt_f32_i32_e32 v29, v50
	;; [unrolled: 1-line block ×3, first 2 shown]
	v_bfe_i32 v70, v67, 0, 8
	v_cvt_f32_i32_e32 v51, v72
	v_pk_fma_f32 v[12:13], v[24:25], v[66:67], v[12:13] op_sel_hi:[1,0,1]
	v_pk_fma_f32 v[16:17], v[26:27], v[66:67], v[16:17] op_sel_hi:[1,0,1]
	v_cvt_f32_i32_e32 v26, v71
	v_bfe_i32 v71, v67, 8, 8
	v_cvt_f32_i32_e32 v66, v70
	v_cvt_f32_i32_e32 v50, v81
	;; [unrolled: 1-line block ×3, first 2 shown]
	v_pk_fma_f32 v[12:13], v[28:29], v[26:27], v[12:13] op_sel_hi:[1,0,1]
	v_pk_fma_f32 v[16:17], v[30:31], v[26:27], v[16:17] op_sel_hi:[1,0,1]
	v_bfe_i32 v29, v67, 16, 8
	v_cvt_f32_i32_e32 v28, v71
	v_ashrrev_i32_e32 v31, 24, v67
	v_pk_fma_f32 v[12:13], v[32:33], v[66:67], v[12:13] op_sel_hi:[1,0,1]
	v_pk_fma_f32 v[16:17], v[34:35], v[66:67], v[16:17] op_sel_hi:[1,0,1]
	v_cvt_f32_i32_e32 v30, v29
	v_bfe_i32 v33, v68, 0, 8
	v_cvt_f32_i32_e32 v32, v31
	v_pk_fma_f32 v[12:13], v[36:37], v[28:29], v[12:13] op_sel_hi:[1,0,1]
	v_pk_fma_f32 v[16:17], v[38:39], v[28:29], v[16:17] op_sel_hi:[1,0,1]
	v_bfe_i32 v35, v68, 16, 8
	v_ashrrev_i32_e32 v36, 24, v68
	v_cvt_f32_i32_e32 v65, v91
	v_pk_fma_f32 v[12:13], v[40:41], v[30:31], v[12:13] op_sel_hi:[1,0,1]
	v_pk_fma_f32 v[16:17], v[52:53], v[30:31], v[16:17] op_sel_hi:[1,0,1]
	v_bfe_i32 v31, v68, 8, 8
	v_cvt_f32_i32_e32 v30, v33
	s_wait_loadcnt 0x0
	v_bfe_i32 v37, v69, 8, 8
	v_pk_fma_f32 v[12:13], v[42:43], v[32:33], v[12:13] op_sel_hi:[1,0,1]
	v_pk_fma_f32 v[16:17], v[54:55], v[32:33], v[16:17] op_sel_hi:[1,0,1]
	v_cvt_f32_i32_e32 v34, v31
	v_cvt_f32_i32_e32 v32, v98
	;; [unrolled: 1-line block ×3, first 2 shown]
	v_pk_fma_f32 v[12:13], v[44:45], v[30:31], v[12:13] op_sel_hi:[1,0,1]
	v_pk_fma_f32 v[16:17], v[56:57], v[30:31], v[16:17] op_sel_hi:[1,0,1]
	v_cvt_f32_i32_e32 v30, v35
	v_cvt_f32_i32_e32 v31, v100
	;; [unrolled: 1-line block ×3, first 2 shown]
	v_pk_fma_f32 v[12:13], v[46:47], v[34:35], v[12:13] op_sel_hi:[1,0,1]
	v_pk_fma_f32 v[16:17], v[58:59], v[34:35], v[16:17] op_sel_hi:[1,0,1]
	v_bfe_i32 v35, v69, 0, 8
	v_cvt_f32_i32_e32 v34, v36
	v_cvt_f32_i32_e32 v24, v93
	v_pk_fma_f32 v[12:13], v[48:49], v[30:31], v[12:13] op_sel_hi:[1,0,1]
	v_pk_fma_f32 v[16:17], v[60:61], v[30:31], v[16:17] op_sel_hi:[1,0,1]
	v_cvt_f32_i32_e32 v36, v35
	v_cvt_f32_i32_e32 v30, v101
	v_bfe_i32 v39, v69, 16, 8
	v_pk_fma_f32 v[12:13], v[50:51], v[34:35], v[12:13] op_sel_hi:[1,0,1]
	v_pk_fma_f32 v[16:17], v[62:63], v[34:35], v[16:17] op_sel_hi:[1,0,1]
	v_cvt_f32_i32_e32 v38, v37
	v_cvt_f32_i32_e32 v27, v94
	;; [unrolled: 1-line block ×3, first 2 shown]
	v_pk_fma_f32 v[12:13], v[64:65], v[36:37], v[12:13] op_sel_hi:[1,0,1]
	v_pk_fma_f32 v[16:17], v[32:33], v[36:37], v[16:17] op_sel_hi:[1,0,1]
	v_cvt_f32_i32_e32 v35, v102
	v_cvt_f32_i32_e32 v34, v103
	v_ashrrev_i32_e32 v33, 24, v69
	v_cvt_f32_i32_e32 v32, v39
	v_pk_fma_f32 v[12:13], v[24:25], v[38:39], v[12:13] op_sel_hi:[1,0,1]
	v_pk_fma_f32 v[16:17], v[30:31], v[38:39], v[16:17] op_sel_hi:[1,0,1]
	v_cvt_f32_i32_e32 v29, v96
	v_cvt_f32_i32_e32 v28, v97
	v_cvt_f32_i32_e32 v25, v104
	v_cvt_f32_i32_e32 v24, v105
	v_cvt_f32_i32_e32 v30, v33
	v_pk_fma_f32 v[12:13], v[26:27], v[32:33], v[12:13] op_sel_hi:[1,0,1]
	v_pk_fma_f32 v[16:17], v[34:35], v[32:33], v[16:17] op_sel_hi:[1,0,1]
	s_delay_alu instid0(VALU_DEP_2) | instskip(NEXT) | instid1(VALU_DEP_2)
	v_pk_fma_f32 v[12:13], v[28:29], v[30:31], v[12:13] op_sel_hi:[1,0,1]
	v_pk_fma_f32 v[16:17], v[24:25], v[30:31], v[16:17] op_sel_hi:[1,0,1]
	s_and_not1_b32 exec_lo, exec_lo, s7
	s_cbranch_execnz .LBB87_23
; %bb.24:
	s_or_b32 exec_lo, exec_lo, s7
.LBB87_25:
	s_delay_alu instid0(SALU_CYCLE_1)
	s_or_b32 exec_lo, exec_lo, s6
.LBB87_26:
	s_delay_alu instid0(SALU_CYCLE_1)
	s_or_b32 exec_lo, exec_lo, s3
	s_cbranch_execz .LBB87_28
	s_branch .LBB87_39
.LBB87_27:
                                        ; implicit-def: $vgpr17
                                        ; implicit-def: $vgpr13
.LBB87_28:
	v_dual_mov_b32 v17, 0 :: v_dual_mov_b32 v16, 0
	v_dual_mov_b32 v13, 0 :: v_dual_mov_b32 v12, 0
	s_and_saveexec_b32 s3, s2
	s_cbranch_execz .LBB87_38
; %bb.29:
	v_dual_mov_b32 v13, v1 :: v_dual_bitop2_b32 v12, 16, v0 bitop3:0x54
	v_sub_nc_u64_e32 v[16:17], v[4:5], v[0:1]
	s_delay_alu instid0(VALU_DEP_2) | instskip(NEXT) | instid1(VALU_DEP_1)
	v_sub_nc_u64_e32 v[12:13], v[12:13], v[4:5]
	v_add_nc_u64_e32 v[12:13], v[12:13], v[14:15]
	v_not_b32_e32 v15, v15
	v_not_b32_e32 v14, v14
	s_delay_alu instid0(VALU_DEP_1) | instskip(NEXT) | instid1(VALU_DEP_4)
	v_add_nc_u64_e32 v[14:15], v[16:17], v[14:15]
	v_max_i64 v[12:13], v[12:13], v[6:7]
	s_delay_alu instid0(VALU_DEP_1) | instskip(SKIP_2) | instid1(VALU_DEP_2)
	v_add_nc_u64_e32 v[14:15], v[14:15], v[12:13]
	v_mov_b32_e32 v16, 0
	v_mov_b64_e32 v[12:13], 0
	v_dual_mov_b32 v19, v16 :: v_dual_bitop2_b32 v18, 48, v14 bitop3:0x40
	s_delay_alu instid0(VALU_DEP_1)
	v_cmp_ne_u64_e32 vcc_lo, 48, v[18:19]
	v_mov_b64_e32 v[18:19], 0
	s_and_saveexec_b32 s2, vcc_lo
	s_cbranch_execz .LBB87_33
; %bb.30:
	v_dual_lshrrev_b32 v1, 4, v14 :: v_dual_mov_b32 v13, v16
	v_lshl_add_u64 v[18:19], v[8:9], 3, s[8:9]
	s_mov_b32 s6, 0
	s_delay_alu instid0(VALU_DEP_2) | instskip(NEXT) | instid1(VALU_DEP_1)
	v_dual_mov_b32 v17, v16 :: v_dual_add_nc_u32 v1, 1, v1
	v_and_b32_e32 v12, 3, v1
	s_delay_alu instid0(VALU_DEP_1)
	v_sub_nc_u64_e32 v[20:21], 0, v[12:13]
	v_mov_b32_e32 v12, v16
.LBB87_31:                              ; =>This Inner Loop Header: Depth=1
	global_load_b64 v[22:23], v[18:19], off
	v_add_nc_u64_e32 v[20:21], 1, v[20:21]
	v_add_nc_u64_e32 v[8:9], 16, v[8:9]
	s_wait_xcnt 0x0
	v_add_nc_u64_e32 v[18:19], 0x80, v[18:19]
	s_delay_alu instid0(VALU_DEP_3) | instskip(SKIP_3) | instid1(VALU_DEP_1)
	v_cmp_eq_u64_e32 vcc_lo, 0, v[20:21]
	s_or_b32 s6, vcc_lo, s6
	s_wait_loadcnt 0x0
	v_sub_nc_u64_e32 v[22:23], v[22:23], v[4:5]
	v_lshl_add_u64 v[26:27], v[22:23], 2, s[4:5]
	global_load_b128 v[22:25], v[10:11], off
	global_load_b32 v1, v[26:27], off
	s_wait_xcnt 0x1
	v_add_nc_u64_e32 v[10:11], 0x100, v[10:11]
	s_wait_loadcnt 0x1
	s_wait_xcnt 0x0
	v_bfe_i32 v26, v22, 8, 8
	v_bfe_i32 v31, v23, 0, 8
	;; [unrolled: 1-line block ×4, first 2 shown]
	v_dual_ashrrev_i32 v28, 24, v22 :: v_dual_ashrrev_i32 v32, 24, v23
	v_bfe_i32 v29, v22, 16, 8
	v_bfe_i32 v30, v23, 8, 8
	;; [unrolled: 1-line block ×5, first 2 shown]
	v_dual_ashrrev_i32 v38, 24, v24 :: v_dual_ashrrev_i32 v40, 24, v25
	v_cvt_f32_i32_e32 v23, v26
	v_cvt_f32_i32_e32 v26, v31
	;; [unrolled: 1-line block ×3, first 2 shown]
	s_wait_loadcnt 0x0
	v_bfe_i32 v34, v1, 0, 8
	v_bfe_i32 v37, v25, 0, 8
	;; [unrolled: 1-line block ×4, first 2 shown]
	v_cvt_f32_i32_e32 v22, v27
	v_cvt_f32_i32_e32 v25, v28
	;; [unrolled: 1-line block ×7, first 2 shown]
	v_bfe_i32 v36, v1, 8, 8
	v_cvt_f32_i32_e32 v34, v34
	v_cvt_f32_i32_e32 v35, v38
	;; [unrolled: 1-line block ×4, first 2 shown]
	v_bfe_i32 v37, v1, 16, 8
	v_cvt_f32_i32_e32 v36, v36
	v_pk_fma_f32 v[12:13], v[22:23], v[34:35], v[12:13] op_sel_hi:[1,0,1]
	v_pk_fma_f32 v[16:17], v[24:25], v[34:35], v[16:17] op_sel_hi:[1,0,1]
	v_cvt_f32_i32_e32 v34, v39
	v_ashrrev_i32_e32 v1, 24, v1
	v_cvt_f32_i32_e32 v22, v37
	v_pk_fma_f32 v[12:13], v[26:27], v[36:37], v[12:13] op_sel_hi:[1,0,1]
	v_pk_fma_f32 v[16:17], v[28:29], v[36:37], v[16:17] op_sel_hi:[1,0,1]
	v_cvt_f32_i32_e32 v25, v40
	v_cvt_f32_i32_e32 v24, v41
	;; [unrolled: 1-line block ×3, first 2 shown]
	v_pk_fma_f32 v[12:13], v[30:31], v[22:23], v[12:13] op_sel_hi:[1,0,1]
	v_pk_fma_f32 v[16:17], v[34:35], v[22:23], v[16:17] op_sel_hi:[1,0,1]
	s_delay_alu instid0(VALU_DEP_2) | instskip(NEXT) | instid1(VALU_DEP_2)
	v_pk_fma_f32 v[12:13], v[32:33], v[26:27], v[12:13] op_sel_hi:[1,0,1]
	v_pk_fma_f32 v[16:17], v[24:25], v[26:27], v[16:17] op_sel_hi:[1,0,1]
	s_and_not1_b32 exec_lo, exec_lo, s6
	s_cbranch_execnz .LBB87_31
; %bb.32:
	s_or_b32 exec_lo, exec_lo, s6
	s_delay_alu instid0(VALU_DEP_1)
	v_mov_b64_e32 v[18:19], v[16:17]
.LBB87_33:
	s_or_b32 exec_lo, exec_lo, s2
	s_delay_alu instid0(SALU_CYCLE_1)
	s_mov_b32 s2, exec_lo
	v_cmpx_lt_u64_e32 47, v[14:15]
	s_cbranch_execz .LBB87_37
; %bb.34:
	v_lshl_add_u64 v[14:15], v[8:9], 3, s[8:9]
	s_mov_b32 s6, 0
	s_delay_alu instid0(VALU_DEP_1)
	v_add_nc_u64_e32 v[14:15], 0x100, v[14:15]
.LBB87_35:                              ; =>This Inner Loop Header: Depth=1
	s_clause 0x3
	global_load_b64 v[16:17], v[14:15], off offset:-256
	global_load_b64 v[32:33], v[14:15], off offset:-128
	global_load_b64 v[34:35], v[14:15], off
	global_load_b64 v[36:37], v[14:15], off offset:128
	s_clause 0x2
	global_load_b128 v[20:23], v[10:11], off
	global_load_b128 v[24:27], v[10:11], off offset:256
	global_load_b128 v[28:31], v[10:11], off offset:512
	v_add_nc_u64_e32 v[8:9], 64, v[8:9]
	s_wait_xcnt 0x3
	v_add_nc_u64_e32 v[14:15], 0x200, v[14:15]
	s_delay_alu instid0(VALU_DEP_2)
	v_cmp_ge_i64_e32 vcc_lo, v[8:9], v[6:7]
	s_or_b32 s6, vcc_lo, s6
	s_wait_loadcnt 0x6
	v_sub_nc_u64_e32 v[16:17], v[16:17], v[4:5]
	s_wait_loadcnt 0x5
	v_sub_nc_u64_e32 v[32:33], v[32:33], v[4:5]
	s_wait_loadcnt 0x4
	v_sub_nc_u64_e32 v[34:35], v[34:35], v[4:5]
	s_wait_loadcnt 0x3
	v_sub_nc_u64_e32 v[36:37], v[36:37], v[4:5]
	s_wait_loadcnt 0x2
	v_bfe_i32 v42, v22, 8, 8
	v_bfe_i32 v43, v22, 0, 8
	;; [unrolled: 1-line block ×3, first 2 shown]
	v_lshl_add_u64 v[16:17], v[16:17], 2, s[4:5]
	v_lshl_add_u64 v[38:39], v[32:33], 2, s[4:5]
	;; [unrolled: 1-line block ×4, first 2 shown]
	s_wait_loadcnt 0x0
	v_bfe_i32 v60, v31, 8, 8
	s_clause 0x2
	global_load_b32 v1, v[16:17], off
	global_load_b32 v61, v[38:39], off
	;; [unrolled: 1-line block ×3, first 2 shown]
	global_load_b128 v[32:35], v[10:11], off offset:768
	global_load_b32 v63, v[36:37], off
	s_wait_xcnt 0x4
	v_bfe_i32 v16, v20, 8, 8
	s_wait_xcnt 0x0
	v_bfe_i32 v36, v20, 0, 8
	v_dual_ashrrev_i32 v37, 24, v20 :: v_dual_ashrrev_i32 v41, 24, v21
	v_bfe_i32 v38, v20, 16, 8
	v_bfe_i32 v39, v21, 8, 8
	;; [unrolled: 1-line block ×4, first 2 shown]
	v_cvt_f32_i32_e32 v17, v16
	v_cvt_f32_i32_e32 v16, v36
	v_dual_ashrrev_i32 v64, 24, v22 :: v_dual_ashrrev_i32 v65, 24, v23
	v_bfe_i32 v22, v22, 16, 8
	v_bfe_i32 v44, v23, 8, 8
	;; [unrolled: 1-line block ×7, first 2 shown]
	v_dual_ashrrev_i32 v67, 24, v24 :: v_dual_ashrrev_i32 v69, 24, v25
	v_bfe_i32 v68, v24, 16, 8
	v_bfe_i32 v70, v25, 16, 8
	v_cvt_f32_i32_e32 v23, v44
	v_cvt_f32_i32_e32 v25, v65
	;; [unrolled: 1-line block ×3, first 2 shown]
	v_bfe_i32 v50, v26, 8, 8
	v_bfe_i32 v51, v26, 0, 8
	;; [unrolled: 1-line block ×8, first 2 shown]
	v_dual_ashrrev_i32 v71, 24, v26 :: v_dual_ashrrev_i32 v73, 24, v27
	v_bfe_i32 v72, v26, 16, 8
	v_bfe_i32 v74, v27, 16, 8
	v_dual_ashrrev_i32 v76, 24, v28 :: v_dual_ashrrev_i32 v78, 24, v29
	v_bfe_i32 v77, v28, 16, 8
	v_bfe_i32 v79, v29, 16, 8
	v_cvt_f32_i32_e32 v27, v46
	v_cvt_f32_i32_e32 v26, v47
	;; [unrolled: 1-line block ×4, first 2 shown]
	v_bfe_i32 v58, v30, 8, 8
	v_bfe_i32 v59, v30, 0, 8
	;; [unrolled: 1-line block ×3, first 2 shown]
	v_dual_ashrrev_i32 v80, 24, v30 :: v_dual_ashrrev_i32 v82, 24, v31
	v_bfe_i32 v81, v30, 16, 8
	v_bfe_i32 v83, v31, 16, 8
	v_cvt_f32_i32_e32 v31, v48
	v_cvt_f32_i32_e32 v30, v49
	v_cvt_f32_i32_e32 v47, v71
	v_cvt_f32_i32_e32 v46, v72
	v_cvt_f32_i32_e32 v36, v53
	v_cvt_f32_i32_e32 v49, v73
	v_cvt_f32_i32_e32 v48, v74
	v_cvt_f32_i32_e32 v53, v78
	v_cvt_f32_i32_e32 v44, v75
	v_add_nc_u64_e32 v[10:11], 0x400, v[10:11]
	s_wait_loadcnt 0x4
	v_bfe_i32 v20, v1, 0, 8
	s_wait_loadcnt 0x1
	v_bfe_i32 v84, v32, 8, 8
	v_bfe_i32 v85, v32, 0, 8
	s_delay_alu instid0(VALU_DEP_3) | instskip(SKIP_3) | instid1(VALU_DEP_4)
	v_cvt_f32_i32_e32 v20, v20
	v_dual_ashrrev_i32 v86, 24, v32 :: v_dual_ashrrev_i32 v94, 24, v33
	v_bfe_i32 v87, v32, 16, 8
	v_bfe_i32 v88, v33, 8, 8
	v_pk_fma_f32 v[12:13], v[16:17], v[20:21], v[12:13] op_sel_hi:[1,0,1]
	v_cvt_f32_i32_e32 v17, v37
	v_cvt_f32_i32_e32 v16, v38
	v_bfe_i32 v89, v33, 0, 8
	v_bfe_i32 v95, v33, 16, 8
	v_cvt_f32_i32_e32 v33, v69
	v_cvt_f32_i32_e32 v32, v70
	v_pk_fma_f32 v[16:17], v[16:17], v[20:21], v[18:19] op_sel_hi:[1,0,1]
	v_bfe_i32 v20, v1, 8, 8
	v_cvt_f32_i32_e32 v19, v39
	v_cvt_f32_i32_e32 v18, v40
	v_bfe_i32 v90, v34, 8, 8
	v_bfe_i32 v91, v34, 0, 8
	v_cvt_f32_i32_e32 v20, v20
	v_bfe_i32 v92, v35, 8, 8
	v_bfe_i32 v93, v35, 0, 8
	v_dual_ashrrev_i32 v96, 24, v34 :: v_dual_ashrrev_i32 v98, 24, v35
	s_delay_alu instid0(VALU_DEP_4)
	v_pk_fma_f32 v[12:13], v[18:19], v[20:21], v[12:13] op_sel_hi:[1,0,1]
	v_cvt_f32_i32_e32 v19, v41
	v_cvt_f32_i32_e32 v18, v21
	v_bfe_i32 v97, v34, 16, 8
	v_bfe_i32 v99, v35, 16, 8
	v_cvt_f32_i32_e32 v35, v50
	v_cvt_f32_i32_e32 v34, v51
	v_pk_fma_f32 v[16:17], v[18:19], v[20:21], v[16:17] op_sel_hi:[1,0,1]
	v_cvt_f32_i32_e32 v20, v22
	v_cvt_f32_i32_e32 v22, v45
	;; [unrolled: 1-line block ×3, first 2 shown]
	v_bfe_i32 v60, v1, 16, 8
	v_cvt_f32_i32_e32 v19, v42
	v_cvt_f32_i32_e32 v18, v43
	;; [unrolled: 1-line block ×3, first 2 shown]
	v_ashrrev_i32_e32 v1, 24, v1
	v_cvt_f32_i32_e32 v60, v60
	v_bfe_i32 v64, v61, 0, 8
	v_cvt_f32_i32_e32 v37, v52
	v_cvt_f32_i32_e32 v39, v54
	;; [unrolled: 1-line block ×3, first 2 shown]
	v_pk_fma_f32 v[12:13], v[18:19], v[60:61], v[12:13] op_sel_hi:[1,0,1]
	v_pk_fma_f32 v[16:17], v[20:21], v[60:61], v[16:17] op_sel_hi:[1,0,1]
	v_cvt_f32_i32_e32 v20, v1
	v_bfe_i32 v1, v61, 8, 8
	v_cvt_f32_i32_e32 v60, v64
	v_cvt_f32_i32_e32 v51, v76
	;; [unrolled: 1-line block ×3, first 2 shown]
	v_pk_fma_f32 v[12:13], v[22:23], v[20:21], v[12:13] op_sel_hi:[1,0,1]
	v_pk_fma_f32 v[16:17], v[24:25], v[20:21], v[16:17] op_sel_hi:[1,0,1]
	v_bfe_i32 v23, v61, 16, 8
	v_cvt_f32_i32_e32 v22, v1
	v_ashrrev_i32_e32 v1, 24, v61
	v_pk_fma_f32 v[12:13], v[26:27], v[60:61], v[12:13] op_sel_hi:[1,0,1]
	v_pk_fma_f32 v[16:17], v[28:29], v[60:61], v[16:17] op_sel_hi:[1,0,1]
	v_cvt_f32_i32_e32 v24, v23
	v_bfe_i32 v25, v62, 0, 8
	v_cvt_f32_i32_e32 v26, v1
	v_pk_fma_f32 v[12:13], v[30:31], v[22:23], v[12:13] op_sel_hi:[1,0,1]
	v_pk_fma_f32 v[16:17], v[32:33], v[22:23], v[16:17] op_sel_hi:[1,0,1]
	v_bfe_i32 v1, v62, 8, 8
	v_cvt_f32_i32_e32 v41, v56
	v_cvt_f32_i32_e32 v40, v57
	v_pk_fma_f32 v[12:13], v[34:35], v[24:25], v[12:13] op_sel_hi:[1,0,1]
	v_pk_fma_f32 v[16:17], v[46:47], v[24:25], v[16:17] op_sel_hi:[1,0,1]
	v_cvt_f32_i32_e32 v24, v25
	v_cvt_f32_i32_e32 v25, v92
	;; [unrolled: 1-line block ×3, first 2 shown]
	v_pk_fma_f32 v[12:13], v[36:37], v[26:27], v[12:13] op_sel_hi:[1,0,1]
	v_pk_fma_f32 v[16:17], v[48:49], v[26:27], v[16:17] op_sel_hi:[1,0,1]
	v_bfe_i32 v27, v62, 16, 8
	v_cvt_f32_i32_e32 v26, v1
	v_cvt_f32_i32_e32 v43, v58
	v_pk_fma_f32 v[12:13], v[38:39], v[24:25], v[12:13] op_sel_hi:[1,0,1]
	v_pk_fma_f32 v[16:17], v[50:51], v[24:25], v[16:17] op_sel_hi:[1,0,1]
	v_cvt_f32_i32_e32 v42, v59
	v_cvt_f32_i32_e32 v55, v80
	;; [unrolled: 1-line block ×3, first 2 shown]
	v_ashrrev_i32_e32 v1, 24, v62
	v_cvt_f32_i32_e32 v28, v27
	v_pk_fma_f32 v[12:13], v[40:41], v[26:27], v[12:13] op_sel_hi:[1,0,1]
	v_pk_fma_f32 v[16:17], v[52:53], v[26:27], v[16:17] op_sel_hi:[1,0,1]
	s_wait_loadcnt 0x0
	v_bfe_i32 v29, v63, 0, 8
	v_cvt_f32_i32_e32 v57, v82
	v_cvt_f32_i32_e32 v56, v83
	;; [unrolled: 1-line block ×4, first 2 shown]
	v_pk_fma_f32 v[12:13], v[42:43], v[28:29], v[12:13] op_sel_hi:[1,0,1]
	v_pk_fma_f32 v[16:17], v[54:55], v[28:29], v[16:17] op_sel_hi:[1,0,1]
	v_cvt_f32_i32_e32 v58, v85
	v_cvt_f32_i32_e32 v19, v86
	;; [unrolled: 1-line block ×3, first 2 shown]
	v_bfe_i32 v1, v63, 8, 8
	v_cvt_f32_i32_e32 v28, v29
	v_pk_fma_f32 v[12:13], v[44:45], v[30:31], v[12:13] op_sel_hi:[1,0,1]
	v_pk_fma_f32 v[16:17], v[56:57], v[30:31], v[16:17] op_sel_hi:[1,0,1]
	v_cvt_f32_i32_e32 v29, v96
	v_cvt_f32_i32_e32 v21, v88
	;; [unrolled: 1-line block ×5, first 2 shown]
	v_bfe_i32 v31, v63, 16, 8
	v_cvt_f32_i32_e32 v30, v1
	v_pk_fma_f32 v[12:13], v[58:59], v[28:29], v[12:13] op_sel_hi:[1,0,1]
	v_pk_fma_f32 v[16:17], v[18:19], v[28:29], v[16:17] op_sel_hi:[1,0,1]
	v_cvt_f32_i32_e32 v23, v90
	v_cvt_f32_i32_e32 v22, v91
	;; [unrolled: 1-line block ×3, first 2 shown]
	v_ashrrev_i32_e32 v1, 24, v63
	v_cvt_f32_i32_e32 v18, v31
	v_pk_fma_f32 v[12:13], v[20:21], v[30:31], v[12:13] op_sel_hi:[1,0,1]
	v_pk_fma_f32 v[16:17], v[26:27], v[30:31], v[16:17] op_sel_hi:[1,0,1]
	v_cvt_f32_i32_e32 v24, v93
	v_cvt_f32_i32_e32 v21, v98
	;; [unrolled: 1-line block ×4, first 2 shown]
	v_pk_fma_f32 v[12:13], v[22:23], v[18:19], v[12:13] op_sel_hi:[1,0,1]
	v_pk_fma_f32 v[16:17], v[28:29], v[18:19], v[16:17] op_sel_hi:[1,0,1]
	s_delay_alu instid0(VALU_DEP_2) | instskip(NEXT) | instid1(VALU_DEP_2)
	v_pk_fma_f32 v[12:13], v[24:25], v[26:27], v[12:13] op_sel_hi:[1,0,1]
	v_pk_fma_f32 v[18:19], v[20:21], v[26:27], v[16:17] op_sel_hi:[1,0,1]
	s_and_not1_b32 exec_lo, exec_lo, s6
	s_cbranch_execnz .LBB87_35
; %bb.36:
	s_or_b32 exec_lo, exec_lo, s6
	s_delay_alu instid0(VALU_DEP_1)
	v_dual_mov_b32 v17, v19 :: v_dual_mov_b32 v16, v18
.LBB87_37:
	s_or_b32 exec_lo, exec_lo, s2
.LBB87_38:
	s_delay_alu instid0(SALU_CYCLE_1)
	s_or_b32 exec_lo, exec_lo, s3
.LBB87_39:
	v_mbcnt_lo_u32_b32 v1, -1, 0
	s_mov_b32 s2, -1
	s_delay_alu instid0(VALU_DEP_1) | instskip(SKIP_1) | instid1(VALU_DEP_1)
	v_xor_b32_e32 v8, 4, v1
	v_xor_b32_e32 v4, 8, v1
	v_cmp_gt_i32_e32 vcc_lo, 32, v4
	v_cndmask_b32_e32 v4, v1, v4, vcc_lo
	s_delay_alu instid0(VALU_DEP_4) | instskip(NEXT) | instid1(VALU_DEP_2)
	v_cmp_gt_i32_e32 vcc_lo, 32, v8
	v_lshlrev_b32_e32 v7, 2, v4
	v_cndmask_b32_e32 v8, v1, v8, vcc_lo
	ds_bpermute_b32 v4, v7, v12
	ds_bpermute_b32 v5, v7, v13
	;; [unrolled: 1-line block ×4, first 2 shown]
	v_lshlrev_b32_e32 v11, 2, v8
	s_wait_dscnt 0x2
	v_pk_add_f32 v[4:5], v[12:13], v[4:5]
	v_xor_b32_e32 v12, 2, v1
	s_wait_dscnt 0x0
	v_pk_add_f32 v[6:7], v[16:17], v[6:7]
	ds_bpermute_b32 v8, v11, v4
	ds_bpermute_b32 v9, v11, v5
	;; [unrolled: 1-line block ×4, first 2 shown]
	v_cmp_gt_i32_e32 vcc_lo, 32, v12
	v_cndmask_b32_e32 v12, v1, v12, vcc_lo
	s_delay_alu instid0(VALU_DEP_1)
	v_lshlrev_b32_e32 v12, 2, v12
	s_wait_dscnt 0x2
	v_pk_add_f32 v[4:5], v[4:5], v[8:9]
	s_wait_dscnt 0x0
	v_pk_add_f32 v[6:7], v[6:7], v[10:11]
	ds_bpermute_b32 v8, v12, v4
	ds_bpermute_b32 v9, v12, v5
	;; [unrolled: 1-line block ×4, first 2 shown]
	v_xor_b32_e32 v12, 1, v1
	s_delay_alu instid0(VALU_DEP_1) | instskip(SKIP_2) | instid1(VALU_DEP_2)
	v_cmp_gt_i32_e32 vcc_lo, 32, v12
	v_cndmask_b32_e32 v1, v1, v12, vcc_lo
	v_cmp_eq_u32_e32 vcc_lo, 15, v0
	v_lshlrev_b32_e32 v1, 2, v1
	s_wait_dscnt 0x2
	v_pk_add_f32 v[4:5], v[4:5], v[8:9]
	s_wait_dscnt 0x0
	v_pk_add_f32 v[8:9], v[6:7], v[10:11]
	ds_bpermute_b32 v6, v1, v4
	ds_bpermute_b32 v7, v1, v5
	;; [unrolled: 1-line block ×4, first 2 shown]
	s_and_b32 exec_lo, exec_lo, vcc_lo
	s_cbranch_execz .LBB87_10
; %bb.40:
	s_load_b64 s[0:1], s[0:1], 0x58
	s_wait_dscnt 0x2
	v_pk_add_f32 v[6:7], v[4:5], v[6:7]
	s_wait_dscnt 0x0
	v_pk_add_f32 v[4:5], v[8:9], v[10:11]
	s_cmp_eq_f32 s16, 0
	s_wait_kmcnt 0x0
	v_lshl_add_u64 v[0:1], v[2:3], 4, s[0:1]
	s_cbranch_scc0 .LBB87_42
; %bb.41:
	v_pk_mul_f32 v[8:9], s[12:13], v[6:7] op_sel_hi:[0,1]
	v_pk_mul_f32 v[10:11], s[12:13], v[4:5] op_sel_hi:[0,1]
	s_mov_b32 s2, 0
	global_store_b128 v[0:1], v[8:11], off
.LBB87_42:
	s_and_not1_b32 vcc_lo, exec_lo, s2
	s_cbranch_vccnz .LBB87_10
; %bb.43:
	global_load_b128 v[8:11], v[0:1], off
	v_pk_mul_f32 v[2:3], s[12:13], v[6:7] op_sel_hi:[0,1]
	v_pk_mul_f32 v[4:5], s[12:13], v[4:5] op_sel_hi:[0,1]
	s_wait_loadcnt 0x0
	s_delay_alu instid0(VALU_DEP_2) | instskip(NEXT) | instid1(VALU_DEP_2)
	v_pk_fma_f32 v[2:3], s[16:17], v[8:9], v[2:3] op_sel_hi:[0,1,1]
	v_pk_fma_f32 v[4:5], s[16:17], v[10:11], v[4:5] op_sel_hi:[0,1,1]
	global_store_b128 v[0:1], v[2:5], off
	s_sendmsg sendmsg(MSG_DEALLOC_VGPRS)
	s_endpgm
	.section	.rodata,"a",@progbits
	.p2align	6, 0x0
	.amdhsa_kernel _ZN9rocsparseL18bsrxmvn_4x4_kernelILj128ELj16EfllaafEEvT3_20rocsparse_direction_NS_24const_host_device_scalarIT1_EES1_PKS1_PKT2_SA_S7_PKT4_PKT5_S5_PT6_21rocsparse_index_base_b
		.amdhsa_group_segment_fixed_size 0
		.amdhsa_private_segment_fixed_size 0
		.amdhsa_kernarg_size 104
		.amdhsa_user_sgpr_count 2
		.amdhsa_user_sgpr_dispatch_ptr 0
		.amdhsa_user_sgpr_queue_ptr 0
		.amdhsa_user_sgpr_kernarg_segment_ptr 1
		.amdhsa_user_sgpr_dispatch_id 0
		.amdhsa_user_sgpr_kernarg_preload_length 0
		.amdhsa_user_sgpr_kernarg_preload_offset 0
		.amdhsa_user_sgpr_private_segment_size 0
		.amdhsa_wavefront_size32 1
		.amdhsa_uses_dynamic_stack 0
		.amdhsa_enable_private_segment 0
		.amdhsa_system_sgpr_workgroup_id_x 1
		.amdhsa_system_sgpr_workgroup_id_y 0
		.amdhsa_system_sgpr_workgroup_id_z 0
		.amdhsa_system_sgpr_workgroup_info 0
		.amdhsa_system_vgpr_workitem_id 0
		.amdhsa_next_free_vgpr 106
		.amdhsa_next_free_sgpr 18
		.amdhsa_named_barrier_count 0
		.amdhsa_reserve_vcc 1
		.amdhsa_float_round_mode_32 0
		.amdhsa_float_round_mode_16_64 0
		.amdhsa_float_denorm_mode_32 3
		.amdhsa_float_denorm_mode_16_64 3
		.amdhsa_fp16_overflow 0
		.amdhsa_memory_ordered 1
		.amdhsa_forward_progress 1
		.amdhsa_inst_pref_size 42
		.amdhsa_round_robin_scheduling 0
		.amdhsa_exception_fp_ieee_invalid_op 0
		.amdhsa_exception_fp_denorm_src 0
		.amdhsa_exception_fp_ieee_div_zero 0
		.amdhsa_exception_fp_ieee_overflow 0
		.amdhsa_exception_fp_ieee_underflow 0
		.amdhsa_exception_fp_ieee_inexact 0
		.amdhsa_exception_int_div_zero 0
	.end_amdhsa_kernel
	.section	.text._ZN9rocsparseL18bsrxmvn_4x4_kernelILj128ELj16EfllaafEEvT3_20rocsparse_direction_NS_24const_host_device_scalarIT1_EES1_PKS1_PKT2_SA_S7_PKT4_PKT5_S5_PT6_21rocsparse_index_base_b,"axG",@progbits,_ZN9rocsparseL18bsrxmvn_4x4_kernelILj128ELj16EfllaafEEvT3_20rocsparse_direction_NS_24const_host_device_scalarIT1_EES1_PKS1_PKT2_SA_S7_PKT4_PKT5_S5_PT6_21rocsparse_index_base_b,comdat
.Lfunc_end87:
	.size	_ZN9rocsparseL18bsrxmvn_4x4_kernelILj128ELj16EfllaafEEvT3_20rocsparse_direction_NS_24const_host_device_scalarIT1_EES1_PKS1_PKT2_SA_S7_PKT4_PKT5_S5_PT6_21rocsparse_index_base_b, .Lfunc_end87-_ZN9rocsparseL18bsrxmvn_4x4_kernelILj128ELj16EfllaafEEvT3_20rocsparse_direction_NS_24const_host_device_scalarIT1_EES1_PKS1_PKT2_SA_S7_PKT4_PKT5_S5_PT6_21rocsparse_index_base_b
                                        ; -- End function
	.set _ZN9rocsparseL18bsrxmvn_4x4_kernelILj128ELj16EfllaafEEvT3_20rocsparse_direction_NS_24const_host_device_scalarIT1_EES1_PKS1_PKT2_SA_S7_PKT4_PKT5_S5_PT6_21rocsparse_index_base_b.num_vgpr, 106
	.set _ZN9rocsparseL18bsrxmvn_4x4_kernelILj128ELj16EfllaafEEvT3_20rocsparse_direction_NS_24const_host_device_scalarIT1_EES1_PKS1_PKT2_SA_S7_PKT4_PKT5_S5_PT6_21rocsparse_index_base_b.num_agpr, 0
	.set _ZN9rocsparseL18bsrxmvn_4x4_kernelILj128ELj16EfllaafEEvT3_20rocsparse_direction_NS_24const_host_device_scalarIT1_EES1_PKS1_PKT2_SA_S7_PKT4_PKT5_S5_PT6_21rocsparse_index_base_b.numbered_sgpr, 18
	.set _ZN9rocsparseL18bsrxmvn_4x4_kernelILj128ELj16EfllaafEEvT3_20rocsparse_direction_NS_24const_host_device_scalarIT1_EES1_PKS1_PKT2_SA_S7_PKT4_PKT5_S5_PT6_21rocsparse_index_base_b.num_named_barrier, 0
	.set _ZN9rocsparseL18bsrxmvn_4x4_kernelILj128ELj16EfllaafEEvT3_20rocsparse_direction_NS_24const_host_device_scalarIT1_EES1_PKS1_PKT2_SA_S7_PKT4_PKT5_S5_PT6_21rocsparse_index_base_b.private_seg_size, 0
	.set _ZN9rocsparseL18bsrxmvn_4x4_kernelILj128ELj16EfllaafEEvT3_20rocsparse_direction_NS_24const_host_device_scalarIT1_EES1_PKS1_PKT2_SA_S7_PKT4_PKT5_S5_PT6_21rocsparse_index_base_b.uses_vcc, 1
	.set _ZN9rocsparseL18bsrxmvn_4x4_kernelILj128ELj16EfllaafEEvT3_20rocsparse_direction_NS_24const_host_device_scalarIT1_EES1_PKS1_PKT2_SA_S7_PKT4_PKT5_S5_PT6_21rocsparse_index_base_b.uses_flat_scratch, 0
	.set _ZN9rocsparseL18bsrxmvn_4x4_kernelILj128ELj16EfllaafEEvT3_20rocsparse_direction_NS_24const_host_device_scalarIT1_EES1_PKS1_PKT2_SA_S7_PKT4_PKT5_S5_PT6_21rocsparse_index_base_b.has_dyn_sized_stack, 0
	.set _ZN9rocsparseL18bsrxmvn_4x4_kernelILj128ELj16EfllaafEEvT3_20rocsparse_direction_NS_24const_host_device_scalarIT1_EES1_PKS1_PKT2_SA_S7_PKT4_PKT5_S5_PT6_21rocsparse_index_base_b.has_recursion, 0
	.set _ZN9rocsparseL18bsrxmvn_4x4_kernelILj128ELj16EfllaafEEvT3_20rocsparse_direction_NS_24const_host_device_scalarIT1_EES1_PKS1_PKT2_SA_S7_PKT4_PKT5_S5_PT6_21rocsparse_index_base_b.has_indirect_call, 0
	.section	.AMDGPU.csdata,"",@progbits
; Kernel info:
; codeLenInByte = 5284
; TotalNumSgprs: 20
; NumVgprs: 106
; ScratchSize: 0
; MemoryBound: 0
; FloatMode: 240
; IeeeMode: 1
; LDSByteSize: 0 bytes/workgroup (compile time only)
; SGPRBlocks: 0
; VGPRBlocks: 6
; NumSGPRsForWavesPerEU: 20
; NumVGPRsForWavesPerEU: 106
; NamedBarCnt: 0
; Occupancy: 9
; WaveLimiterHint : 1
; COMPUTE_PGM_RSRC2:SCRATCH_EN: 0
; COMPUTE_PGM_RSRC2:USER_SGPR: 2
; COMPUTE_PGM_RSRC2:TRAP_HANDLER: 0
; COMPUTE_PGM_RSRC2:TGID_X_EN: 1
; COMPUTE_PGM_RSRC2:TGID_Y_EN: 0
; COMPUTE_PGM_RSRC2:TGID_Z_EN: 0
; COMPUTE_PGM_RSRC2:TIDIG_COMP_CNT: 0
	.section	.text._ZN9rocsparseL18bsrxmvn_4x4_kernelILj128ELj32EfllaafEEvT3_20rocsparse_direction_NS_24const_host_device_scalarIT1_EES1_PKS1_PKT2_SA_S7_PKT4_PKT5_S5_PT6_21rocsparse_index_base_b,"axG",@progbits,_ZN9rocsparseL18bsrxmvn_4x4_kernelILj128ELj32EfllaafEEvT3_20rocsparse_direction_NS_24const_host_device_scalarIT1_EES1_PKS1_PKT2_SA_S7_PKT4_PKT5_S5_PT6_21rocsparse_index_base_b,comdat
	.globl	_ZN9rocsparseL18bsrxmvn_4x4_kernelILj128ELj32EfllaafEEvT3_20rocsparse_direction_NS_24const_host_device_scalarIT1_EES1_PKS1_PKT2_SA_S7_PKT4_PKT5_S5_PT6_21rocsparse_index_base_b ; -- Begin function _ZN9rocsparseL18bsrxmvn_4x4_kernelILj128ELj32EfllaafEEvT3_20rocsparse_direction_NS_24const_host_device_scalarIT1_EES1_PKS1_PKT2_SA_S7_PKT4_PKT5_S5_PT6_21rocsparse_index_base_b
	.p2align	8
	.type	_ZN9rocsparseL18bsrxmvn_4x4_kernelILj128ELj32EfllaafEEvT3_20rocsparse_direction_NS_24const_host_device_scalarIT1_EES1_PKS1_PKT2_SA_S7_PKT4_PKT5_S5_PT6_21rocsparse_index_base_b,@function
_ZN9rocsparseL18bsrxmvn_4x4_kernelILj128ELj32EfllaafEEvT3_20rocsparse_direction_NS_24const_host_device_scalarIT1_EES1_PKS1_PKT2_SA_S7_PKT4_PKT5_S5_PT6_21rocsparse_index_base_b: ; @_ZN9rocsparseL18bsrxmvn_4x4_kernelILj128ELj32EfllaafEEvT3_20rocsparse_direction_NS_24const_host_device_scalarIT1_EES1_PKS1_PKT2_SA_S7_PKT4_PKT5_S5_PT6_21rocsparse_index_base_b
; %bb.0:
	s_clause 0x2
	s_load_b64 s[2:3], s[0:1], 0x60
	s_load_b128 s[12:15], s[0:1], 0x10
	s_load_b64 s[16:17], s[0:1], 0x50
	s_wait_kmcnt 0x0
	s_bitcmp1_b32 s3, 0
	s_cselect_b32 s3, -1, 0
	s_delay_alu instid0(SALU_CYCLE_1)
	s_and_b32 vcc_lo, exec_lo, s3
	s_xor_b32 s3, s3, -1
	s_cbranch_vccnz .LBB88_2
; %bb.1:
	s_load_b32 s12, s[12:13], 0x0
.LBB88_2:
	s_and_not1_b32 vcc_lo, exec_lo, s3
	s_cbranch_vccnz .LBB88_4
; %bb.3:
	s_load_b32 s16, s[16:17], 0x0
.LBB88_4:
	s_wait_kmcnt 0x0
	s_cmp_neq_f32 s12, 0
	s_mov_b32 s6, 0
	s_cselect_b32 s3, -1, 0
	s_cmp_neq_f32 s16, 1.0
	s_cselect_b32 s4, -1, 0
	s_delay_alu instid0(SALU_CYCLE_1) | instskip(NEXT) | instid1(SALU_CYCLE_1)
	s_or_b32 s3, s3, s4
	s_and_not1_b32 vcc_lo, exec_lo, s3
	s_cbranch_vccnz .LBB88_10
; %bb.5:
	s_load_b64 s[4:5], s[0:1], 0x20
	s_bfe_u32 s3, ttmp6, 0x4000c
	s_and_b32 s7, ttmp6, 15
	s_add_co_i32 s3, s3, 1
	s_getreg_b32 s8, hwreg(HW_REG_IB_STS2, 6, 4)
	s_mul_i32 s3, ttmp9, s3
	v_dual_lshrrev_b32 v1, 5, v0 :: v_dual_mov_b32 v7, 0
	s_add_co_i32 s7, s7, s3
	s_cmp_eq_u32 s8, 0
	s_cselect_b32 s3, ttmp9, s7
	s_delay_alu instid0(VALU_DEP_1) | instid1(SALU_CYCLE_1)
	v_lshl_or_b32 v6, s3, 2, v1
	s_wait_kmcnt 0x0
	s_cmp_lg_u64 s[4:5], 0
	s_cbranch_scc0 .LBB88_11
; %bb.6:
	s_mov_b32 s7, 0
                                        ; implicit-def: $vgpr2_vgpr3
                                        ; implicit-def: $vgpr4_vgpr5
	s_mov_b32 s3, exec_lo
	v_cmpx_gt_i64_e64 s[14:15], v[6:7]
	s_xor_b32 s8, exec_lo, s3
	s_cbranch_execz .LBB88_8
; %bb.7:
	v_lshl_add_u64 v[2:3], v[6:7], 3, s[4:5]
	s_mov_b32 s3, 0
	s_mov_b32 s6, exec_lo
	v_mov_b64_e32 v[4:5], s[2:3]
	global_load_b64 v[2:3], v[2:3], off
	s_wait_loadcnt 0x0
	v_sub_nc_u64_e64 v[2:3], v[2:3], s[2:3]
.LBB88_8:
	s_or_b32 exec_lo, exec_lo, s8
	s_delay_alu instid0(SALU_CYCLE_1)
	s_and_b32 vcc_lo, exec_lo, s7
	s_cbranch_vccnz .LBB88_12
.LBB88_9:
	s_and_saveexec_b32 s2, s6
	s_cbranch_execnz .LBB88_15
.LBB88_10:
	s_sendmsg sendmsg(MSG_DEALLOC_VGPRS)
	s_endpgm
.LBB88_11:
                                        ; implicit-def: $vgpr2_vgpr3
                                        ; implicit-def: $vgpr4_vgpr5
	s_cbranch_execz .LBB88_9
.LBB88_12:
	s_load_b64 s[4:5], s[0:1], 0x0
	s_wait_kmcnt 0x0
	v_cmp_gt_i64_e32 vcc_lo, s[4:5], v[6:7]
	s_and_saveexec_b32 s4, vcc_lo
; %bb.13:
	s_mov_b32 s3, 0
	s_or_b32 s6, s6, exec_lo
; %bb.14:
	s_or_b32 exec_lo, exec_lo, s4
	v_mov_b64_e32 v[4:5], s[2:3]
	v_mov_b64_e32 v[2:3], v[6:7]
	s_and_saveexec_b32 s2, s6
	s_cbranch_execz .LBB88_10
.LBB88_15:
	s_load_b256 s[4:11], s[0:1], 0x28
	s_delay_alu instid0(VALU_DEP_1) | instskip(SKIP_2) | instid1(VALU_DEP_2)
	v_lshlrev_b64_e32 v[6:7], 3, v[2:3]
	v_dual_mov_b32 v1, 0 :: v_dual_bitop2_b32 v0, 31, v0 bitop3:0x40
	s_wait_kmcnt 0x0
	v_add_nc_u64_e32 v[8:9], s[4:5], v[6:7]
	v_add_nc_u64_e32 v[6:7], s[6:7], v[6:7]
	s_cmp_eq_u64 s[6:7], 0
	s_cselect_b32 vcc_lo, -1, 0
	s_delay_alu instid0(VALU_DEP_2)
	v_add_nc_u64_e32 v[10:11], 8, v[8:9]
	global_load_b64 v[16:17], v[8:9], off
	v_dual_cndmask_b32 v7, v7, v11 :: v_dual_cndmask_b32 v6, v6, v10
	global_load_b64 v[6:7], v[6:7], off
	s_clause 0x1
	s_load_b32 s3, s[0:1], 0x8
	s_load_b64 s[4:5], s[0:1], 0x48
	s_wait_kmcnt 0x0
	s_cmp_eq_u32 s3, 1
	s_wait_loadcnt 0x1
	v_sub_nc_u64_e32 v[8:9], v[16:17], v[4:5]
	s_delay_alu instid0(VALU_DEP_1) | instskip(SKIP_2) | instid1(VALU_DEP_2)
	v_add_nc_u64_e32 v[8:9], v[8:9], v[0:1]
	s_wait_loadcnt 0x0
	v_sub_nc_u64_e32 v[6:7], v[6:7], v[4:5]
	v_lshl_add_u64 v[10:11], v[8:9], 4, s[10:11]
	s_delay_alu instid0(VALU_DEP_2)
	v_cmp_lt_i64_e64 s2, v[8:9], v[6:7]
	s_cbranch_scc1 .LBB88_27
; %bb.16:
	v_dual_mov_b32 v15, v1 :: v_dual_mov_b32 v14, v1
	v_dual_mov_b32 v13, v1 :: v_dual_mov_b32 v12, v1
	s_and_saveexec_b32 s3, s2
	s_cbranch_execz .LBB88_26
; %bb.17:
	v_dual_mov_b32 v13, v1 :: v_dual_bitop2_b32 v12, 32, v0 bitop3:0x54
	v_sub_nc_u64_e32 v[14:15], v[4:5], v[0:1]
	v_not_b32_e32 v19, v17
	v_not_b32_e32 v18, v16
	v_mov_b64_e32 v[20:21], v[10:11]
	v_sub_nc_u64_e32 v[12:13], v[12:13], v[4:5]
	s_delay_alu instid0(VALU_DEP_3) | instskip(SKIP_1) | instid1(VALU_DEP_3)
	v_add_nc_u64_e32 v[14:15], v[14:15], v[18:19]
	v_mov_b64_e32 v[18:19], v[8:9]
	v_add_nc_u64_e32 v[12:13], v[12:13], v[16:17]
	s_delay_alu instid0(VALU_DEP_1) | instskip(NEXT) | instid1(VALU_DEP_1)
	v_max_i64 v[12:13], v[12:13], v[6:7]
	v_add_nc_u64_e32 v[22:23], v[14:15], v[12:13]
	v_mov_b32_e32 v13, 0
	s_delay_alu instid0(VALU_DEP_1) | instskip(NEXT) | instid1(VALU_DEP_3)
	v_mov_b32_e32 v14, v13
	v_and_b32_e32 v12, 0x60, v22
	v_mov_b32_e32 v15, v13
	s_delay_alu instid0(VALU_DEP_2)
	v_cmp_ne_u64_e32 vcc_lo, 0x60, v[12:13]
	v_mov_b32_e32 v12, v13
	s_and_saveexec_b32 s6, vcc_lo
	s_cbranch_execz .LBB88_21
; %bb.18:
	v_dual_mov_b32 v15, 0 :: v_dual_lshrrev_b32 v12, 5, v22
	v_mov_b64_e32 v[20:21], v[10:11]
	v_mov_b64_e32 v[18:19], v[8:9]
	v_lshl_add_u64 v[24:25], v[8:9], 3, s[8:9]
	s_delay_alu instid0(VALU_DEP_4) | instskip(SKIP_1) | instid1(VALU_DEP_1)
	v_add_nc_u32_e32 v12, 1, v12
	s_mov_b32 s7, 0
	v_dual_mov_b32 v13, v15 :: v_dual_bitop2_b32 v14, 3, v12 bitop3:0x40
	v_mov_b32_e32 v12, v15
	s_delay_alu instid0(VALU_DEP_2)
	v_sub_nc_u64_e32 v[26:27], 0, v[14:15]
	v_mov_b32_e32 v14, v15
.LBB88_19:                              ; =>This Inner Loop Header: Depth=1
	global_load_b64 v[28:29], v[24:25], off
	v_add_nc_u64_e32 v[26:27], 1, v[26:27]
	v_add_nc_u64_e32 v[18:19], 32, v[18:19]
	s_wait_xcnt 0x0
	v_add_nc_u64_e32 v[24:25], 0x100, v[24:25]
	s_delay_alu instid0(VALU_DEP_3) | instskip(SKIP_3) | instid1(VALU_DEP_1)
	v_cmp_eq_u64_e32 vcc_lo, 0, v[26:27]
	s_or_b32 s7, vcc_lo, s7
	s_wait_loadcnt 0x0
	v_sub_nc_u64_e32 v[28:29], v[28:29], v[4:5]
	v_lshl_add_u64 v[32:33], v[28:29], 2, s[4:5]
	global_load_b128 v[28:31], v[20:21], off
	global_load_b32 v34, v[32:33], off
	s_wait_xcnt 0x1
	v_add_nc_u64_e32 v[20:21], 0x200, v[20:21]
	s_wait_loadcnt 0x1
	v_bfe_i32 v35, v28, 16, 8
	v_bfe_i32 v36, v29, 0, 8
	v_bfe_i32 v37, v29, 8, 8
	v_bfe_i32 v41, v30, 0, 8
	s_wait_xcnt 0x0
	v_bfe_i32 v32, v28, 0, 8
	v_bfe_i32 v33, v28, 8, 8
	;; [unrolled: 1-line block ×3, first 2 shown]
	v_dual_ashrrev_i32 v39, 24, v29 :: v_dual_ashrrev_i32 v40, 24, v28
	v_bfe_i32 v42, v30, 8, 8
	v_bfe_i32 v43, v30, 16, 8
	;; [unrolled: 1-line block ×3, first 2 shown]
	v_cvt_f32_i32_e32 v28, v35
	v_cvt_f32_i32_e32 v35, v36
	;; [unrolled: 1-line block ×4, first 2 shown]
	s_wait_loadcnt 0x0
	v_bfe_i32 v41, v34, 0, 8
	v_bfe_i32 v45, v31, 8, 8
	;; [unrolled: 1-line block ×3, first 2 shown]
	v_dual_ashrrev_i32 v47, 24, v31 :: v_dual_ashrrev_i32 v48, 24, v30
	v_cvt_f32_i32_e32 v49, v32
	v_cvt_f32_i32_e32 v29, v38
	;; [unrolled: 1-line block ×6, first 2 shown]
	v_bfe_i32 v42, v34, 8, 8
	v_bfe_i32 v43, v34, 16, 8
	v_ashrrev_i32_e32 v44, 24, v34
	v_cvt_f32_i32_e32 v34, v41
	v_cvt_f32_i32_e32 v50, v33
	;; [unrolled: 1-line block ×5, first 2 shown]
	v_dual_fmac_f32 v12, v49, v34 :: v_dual_fmac_f32 v13, v35, v34
	v_dual_fmac_f32 v14, v37, v34 :: v_dual_fmac_f32 v15, v39, v34
	v_cvt_f32_i32_e32 v33, v46
	v_cvt_f32_i32_e32 v34, v43
	s_delay_alu instid0(VALU_DEP_4) | instskip(NEXT) | instid1(VALU_DEP_4)
	v_dual_fmac_f32 v12, v50, v41 :: v_dual_fmac_f32 v13, v36, v41
	v_dual_fmac_f32 v14, v38, v41 :: v_dual_fmac_f32 v15, v40, v41
	v_cvt_f32_i32_e32 v37, v47
	v_cvt_f32_i32_e32 v36, v48
	;; [unrolled: 1-line block ×3, first 2 shown]
	v_pk_fma_f32 v[12:13], v[28:29], v[34:35], v[12:13] op_sel_hi:[1,0,1]
	v_pk_fma_f32 v[14:15], v[32:33], v[34:35], v[14:15] op_sel_hi:[1,0,1]
	s_delay_alu instid0(VALU_DEP_2) | instskip(NEXT) | instid1(VALU_DEP_2)
	v_pk_fma_f32 v[12:13], v[30:31], v[38:39], v[12:13] op_sel_hi:[1,0,1]
	v_pk_fma_f32 v[14:15], v[36:37], v[38:39], v[14:15] op_sel_hi:[1,0,1]
	s_and_not1_b32 exec_lo, exec_lo, s7
	s_cbranch_execnz .LBB88_19
; %bb.20:
	s_or_b32 exec_lo, exec_lo, s7
.LBB88_21:
	s_delay_alu instid0(SALU_CYCLE_1) | instskip(NEXT) | instid1(SALU_CYCLE_1)
	s_or_b32 exec_lo, exec_lo, s6
	s_mov_b32 s6, exec_lo
	v_cmpx_lt_u64_e32 0x5f, v[22:23]
	s_cbranch_execz .LBB88_25
; %bb.22:
	v_lshl_add_u64 v[22:23], v[18:19], 3, s[8:9]
	s_mov_b32 s7, 0
	s_delay_alu instid0(VALU_DEP_1)
	v_add_nc_u64_e32 v[22:23], 0x200, v[22:23]
.LBB88_23:                              ; =>This Inner Loop Header: Depth=1
	s_clause 0x3
	global_load_b128 v[24:27], v[20:21], off
	global_load_b128 v[28:31], v[20:21], off offset:1536
	global_load_b128 v[32:35], v[20:21], off offset:512
	;; [unrolled: 1-line block ×3, first 2 shown]
	v_add_nc_u64_e32 v[18:19], 0x80, v[18:19]
	s_wait_xcnt 0x0
	v_add_nc_u64_e32 v[20:21], 0x800, v[20:21]
	s_delay_alu instid0(VALU_DEP_2)
	v_cmp_ge_i64_e32 vcc_lo, v[18:19], v[6:7]
	s_or_b32 s7, vcc_lo, s7
	s_wait_loadcnt 0x3
	v_bfe_i32 v40, v24, 0, 8
	v_bfe_i32 v66, v24, 8, 8
	;; [unrolled: 1-line block ×12, first 2 shown]
	s_wait_loadcnt 0x2
	v_bfe_i32 v54, v28, 8, 8
	v_dual_ashrrev_i32 v48, 24, v25 :: v_dual_ashrrev_i32 v49, 24, v24
	s_wait_loadcnt 0x1
	v_bfe_i32 v50, v33, 0, 8
	v_bfe_i32 v51, v32, 0, 8
	;; [unrolled: 1-line block ×6, first 2 shown]
	v_dual_ashrrev_i32 v57, 24, v33 :: v_dual_ashrrev_i32 v58, 24, v32
	v_bfe_i32 v71, v29, 0, 8
	v_bfe_i32 v72, v28, 0, 8
	;; [unrolled: 1-line block ×5, first 2 shown]
	v_dual_ashrrev_i32 v76, 24, v29 :: v_dual_ashrrev_i32 v32, 24, v27
	v_dual_ashrrev_i32 v33, 24, v26 :: v_dual_ashrrev_i32 v81, 24, v35
	s_wait_loadcnt 0x0
	v_dual_ashrrev_i32 v90, 24, v38 :: v_dual_ashrrev_i32 v91, 24, v28
	v_bfe_i32 v92, v30, 8, 8
	v_bfe_i32 v93, v31, 0, 8
	;; [unrolled: 1-line block ×6, first 2 shown]
	v_dual_ashrrev_i32 v98, 24, v31 :: v_dual_ashrrev_i32 v99, 24, v30
	s_clause 0x3
	global_load_b64 v[24:25], v[22:23], off offset:-512
	global_load_b64 v[26:27], v[22:23], off offset:-256
	global_load_b64 v[28:29], v[22:23], off
	global_load_b64 v[30:31], v[22:23], off offset:256
	v_dual_ashrrev_i32 v65, 24, v37 :: v_dual_ashrrev_i32 v70, 24, v36
	v_cvt_f32_i32_e32 v66, v66
	v_bfe_i32 v59, v37, 0, 8
	v_bfe_i32 v60, v36, 0, 8
	v_bfe_i32 v61, v37, 8, 8
	v_bfe_i32 v62, v36, 8, 8
	v_bfe_i32 v63, v37, 16, 8
	v_bfe_i32 v64, v36, 16, 8
	v_bfe_i32 v36, v35, 0, 8
	v_bfe_i32 v37, v34, 0, 8
	v_bfe_i32 v77, v35, 8, 8
	v_bfe_i32 v78, v34, 8, 8
	v_bfe_i32 v79, v35, 16, 8
	v_bfe_i32 v80, v34, 16, 8
	v_dual_ashrrev_i32 v82, 24, v34 :: v_dual_ashrrev_i32 v89, 24, v39
	v_cvt_f32_i32_e32 v35, v36
	v_cvt_f32_i32_e32 v34, v37
	v_bfe_i32 v83, v39, 0, 8
	v_bfe_i32 v84, v38, 0, 8
	;; [unrolled: 1-line block ×6, first 2 shown]
	v_cvt_f32_i32_e32 v37, v52
	v_cvt_f32_i32_e32 v36, v53
	;; [unrolled: 1-line block ×7, first 2 shown]
	s_wait_xcnt 0x0
	v_add_nc_u64_e32 v[22:23], 0x400, v[22:23]
	s_wait_loadcnt 0x3
	v_sub_nc_u64_e32 v[24:25], v[24:25], v[4:5]
	s_delay_alu instid0(VALU_DEP_1)
	v_lshl_add_u64 v[24:25], v[24:25], 2, s[4:5]
	global_load_b32 v100, v[24:25], off
	s_wait_loadcnt 0x3
	s_wait_xcnt 0x0
	v_sub_nc_u64_e32 v[24:25], v[26:27], v[4:5]
	v_cvt_f32_i32_e32 v26, v45
	v_cvt_f32_i32_e32 v27, v47
	v_cvt_f32_i32_e32 v47, v61
	v_cvt_f32_i32_e32 v61, v79
	v_cvt_f32_i32_e32 v45, v59
	v_cvt_f32_i32_e32 v59, v76
	v_lshl_add_u64 v[24:25], v[24:25], 2, s[4:5]
	global_load_b32 v101, v[24:25], off
	s_wait_loadcnt 0x3
	s_wait_xcnt 0x0
	v_sub_nc_u64_e32 v[24:25], v[28:29], v[4:5]
	v_cvt_f32_i32_e32 v29, v48
	v_cvt_f32_i32_e32 v28, v49
	v_cvt_f32_i32_e32 v49, v63
	v_cvt_f32_i32_e32 v63, v81
	v_cvt_f32_i32_e32 v48, v64
	v_cvt_f32_i32_e32 v64, v84
	v_lshl_add_u64 v[24:25], v[24:25], 2, s[4:5]
	global_load_b32 v102, v[24:25], off
	s_wait_loadcnt 0x3
	s_wait_xcnt 0x0
	v_sub_nc_u64_e32 v[24:25], v[30:31], v[4:5]
	v_cvt_f32_i32_e32 v30, v33
	v_cvt_f32_i32_e32 v33, v50
	v_cvt_f32_i32_e32 v50, v70
	v_cvt_f32_i32_e32 v31, v32
	v_cvt_f32_i32_e32 v32, v51
	v_cvt_f32_i32_e32 v51, v65
	v_lshl_add_u64 v[24:25], v[24:25], 2, s[4:5]
	v_cvt_f32_i32_e32 v65, v83
	global_load_b32 v103, v[24:25], off
	s_wait_xcnt 0x0
	v_cvt_f32_i32_e32 v24, v40
	v_cvt_f32_i32_e32 v40, v56
	;; [unrolled: 1-line block ×3, first 2 shown]
	s_wait_loadcnt 0x3
	v_bfe_i32 v25, v100, 0, 8
	v_bfe_i32 v70, v100, 8, 8
	s_delay_alu instid0(VALU_DEP_2) | instskip(NEXT) | instid1(VALU_DEP_2)
	v_cvt_f32_i32_e32 v25, v25
	v_cvt_f32_i32_e32 v70, v70
	s_delay_alu instid0(VALU_DEP_2) | instskip(SKIP_3) | instid1(VALU_DEP_3)
	v_fmac_f32_e32 v12, v24, v25
	v_cvt_f32_i32_e32 v24, v42
	v_cvt_f32_i32_e32 v42, v58
	;; [unrolled: 1-line block ×3, first 2 shown]
	v_fmac_f32_e32 v13, v24, v25
	v_cvt_f32_i32_e32 v24, v44
	v_fmac_f32_e32 v12, v66, v70
	v_cvt_f32_i32_e32 v66, v67
	v_ashrrev_i32_e32 v67, 24, v100
	v_cvt_f32_i32_e32 v44, v60
	v_fmac_f32_e32 v14, v24, v25
	v_cvt_f32_i32_e32 v24, v46
	v_fmac_f32_e32 v13, v66, v70
	v_cvt_f32_i32_e32 v66, v68
	s_wait_loadcnt 0x2
	v_bfe_i32 v68, v101, 0, 8
	v_cvt_f32_i32_e32 v60, v80
	v_fmac_f32_e32 v15, v24, v25
	v_cvt_f32_i32_e32 v24, v41
	v_fmac_f32_e32 v14, v66, v70
	v_cvt_f32_i32_e32 v66, v69
	v_cvt_f32_i32_e32 v25, v43
	;; [unrolled: 1-line block ×5, first 2 shown]
	v_fmac_f32_e32 v15, v66, v70
	v_bfe_i32 v66, v100, 16, 8
	v_cvt_f32_i32_e32 v62, v82
	v_cvt_f32_i32_e32 v55, v73
	;; [unrolled: 1-line block ×3, first 2 shown]
	s_delay_alu instid0(VALU_DEP_4) | instskip(NEXT) | instid1(VALU_DEP_1)
	v_cvt_f32_i32_e32 v66, v66
	v_pk_fma_f32 v[14:15], v[26:27], v[66:67], v[14:15] op_sel_hi:[1,0,1]
	v_cvt_f32_i32_e32 v26, v67
	s_delay_alu instid0(VALU_DEP_1)
	v_pk_fma_f32 v[14:15], v[30:31], v[26:27], v[14:15] op_sel_hi:[1,0,1]
	v_ashrrev_i32_e32 v31, 24, v101
	v_pk_fma_f32 v[12:13], v[24:25], v[66:67], v[12:13] op_sel_hi:[1,0,1]
	v_bfe_i32 v67, v101, 8, 8
	v_cvt_f32_i32_e32 v66, v68
	v_cvt_f32_i32_e32 v25, v85
	;; [unrolled: 1-line block ×3, first 2 shown]
	v_pk_fma_f32 v[12:13], v[28:29], v[26:27], v[12:13] op_sel_hi:[1,0,1]
	v_bfe_i32 v29, v101, 16, 8
	v_cvt_f32_i32_e32 v28, v67
	v_pk_fma_f32 v[14:15], v[34:35], v[66:67], v[14:15] op_sel_hi:[1,0,1]
	v_cvt_f32_i32_e32 v27, v87
	v_pk_fma_f32 v[12:13], v[32:33], v[66:67], v[12:13] op_sel_hi:[1,0,1]
	v_cvt_f32_i32_e32 v30, v29
	v_cvt_f32_i32_e32 v32, v31
	v_pk_fma_f32 v[14:15], v[38:39], v[28:29], v[14:15] op_sel_hi:[1,0,1]
	s_wait_loadcnt 0x1
	v_bfe_i32 v33, v102, 8, 8
	v_pk_fma_f32 v[12:13], v[36:37], v[28:29], v[12:13] op_sel_hi:[1,0,1]
	v_bfe_i32 v29, v102, 0, 8
	v_cvt_f32_i32_e32 v26, v88
	v_pk_fma_f32 v[14:15], v[60:61], v[30:31], v[14:15] op_sel_hi:[1,0,1]
	v_cvt_f32_i32_e32 v28, v92
	v_pk_fma_f32 v[12:13], v[40:41], v[30:31], v[12:13] op_sel_hi:[1,0,1]
	v_cvt_f32_i32_e32 v34, v29
	v_bfe_i32 v29, v102, 16, 8
	v_pk_fma_f32 v[14:15], v[62:63], v[32:33], v[14:15] op_sel_hi:[1,0,1]
	v_cvt_f32_i32_e32 v31, v89
	v_pk_fma_f32 v[12:13], v[42:43], v[32:33], v[12:13] op_sel_hi:[1,0,1]
	v_cvt_f32_i32_e32 v32, v33
	v_cvt_f32_i32_e32 v33, v93
	v_pk_fma_f32 v[14:15], v[64:65], v[34:35], v[14:15] op_sel_hi:[1,0,1]
	v_cvt_f32_i32_e32 v30, v90
	v_pk_fma_f32 v[12:13], v[44:45], v[34:35], v[12:13] op_sel_hi:[1,0,1]
	v_ashrrev_i32_e32 v35, 24, v102
	v_cvt_f32_i32_e32 v34, v29
	v_pk_fma_f32 v[14:15], v[24:25], v[32:33], v[14:15] op_sel_hi:[1,0,1]
	s_wait_loadcnt 0x0
	v_bfe_i32 v25, v103, 0, 8
	v_pk_fma_f32 v[12:13], v[46:47], v[32:33], v[12:13] op_sel_hi:[1,0,1]
	v_cvt_f32_i32_e32 v24, v35
	v_cvt_f32_i32_e32 v32, v94
	v_pk_fma_f32 v[14:15], v[26:27], v[34:35], v[14:15] op_sel_hi:[1,0,1]
	v_bfe_i32 v27, v103, 8, 8
	v_pk_fma_f32 v[12:13], v[48:49], v[34:35], v[12:13] op_sel_hi:[1,0,1]
	v_cvt_f32_i32_e32 v26, v25
	v_cvt_f32_i32_e32 v29, v95
	v_pk_fma_f32 v[14:15], v[30:31], v[24:25], v[14:15] op_sel_hi:[1,0,1]
	;; [unrolled: 5-line block ×3, first 2 shown]
	v_cvt_f32_i32_e32 v24, v97
	v_pk_fma_f32 v[12:13], v[52:53], v[26:27], v[12:13] op_sel_hi:[1,0,1]
	v_ashrrev_i32_e32 v27, 24, v103
	v_cvt_f32_i32_e32 v26, v31
	v_pk_fma_f32 v[14:15], v[28:29], v[30:31], v[14:15] op_sel_hi:[1,0,1]
	v_cvt_f32_i32_e32 v29, v98
	v_pk_fma_f32 v[12:13], v[54:55], v[30:31], v[12:13] op_sel_hi:[1,0,1]
	v_cvt_f32_i32_e32 v28, v99
	v_cvt_f32_i32_e32 v30, v27
	v_pk_fma_f32 v[14:15], v[24:25], v[26:27], v[14:15] op_sel_hi:[1,0,1]
	s_delay_alu instid0(VALU_DEP_4) | instskip(NEXT) | instid1(VALU_DEP_2)
	v_pk_fma_f32 v[12:13], v[56:57], v[26:27], v[12:13] op_sel_hi:[1,0,1]
	v_pk_fma_f32 v[14:15], v[28:29], v[30:31], v[14:15] op_sel_hi:[1,0,1]
	s_delay_alu instid0(VALU_DEP_2)
	v_pk_fma_f32 v[12:13], v[58:59], v[30:31], v[12:13] op_sel_hi:[1,0,1]
	s_and_not1_b32 exec_lo, exec_lo, s7
	s_cbranch_execnz .LBB88_23
; %bb.24:
	s_or_b32 exec_lo, exec_lo, s7
.LBB88_25:
	s_delay_alu instid0(SALU_CYCLE_1)
	s_or_b32 exec_lo, exec_lo, s6
.LBB88_26:
	s_delay_alu instid0(SALU_CYCLE_1)
	s_or_b32 exec_lo, exec_lo, s3
	s_cbranch_execz .LBB88_28
	s_branch .LBB88_39
.LBB88_27:
                                        ; implicit-def: $vgpr15
                                        ; implicit-def: $vgpr13
.LBB88_28:
	v_dual_mov_b32 v15, 0 :: v_dual_mov_b32 v14, 0
	v_dual_mov_b32 v13, 0 :: v_dual_mov_b32 v12, 0
	s_and_saveexec_b32 s3, s2
	s_cbranch_execz .LBB88_38
; %bb.29:
	v_dual_mov_b32 v13, v1 :: v_dual_bitop2_b32 v12, 32, v0 bitop3:0x54
	v_sub_nc_u64_e32 v[14:15], v[4:5], v[0:1]
	s_delay_alu instid0(VALU_DEP_2) | instskip(NEXT) | instid1(VALU_DEP_1)
	v_sub_nc_u64_e32 v[12:13], v[12:13], v[4:5]
	v_add_nc_u64_e32 v[12:13], v[12:13], v[16:17]
	v_not_b32_e32 v17, v17
	v_not_b32_e32 v16, v16
	s_delay_alu instid0(VALU_DEP_1) | instskip(NEXT) | instid1(VALU_DEP_4)
	v_add_nc_u64_e32 v[14:15], v[14:15], v[16:17]
	v_max_i64 v[12:13], v[12:13], v[6:7]
	s_delay_alu instid0(VALU_DEP_1) | instskip(SKIP_2) | instid1(VALU_DEP_2)
	v_add_nc_u64_e32 v[18:19], v[14:15], v[12:13]
	v_mov_b32_e32 v14, 0
	v_mov_b64_e32 v[12:13], 0
	v_mov_b32_e32 v17, v14
	s_delay_alu instid0(VALU_DEP_4) | instskip(NEXT) | instid1(VALU_DEP_1)
	v_and_b32_e32 v16, 0x60, v18
	v_cmp_ne_u64_e32 vcc_lo, 0x60, v[16:17]
	v_mov_b64_e32 v[16:17], 0
	s_and_saveexec_b32 s2, vcc_lo
	s_cbranch_execz .LBB88_33
; %bb.30:
	v_dual_lshrrev_b32 v1, 5, v18 :: v_dual_mov_b32 v13, v14
	v_lshl_add_u64 v[16:17], v[8:9], 3, s[8:9]
	s_mov_b32 s6, 0
	s_delay_alu instid0(VALU_DEP_2) | instskip(NEXT) | instid1(VALU_DEP_1)
	v_dual_mov_b32 v15, v14 :: v_dual_add_nc_u32 v1, 1, v1
	v_and_b32_e32 v12, 3, v1
	s_delay_alu instid0(VALU_DEP_1)
	v_sub_nc_u64_e32 v[20:21], 0, v[12:13]
	v_mov_b32_e32 v12, v14
.LBB88_31:                              ; =>This Inner Loop Header: Depth=1
	global_load_b64 v[22:23], v[16:17], off
	v_add_nc_u64_e32 v[20:21], 1, v[20:21]
	v_add_nc_u64_e32 v[8:9], 32, v[8:9]
	s_wait_xcnt 0x0
	v_add_nc_u64_e32 v[16:17], 0x100, v[16:17]
	s_delay_alu instid0(VALU_DEP_3) | instskip(SKIP_3) | instid1(VALU_DEP_1)
	v_cmp_eq_u64_e32 vcc_lo, 0, v[20:21]
	s_or_b32 s6, vcc_lo, s6
	s_wait_loadcnt 0x0
	v_sub_nc_u64_e32 v[22:23], v[22:23], v[4:5]
	v_lshl_add_u64 v[26:27], v[22:23], 2, s[4:5]
	global_load_b128 v[22:25], v[10:11], off
	global_load_b32 v1, v[26:27], off
	s_wait_xcnt 0x1
	v_add_nc_u64_e32 v[10:11], 0x200, v[10:11]
	s_wait_loadcnt 0x1
	s_wait_xcnt 0x0
	v_bfe_i32 v26, v22, 8, 8
	v_bfe_i32 v31, v22, 16, 8
	v_bfe_i32 v34, v24, 8, 8
	v_bfe_i32 v27, v22, 0, 8
	v_bfe_i32 v28, v23, 8, 8
	v_bfe_i32 v29, v23, 0, 8
	v_dual_ashrrev_i32 v30, 24, v22 :: v_dual_ashrrev_i32 v32, 24, v23
	v_bfe_i32 v33, v23, 16, 8
	v_bfe_i32 v35, v24, 0, 8
	v_dual_ashrrev_i32 v36, 24, v24 :: v_dual_ashrrev_i32 v40, 24, v25
	v_bfe_i32 v38, v25, 8, 8
	v_cvt_f32_i32_e32 v23, v26
	v_cvt_f32_i32_e32 v26, v31
	;; [unrolled: 1-line block ×3, first 2 shown]
	s_wait_loadcnt 0x0
	v_bfe_i32 v34, v1, 0, 8
	v_bfe_i32 v37, v24, 16, 8
	;; [unrolled: 1-line block ×4, first 2 shown]
	v_cvt_f32_i32_e32 v22, v27
	v_cvt_f32_i32_e32 v25, v28
	;; [unrolled: 1-line block ×6, first 2 shown]
	v_bfe_i32 v36, v1, 8, 8
	v_cvt_f32_i32_e32 v34, v34
	v_cvt_f32_i32_e32 v35, v38
	;; [unrolled: 1-line block ×5, first 2 shown]
	v_bfe_i32 v37, v1, 16, 8
	v_cvt_f32_i32_e32 v36, v36
	v_pk_fma_f32 v[12:13], v[22:23], v[34:35], v[12:13] op_sel_hi:[1,0,1]
	v_pk_fma_f32 v[14:15], v[26:27], v[34:35], v[14:15] op_sel_hi:[1,0,1]
	v_ashrrev_i32_e32 v1, 24, v1
	v_cvt_f32_i32_e32 v22, v37
	v_cvt_f32_i32_e32 v34, v39
	v_pk_fma_f32 v[12:13], v[24:25], v[36:37], v[12:13] op_sel_hi:[1,0,1]
	v_pk_fma_f32 v[14:15], v[28:29], v[36:37], v[14:15] op_sel_hi:[1,0,1]
	v_cvt_f32_i32_e32 v25, v40
	v_cvt_f32_i32_e32 v24, v41
	;; [unrolled: 1-line block ×3, first 2 shown]
	v_pk_fma_f32 v[12:13], v[30:31], v[22:23], v[12:13] op_sel_hi:[1,0,1]
	v_pk_fma_f32 v[14:15], v[32:33], v[22:23], v[14:15] op_sel_hi:[1,0,1]
	s_delay_alu instid0(VALU_DEP_2) | instskip(NEXT) | instid1(VALU_DEP_2)
	v_pk_fma_f32 v[12:13], v[34:35], v[26:27], v[12:13] op_sel_hi:[1,0,1]
	v_pk_fma_f32 v[14:15], v[24:25], v[26:27], v[14:15] op_sel_hi:[1,0,1]
	s_and_not1_b32 exec_lo, exec_lo, s6
	s_cbranch_execnz .LBB88_31
; %bb.32:
	s_or_b32 exec_lo, exec_lo, s6
	s_delay_alu instid0(VALU_DEP_1)
	v_mov_b64_e32 v[16:17], v[14:15]
.LBB88_33:
	s_or_b32 exec_lo, exec_lo, s2
	s_delay_alu instid0(SALU_CYCLE_1)
	s_mov_b32 s2, exec_lo
	v_cmpx_lt_u64_e32 0x5f, v[18:19]
	s_cbranch_execz .LBB88_37
; %bb.34:
	v_lshl_add_u64 v[14:15], v[8:9], 3, s[8:9]
	s_mov_b32 s6, 0
	s_delay_alu instid0(VALU_DEP_1)
	v_add_nc_u64_e32 v[14:15], 0x200, v[14:15]
.LBB88_35:                              ; =>This Inner Loop Header: Depth=1
	s_clause 0x3
	global_load_b64 v[30:31], v[14:15], off offset:-512
	global_load_b64 v[32:33], v[14:15], off offset:-256
	global_load_b64 v[34:35], v[14:15], off
	global_load_b64 v[36:37], v[14:15], off offset:256
	s_clause 0x2
	global_load_b128 v[18:21], v[10:11], off
	global_load_b128 v[22:25], v[10:11], off offset:512
	global_load_b128 v[26:29], v[10:11], off offset:1024
	v_add_nc_u64_e32 v[8:9], 0x80, v[8:9]
	s_wait_xcnt 0x3
	v_add_nc_u64_e32 v[14:15], 0x400, v[14:15]
	s_delay_alu instid0(VALU_DEP_2)
	v_cmp_ge_i64_e32 vcc_lo, v[8:9], v[6:7]
	s_or_b32 s6, vcc_lo, s6
	s_wait_loadcnt 0x6
	v_sub_nc_u64_e32 v[30:31], v[30:31], v[4:5]
	s_wait_loadcnt 0x5
	v_sub_nc_u64_e32 v[32:33], v[32:33], v[4:5]
	;; [unrolled: 2-line block ×4, first 2 shown]
	s_wait_loadcnt 0x2
	v_bfe_i32 v42, v20, 8, 8
	v_bfe_i32 v43, v20, 0, 8
	v_dual_ashrrev_i32 v44, 24, v20 :: v_dual_ashrrev_i32 v66, 24, v21
	v_lshl_add_u64 v[38:39], v[30:31], 2, s[4:5]
	v_lshl_add_u64 v[40:41], v[32:33], 2, s[4:5]
	;; [unrolled: 1-line block ×4, first 2 shown]
	s_clause 0x2
	global_load_b32 v1, v[38:39], off
	global_load_b32 v61, v[40:41], off
	;; [unrolled: 1-line block ×3, first 2 shown]
	global_load_b128 v[30:33], v[10:11], off offset:1536
	global_load_b32 v63, v[36:37], off
	s_wait_xcnt 0x2
	v_bfe_i32 v34, v18, 8, 8
	v_bfe_i32 v35, v18, 0, 8
	;; [unrolled: 1-line block ×3, first 2 shown]
	s_wait_xcnt 0x0
	v_bfe_i32 v36, v19, 8, 8
	v_bfe_i32 v37, v19, 0, 8
	v_dual_ashrrev_i32 v38, 24, v18 :: v_dual_ashrrev_i32 v40, 24, v19
	v_bfe_i32 v39, v18, 16, 8
	v_bfe_i32 v41, v19, 16, 8
	v_cvt_f32_i32_e32 v19, v34
	v_cvt_f32_i32_e32 v18, v35
	s_wait_loadcnt 0x5
	v_bfe_i32 v60, v28, 8, 8
	v_bfe_i32 v46, v21, 8, 8
	;; [unrolled: 1-line block ×13, first 2 shown]
	v_dual_ashrrev_i32 v68, 24, v22 :: v_dual_ashrrev_i32 v70, 24, v23
	v_bfe_i32 v69, v22, 16, 8
	v_bfe_i32 v71, v23, 16, 8
	v_dual_ashrrev_i32 v72, 24, v24 :: v_dual_ashrrev_i32 v74, 24, v25
	v_bfe_i32 v73, v24, 16, 8
	v_bfe_i32 v75, v25, 16, 8
	v_cvt_f32_i32_e32 v23, v46
	v_cvt_f32_i32_e32 v22, v47
	;; [unrolled: 1-line block ×4, first 2 shown]
	v_bfe_i32 v56, v26, 8, 8
	v_bfe_i32 v57, v26, 0, 8
	;; [unrolled: 1-line block ×6, first 2 shown]
	v_dual_ashrrev_i32 v77, 24, v26 :: v_dual_ashrrev_i32 v79, 24, v27
	v_bfe_i32 v78, v26, 16, 8
	v_bfe_i32 v80, v27, 16, 8
	v_dual_ashrrev_i32 v81, 24, v28 :: v_dual_ashrrev_i32 v83, 24, v29
	v_bfe_i32 v82, v28, 16, 8
	v_bfe_i32 v84, v29, 16, 8
	v_cvt_f32_i32_e32 v27, v48
	v_cvt_f32_i32_e32 v26, v49
	;; [unrolled: 1-line block ×10, first 2 shown]
	v_add_nc_u64_e32 v[10:11], 0x800, v[10:11]
	s_wait_loadcnt 0x4
	v_bfe_i32 v20, v1, 0, 8
	s_wait_loadcnt 0x1
	v_bfe_i32 v85, v30, 8, 8
	v_bfe_i32 v86, v30, 0, 8
	s_delay_alu instid0(VALU_DEP_3) | instskip(SKIP_3) | instid1(VALU_DEP_4)
	v_cvt_f32_i32_e32 v20, v20
	v_dual_ashrrev_i32 v87, 24, v30 :: v_dual_ashrrev_i32 v91, 24, v31
	v_bfe_i32 v88, v30, 16, 8
	v_bfe_i32 v89, v31, 8, 8
	v_pk_fma_f32 v[12:13], v[18:19], v[20:21], v[12:13] op_sel_hi:[1,0,1]
	v_cvt_f32_i32_e32 v19, v38
	v_cvt_f32_i32_e32 v18, v39
	v_bfe_i32 v90, v31, 0, 8
	v_bfe_i32 v92, v31, 16, 8
	;; [unrolled: 1-line block ×4, first 2 shown]
	v_pk_fma_f32 v[16:17], v[18:19], v[20:21], v[16:17] op_sel_hi:[1,0,1]
	v_bfe_i32 v20, v1, 8, 8
	v_cvt_f32_i32_e32 v19, v36
	v_cvt_f32_i32_e32 v18, v37
	v_bfe_i32 v95, v33, 8, 8
	v_bfe_i32 v96, v33, 0, 8
	v_cvt_f32_i32_e32 v20, v20
	v_dual_ashrrev_i32 v97, 24, v32 :: v_dual_ashrrev_i32 v99, 24, v33
	v_bfe_i32 v98, v32, 16, 8
	v_bfe_i32 v100, v33, 16, 8
	s_delay_alu instid0(VALU_DEP_4)
	v_pk_fma_f32 v[12:13], v[18:19], v[20:21], v[12:13] op_sel_hi:[1,0,1]
	v_cvt_f32_i32_e32 v19, v40
	v_cvt_f32_i32_e32 v18, v41
	;; [unrolled: 1-line block ×6, first 2 shown]
	v_pk_fma_f32 v[16:17], v[18:19], v[20:21], v[16:17] op_sel_hi:[1,0,1]
	v_cvt_f32_i32_e32 v18, v43
	v_cvt_f32_i32_e32 v43, v60
	v_bfe_i32 v60, v1, 16, 8
	v_cvt_f32_i32_e32 v19, v42
	v_cvt_f32_i32_e32 v21, v44
	;; [unrolled: 1-line block ×3, first 2 shown]
	v_ashrrev_i32_e32 v1, 24, v1
	v_cvt_f32_i32_e32 v60, v60
	v_cvt_f32_i32_e32 v42, v64
	v_bfe_i32 v64, v61, 0, 8
	v_cvt_f32_i32_e32 v37, v54
	v_cvt_f32_i32_e32 v36, v55
	v_pk_fma_f32 v[12:13], v[18:19], v[60:61], v[12:13] op_sel_hi:[1,0,1]
	v_pk_fma_f32 v[16:17], v[20:21], v[60:61], v[16:17] op_sel_hi:[1,0,1]
	v_cvt_f32_i32_e32 v20, v1
	v_bfe_i32 v1, v61, 8, 8
	v_cvt_f32_i32_e32 v60, v64
	v_cvt_f32_i32_e32 v51, v74
	;; [unrolled: 1-line block ×3, first 2 shown]
	v_pk_fma_f32 v[12:13], v[22:23], v[20:21], v[12:13] op_sel_hi:[1,0,1]
	v_pk_fma_f32 v[16:17], v[24:25], v[20:21], v[16:17] op_sel_hi:[1,0,1]
	v_bfe_i32 v23, v61, 16, 8
	v_cvt_f32_i32_e32 v22, v1
	v_ashrrev_i32_e32 v1, 24, v61
	v_pk_fma_f32 v[12:13], v[26:27], v[60:61], v[12:13] op_sel_hi:[1,0,1]
	v_pk_fma_f32 v[16:17], v[28:29], v[60:61], v[16:17] op_sel_hi:[1,0,1]
	v_cvt_f32_i32_e32 v24, v23
	v_bfe_i32 v25, v62, 0, 8
	v_cvt_f32_i32_e32 v26, v1
	v_pk_fma_f32 v[12:13], v[30:31], v[22:23], v[12:13] op_sel_hi:[1,0,1]
	v_pk_fma_f32 v[16:17], v[32:33], v[22:23], v[16:17] op_sel_hi:[1,0,1]
	v_cvt_f32_i32_e32 v39, v56
	v_cvt_f32_i32_e32 v38, v57
	v_bfe_i32 v1, v62, 8, 8
	v_pk_fma_f32 v[12:13], v[34:35], v[24:25], v[12:13] op_sel_hi:[1,0,1]
	v_pk_fma_f32 v[16:17], v[48:49], v[24:25], v[16:17] op_sel_hi:[1,0,1]
	v_cvt_f32_i32_e32 v24, v25
	v_cvt_f32_i32_e32 v25, v93
	;; [unrolled: 1-line block ×3, first 2 shown]
	v_pk_fma_f32 v[12:13], v[36:37], v[26:27], v[12:13] op_sel_hi:[1,0,1]
	v_pk_fma_f32 v[16:17], v[50:51], v[26:27], v[16:17] op_sel_hi:[1,0,1]
	v_cvt_f32_i32_e32 v40, v59
	v_cvt_f32_i32_e32 v55, v79
	;; [unrolled: 1-line block ×3, first 2 shown]
	v_bfe_i32 v27, v62, 16, 8
	v_cvt_f32_i32_e32 v26, v1
	v_pk_fma_f32 v[12:13], v[38:39], v[24:25], v[12:13] op_sel_hi:[1,0,1]
	v_pk_fma_f32 v[16:17], v[52:53], v[24:25], v[16:17] op_sel_hi:[1,0,1]
	v_cvt_f32_i32_e32 v57, v81
	v_cvt_f32_i32_e32 v56, v82
	v_ashrrev_i32_e32 v1, 24, v62
	v_cvt_f32_i32_e32 v28, v27
	v_pk_fma_f32 v[12:13], v[40:41], v[26:27], v[12:13] op_sel_hi:[1,0,1]
	v_pk_fma_f32 v[16:17], v[54:55], v[26:27], v[16:17] op_sel_hi:[1,0,1]
	s_wait_loadcnt 0x0
	v_bfe_i32 v29, v63, 0, 8
	v_cvt_f32_i32_e32 v45, v65
	v_cvt_f32_i32_e32 v44, v76
	;; [unrolled: 1-line block ×5, first 2 shown]
	v_pk_fma_f32 v[12:13], v[42:43], v[28:29], v[12:13] op_sel_hi:[1,0,1]
	v_pk_fma_f32 v[16:17], v[56:57], v[28:29], v[16:17] op_sel_hi:[1,0,1]
	v_cvt_f32_i32_e32 v47, v85
	v_cvt_f32_i32_e32 v46, v86
	v_cvt_f32_i32_e32 v19, v87
	v_cvt_f32_i32_e32 v18, v88
	v_bfe_i32 v1, v63, 8, 8
	v_cvt_f32_i32_e32 v28, v29
	v_pk_fma_f32 v[12:13], v[44:45], v[30:31], v[12:13] op_sel_hi:[1,0,1]
	v_pk_fma_f32 v[16:17], v[58:59], v[30:31], v[16:17] op_sel_hi:[1,0,1]
	v_cvt_f32_i32_e32 v29, v97
	v_cvt_f32_i32_e32 v21, v89
	;; [unrolled: 1-line block ×5, first 2 shown]
	v_bfe_i32 v31, v63, 16, 8
	v_cvt_f32_i32_e32 v30, v1
	v_pk_fma_f32 v[12:13], v[46:47], v[28:29], v[12:13] op_sel_hi:[1,0,1]
	v_pk_fma_f32 v[16:17], v[18:19], v[28:29], v[16:17] op_sel_hi:[1,0,1]
	v_cvt_f32_i32_e32 v24, v94
	v_cvt_f32_i32_e32 v28, v98
	v_ashrrev_i32_e32 v1, 24, v63
	v_cvt_f32_i32_e32 v18, v31
	v_pk_fma_f32 v[12:13], v[20:21], v[30:31], v[12:13] op_sel_hi:[1,0,1]
	v_pk_fma_f32 v[16:17], v[22:23], v[30:31], v[16:17] op_sel_hi:[1,0,1]
	v_cvt_f32_i32_e32 v27, v95
	v_cvt_f32_i32_e32 v26, v96
	;; [unrolled: 1-line block ×5, first 2 shown]
	v_pk_fma_f32 v[12:13], v[24:25], v[18:19], v[12:13] op_sel_hi:[1,0,1]
	v_pk_fma_f32 v[16:17], v[28:29], v[18:19], v[16:17] op_sel_hi:[1,0,1]
	s_delay_alu instid0(VALU_DEP_2) | instskip(NEXT) | instid1(VALU_DEP_2)
	v_pk_fma_f32 v[12:13], v[26:27], v[22:23], v[12:13] op_sel_hi:[1,0,1]
	v_pk_fma_f32 v[16:17], v[20:21], v[22:23], v[16:17] op_sel_hi:[1,0,1]
	s_and_not1_b32 exec_lo, exec_lo, s6
	s_cbranch_execnz .LBB88_35
; %bb.36:
	s_or_b32 exec_lo, exec_lo, s6
	s_delay_alu instid0(VALU_DEP_1)
	v_dual_mov_b32 v15, v17 :: v_dual_mov_b32 v14, v16
.LBB88_37:
	s_or_b32 exec_lo, exec_lo, s2
.LBB88_38:
	s_delay_alu instid0(SALU_CYCLE_1)
	s_or_b32 exec_lo, exec_lo, s3
.LBB88_39:
	v_mbcnt_lo_u32_b32 v1, -1, 0
	s_mov_b32 s2, -1
	s_delay_alu instid0(VALU_DEP_1) | instskip(SKIP_1) | instid1(VALU_DEP_1)
	v_xor_b32_e32 v8, 8, v1
	v_xor_b32_e32 v4, 16, v1
	v_cmp_gt_i32_e32 vcc_lo, 32, v4
	v_cndmask_b32_e32 v4, v1, v4, vcc_lo
	s_delay_alu instid0(VALU_DEP_4) | instskip(NEXT) | instid1(VALU_DEP_2)
	v_cmp_gt_i32_e32 vcc_lo, 32, v8
	v_lshlrev_b32_e32 v7, 2, v4
	v_cndmask_b32_e32 v8, v1, v8, vcc_lo
	ds_bpermute_b32 v4, v7, v12
	ds_bpermute_b32 v5, v7, v13
	;; [unrolled: 1-line block ×4, first 2 shown]
	v_lshlrev_b32_e32 v11, 2, v8
	s_wait_dscnt 0x2
	v_pk_add_f32 v[4:5], v[12:13], v[4:5]
	v_xor_b32_e32 v12, 4, v1
	s_wait_dscnt 0x0
	v_pk_add_f32 v[6:7], v[14:15], v[6:7]
	ds_bpermute_b32 v8, v11, v4
	ds_bpermute_b32 v9, v11, v5
	;; [unrolled: 1-line block ×4, first 2 shown]
	v_cmp_gt_i32_e32 vcc_lo, 32, v12
	v_cndmask_b32_e32 v12, v1, v12, vcc_lo
	s_delay_alu instid0(VALU_DEP_1)
	v_lshlrev_b32_e32 v12, 2, v12
	s_wait_dscnt 0x2
	v_pk_add_f32 v[4:5], v[4:5], v[8:9]
	s_wait_dscnt 0x0
	v_pk_add_f32 v[6:7], v[6:7], v[10:11]
	ds_bpermute_b32 v8, v12, v4
	ds_bpermute_b32 v9, v12, v5
	;; [unrolled: 1-line block ×4, first 2 shown]
	v_xor_b32_e32 v12, 2, v1
	s_delay_alu instid0(VALU_DEP_1) | instskip(SKIP_1) | instid1(VALU_DEP_1)
	v_cmp_gt_i32_e32 vcc_lo, 32, v12
	v_cndmask_b32_e32 v12, v1, v12, vcc_lo
	v_lshlrev_b32_e32 v12, 2, v12
	s_wait_dscnt 0x2
	v_pk_add_f32 v[4:5], v[4:5], v[8:9]
	s_wait_dscnt 0x0
	v_pk_add_f32 v[6:7], v[6:7], v[10:11]
	ds_bpermute_b32 v8, v12, v4
	ds_bpermute_b32 v9, v12, v5
	;; [unrolled: 1-line block ×4, first 2 shown]
	v_xor_b32_e32 v12, 1, v1
	s_delay_alu instid0(VALU_DEP_1) | instskip(SKIP_2) | instid1(VALU_DEP_2)
	v_cmp_gt_i32_e32 vcc_lo, 32, v12
	v_cndmask_b32_e32 v1, v1, v12, vcc_lo
	v_cmp_eq_u32_e32 vcc_lo, 31, v0
	v_lshlrev_b32_e32 v1, 2, v1
	s_wait_dscnt 0x2
	v_pk_add_f32 v[4:5], v[4:5], v[8:9]
	s_wait_dscnt 0x0
	v_pk_add_f32 v[8:9], v[6:7], v[10:11]
	ds_bpermute_b32 v6, v1, v4
	ds_bpermute_b32 v7, v1, v5
	;; [unrolled: 1-line block ×4, first 2 shown]
	s_and_b32 exec_lo, exec_lo, vcc_lo
	s_cbranch_execz .LBB88_10
; %bb.40:
	s_load_b64 s[0:1], s[0:1], 0x58
	s_wait_dscnt 0x2
	v_pk_add_f32 v[6:7], v[4:5], v[6:7]
	s_wait_dscnt 0x0
	v_pk_add_f32 v[4:5], v[8:9], v[10:11]
	s_cmp_eq_f32 s16, 0
	s_wait_kmcnt 0x0
	v_lshl_add_u64 v[0:1], v[2:3], 4, s[0:1]
	s_cbranch_scc0 .LBB88_42
; %bb.41:
	v_pk_mul_f32 v[8:9], s[12:13], v[6:7] op_sel_hi:[0,1]
	v_pk_mul_f32 v[10:11], s[12:13], v[4:5] op_sel_hi:[0,1]
	s_mov_b32 s2, 0
	global_store_b128 v[0:1], v[8:11], off
.LBB88_42:
	s_and_not1_b32 vcc_lo, exec_lo, s2
	s_cbranch_vccnz .LBB88_10
; %bb.43:
	global_load_b128 v[8:11], v[0:1], off
	v_pk_mul_f32 v[2:3], s[12:13], v[6:7] op_sel_hi:[0,1]
	v_pk_mul_f32 v[4:5], s[12:13], v[4:5] op_sel_hi:[0,1]
	s_wait_loadcnt 0x0
	s_delay_alu instid0(VALU_DEP_2) | instskip(NEXT) | instid1(VALU_DEP_2)
	v_pk_fma_f32 v[2:3], s[16:17], v[8:9], v[2:3] op_sel_hi:[0,1,1]
	v_pk_fma_f32 v[4:5], s[16:17], v[10:11], v[4:5] op_sel_hi:[0,1,1]
	global_store_b128 v[0:1], v[2:5], off
	s_sendmsg sendmsg(MSG_DEALLOC_VGPRS)
	s_endpgm
	.section	.rodata,"a",@progbits
	.p2align	6, 0x0
	.amdhsa_kernel _ZN9rocsparseL18bsrxmvn_4x4_kernelILj128ELj32EfllaafEEvT3_20rocsparse_direction_NS_24const_host_device_scalarIT1_EES1_PKS1_PKT2_SA_S7_PKT4_PKT5_S5_PT6_21rocsparse_index_base_b
		.amdhsa_group_segment_fixed_size 0
		.amdhsa_private_segment_fixed_size 0
		.amdhsa_kernarg_size 104
		.amdhsa_user_sgpr_count 2
		.amdhsa_user_sgpr_dispatch_ptr 0
		.amdhsa_user_sgpr_queue_ptr 0
		.amdhsa_user_sgpr_kernarg_segment_ptr 1
		.amdhsa_user_sgpr_dispatch_id 0
		.amdhsa_user_sgpr_kernarg_preload_length 0
		.amdhsa_user_sgpr_kernarg_preload_offset 0
		.amdhsa_user_sgpr_private_segment_size 0
		.amdhsa_wavefront_size32 1
		.amdhsa_uses_dynamic_stack 0
		.amdhsa_enable_private_segment 0
		.amdhsa_system_sgpr_workgroup_id_x 1
		.amdhsa_system_sgpr_workgroup_id_y 0
		.amdhsa_system_sgpr_workgroup_id_z 0
		.amdhsa_system_sgpr_workgroup_info 0
		.amdhsa_system_vgpr_workitem_id 0
		.amdhsa_next_free_vgpr 104
		.amdhsa_next_free_sgpr 18
		.amdhsa_named_barrier_count 0
		.amdhsa_reserve_vcc 1
		.amdhsa_float_round_mode_32 0
		.amdhsa_float_round_mode_16_64 0
		.amdhsa_float_denorm_mode_32 3
		.amdhsa_float_denorm_mode_16_64 3
		.amdhsa_fp16_overflow 0
		.amdhsa_memory_ordered 1
		.amdhsa_forward_progress 1
		.amdhsa_inst_pref_size 43
		.amdhsa_round_robin_scheduling 0
		.amdhsa_exception_fp_ieee_invalid_op 0
		.amdhsa_exception_fp_denorm_src 0
		.amdhsa_exception_fp_ieee_div_zero 0
		.amdhsa_exception_fp_ieee_overflow 0
		.amdhsa_exception_fp_ieee_underflow 0
		.amdhsa_exception_fp_ieee_inexact 0
		.amdhsa_exception_int_div_zero 0
	.end_amdhsa_kernel
	.section	.text._ZN9rocsparseL18bsrxmvn_4x4_kernelILj128ELj32EfllaafEEvT3_20rocsparse_direction_NS_24const_host_device_scalarIT1_EES1_PKS1_PKT2_SA_S7_PKT4_PKT5_S5_PT6_21rocsparse_index_base_b,"axG",@progbits,_ZN9rocsparseL18bsrxmvn_4x4_kernelILj128ELj32EfllaafEEvT3_20rocsparse_direction_NS_24const_host_device_scalarIT1_EES1_PKS1_PKT2_SA_S7_PKT4_PKT5_S5_PT6_21rocsparse_index_base_b,comdat
.Lfunc_end88:
	.size	_ZN9rocsparseL18bsrxmvn_4x4_kernelILj128ELj32EfllaafEEvT3_20rocsparse_direction_NS_24const_host_device_scalarIT1_EES1_PKS1_PKT2_SA_S7_PKT4_PKT5_S5_PT6_21rocsparse_index_base_b, .Lfunc_end88-_ZN9rocsparseL18bsrxmvn_4x4_kernelILj128ELj32EfllaafEEvT3_20rocsparse_direction_NS_24const_host_device_scalarIT1_EES1_PKS1_PKT2_SA_S7_PKT4_PKT5_S5_PT6_21rocsparse_index_base_b
                                        ; -- End function
	.set _ZN9rocsparseL18bsrxmvn_4x4_kernelILj128ELj32EfllaafEEvT3_20rocsparse_direction_NS_24const_host_device_scalarIT1_EES1_PKS1_PKT2_SA_S7_PKT4_PKT5_S5_PT6_21rocsparse_index_base_b.num_vgpr, 104
	.set _ZN9rocsparseL18bsrxmvn_4x4_kernelILj128ELj32EfllaafEEvT3_20rocsparse_direction_NS_24const_host_device_scalarIT1_EES1_PKS1_PKT2_SA_S7_PKT4_PKT5_S5_PT6_21rocsparse_index_base_b.num_agpr, 0
	.set _ZN9rocsparseL18bsrxmvn_4x4_kernelILj128ELj32EfllaafEEvT3_20rocsparse_direction_NS_24const_host_device_scalarIT1_EES1_PKS1_PKT2_SA_S7_PKT4_PKT5_S5_PT6_21rocsparse_index_base_b.numbered_sgpr, 18
	.set _ZN9rocsparseL18bsrxmvn_4x4_kernelILj128ELj32EfllaafEEvT3_20rocsparse_direction_NS_24const_host_device_scalarIT1_EES1_PKS1_PKT2_SA_S7_PKT4_PKT5_S5_PT6_21rocsparse_index_base_b.num_named_barrier, 0
	.set _ZN9rocsparseL18bsrxmvn_4x4_kernelILj128ELj32EfllaafEEvT3_20rocsparse_direction_NS_24const_host_device_scalarIT1_EES1_PKS1_PKT2_SA_S7_PKT4_PKT5_S5_PT6_21rocsparse_index_base_b.private_seg_size, 0
	.set _ZN9rocsparseL18bsrxmvn_4x4_kernelILj128ELj32EfllaafEEvT3_20rocsparse_direction_NS_24const_host_device_scalarIT1_EES1_PKS1_PKT2_SA_S7_PKT4_PKT5_S5_PT6_21rocsparse_index_base_b.uses_vcc, 1
	.set _ZN9rocsparseL18bsrxmvn_4x4_kernelILj128ELj32EfllaafEEvT3_20rocsparse_direction_NS_24const_host_device_scalarIT1_EES1_PKS1_PKT2_SA_S7_PKT4_PKT5_S5_PT6_21rocsparse_index_base_b.uses_flat_scratch, 0
	.set _ZN9rocsparseL18bsrxmvn_4x4_kernelILj128ELj32EfllaafEEvT3_20rocsparse_direction_NS_24const_host_device_scalarIT1_EES1_PKS1_PKT2_SA_S7_PKT4_PKT5_S5_PT6_21rocsparse_index_base_b.has_dyn_sized_stack, 0
	.set _ZN9rocsparseL18bsrxmvn_4x4_kernelILj128ELj32EfllaafEEvT3_20rocsparse_direction_NS_24const_host_device_scalarIT1_EES1_PKS1_PKT2_SA_S7_PKT4_PKT5_S5_PT6_21rocsparse_index_base_b.has_recursion, 0
	.set _ZN9rocsparseL18bsrxmvn_4x4_kernelILj128ELj32EfllaafEEvT3_20rocsparse_direction_NS_24const_host_device_scalarIT1_EES1_PKS1_PKT2_SA_S7_PKT4_PKT5_S5_PT6_21rocsparse_index_base_b.has_indirect_call, 0
	.section	.AMDGPU.csdata,"",@progbits
; Kernel info:
; codeLenInByte = 5428
; TotalNumSgprs: 20
; NumVgprs: 104
; ScratchSize: 0
; MemoryBound: 0
; FloatMode: 240
; IeeeMode: 1
; LDSByteSize: 0 bytes/workgroup (compile time only)
; SGPRBlocks: 0
; VGPRBlocks: 6
; NumSGPRsForWavesPerEU: 20
; NumVGPRsForWavesPerEU: 104
; NamedBarCnt: 0
; Occupancy: 9
; WaveLimiterHint : 1
; COMPUTE_PGM_RSRC2:SCRATCH_EN: 0
; COMPUTE_PGM_RSRC2:USER_SGPR: 2
; COMPUTE_PGM_RSRC2:TRAP_HANDLER: 0
; COMPUTE_PGM_RSRC2:TGID_X_EN: 1
; COMPUTE_PGM_RSRC2:TGID_Y_EN: 0
; COMPUTE_PGM_RSRC2:TGID_Z_EN: 0
; COMPUTE_PGM_RSRC2:TIDIG_COMP_CNT: 0
	.section	.text._ZN9rocsparseL18bsrxmvn_4x4_kernelILj128ELj64EfllaafEEvT3_20rocsparse_direction_NS_24const_host_device_scalarIT1_EES1_PKS1_PKT2_SA_S7_PKT4_PKT5_S5_PT6_21rocsparse_index_base_b,"axG",@progbits,_ZN9rocsparseL18bsrxmvn_4x4_kernelILj128ELj64EfllaafEEvT3_20rocsparse_direction_NS_24const_host_device_scalarIT1_EES1_PKS1_PKT2_SA_S7_PKT4_PKT5_S5_PT6_21rocsparse_index_base_b,comdat
	.globl	_ZN9rocsparseL18bsrxmvn_4x4_kernelILj128ELj64EfllaafEEvT3_20rocsparse_direction_NS_24const_host_device_scalarIT1_EES1_PKS1_PKT2_SA_S7_PKT4_PKT5_S5_PT6_21rocsparse_index_base_b ; -- Begin function _ZN9rocsparseL18bsrxmvn_4x4_kernelILj128ELj64EfllaafEEvT3_20rocsparse_direction_NS_24const_host_device_scalarIT1_EES1_PKS1_PKT2_SA_S7_PKT4_PKT5_S5_PT6_21rocsparse_index_base_b
	.p2align	8
	.type	_ZN9rocsparseL18bsrxmvn_4x4_kernelILj128ELj64EfllaafEEvT3_20rocsparse_direction_NS_24const_host_device_scalarIT1_EES1_PKS1_PKT2_SA_S7_PKT4_PKT5_S5_PT6_21rocsparse_index_base_b,@function
_ZN9rocsparseL18bsrxmvn_4x4_kernelILj128ELj64EfllaafEEvT3_20rocsparse_direction_NS_24const_host_device_scalarIT1_EES1_PKS1_PKT2_SA_S7_PKT4_PKT5_S5_PT6_21rocsparse_index_base_b: ; @_ZN9rocsparseL18bsrxmvn_4x4_kernelILj128ELj64EfllaafEEvT3_20rocsparse_direction_NS_24const_host_device_scalarIT1_EES1_PKS1_PKT2_SA_S7_PKT4_PKT5_S5_PT6_21rocsparse_index_base_b
; %bb.0:
	s_clause 0x2
	s_load_b64 s[2:3], s[0:1], 0x60
	s_load_b128 s[12:15], s[0:1], 0x10
	s_load_b64 s[16:17], s[0:1], 0x50
	s_wait_kmcnt 0x0
	s_bitcmp1_b32 s3, 0
	s_cselect_b32 s3, -1, 0
	s_delay_alu instid0(SALU_CYCLE_1)
	s_and_b32 vcc_lo, exec_lo, s3
	s_xor_b32 s3, s3, -1
	s_cbranch_vccnz .LBB89_2
; %bb.1:
	s_load_b32 s12, s[12:13], 0x0
.LBB89_2:
	s_and_not1_b32 vcc_lo, exec_lo, s3
	s_cbranch_vccnz .LBB89_4
; %bb.3:
	s_load_b32 s16, s[16:17], 0x0
.LBB89_4:
	s_wait_kmcnt 0x0
	s_cmp_neq_f32 s12, 0
	s_mov_b32 s6, 0
	s_cselect_b32 s3, -1, 0
	s_cmp_neq_f32 s16, 1.0
	s_cselect_b32 s4, -1, 0
	s_delay_alu instid0(SALU_CYCLE_1) | instskip(NEXT) | instid1(SALU_CYCLE_1)
	s_or_b32 s3, s3, s4
	s_and_not1_b32 vcc_lo, exec_lo, s3
	s_cbranch_vccnz .LBB89_10
; %bb.5:
	s_load_b64 s[4:5], s[0:1], 0x20
	s_bfe_u32 s3, ttmp6, 0x4000c
	s_and_b32 s7, ttmp6, 15
	s_add_co_i32 s3, s3, 1
	s_getreg_b32 s8, hwreg(HW_REG_IB_STS2, 6, 4)
	s_mul_i32 s3, ttmp9, s3
	v_dual_lshrrev_b32 v1, 6, v0 :: v_dual_mov_b32 v7, 0
	s_add_co_i32 s7, s7, s3
	s_cmp_eq_u32 s8, 0
	s_cselect_b32 s3, ttmp9, s7
	s_delay_alu instid0(VALU_DEP_1) | instid1(SALU_CYCLE_1)
	v_lshl_or_b32 v6, s3, 1, v1
	s_wait_kmcnt 0x0
	s_cmp_lg_u64 s[4:5], 0
	s_cbranch_scc0 .LBB89_11
; %bb.6:
	s_mov_b32 s7, 0
                                        ; implicit-def: $vgpr2_vgpr3
                                        ; implicit-def: $vgpr4_vgpr5
	s_mov_b32 s3, exec_lo
	v_cmpx_gt_i64_e64 s[14:15], v[6:7]
	s_xor_b32 s8, exec_lo, s3
	s_cbranch_execz .LBB89_8
; %bb.7:
	v_lshl_add_u64 v[2:3], v[6:7], 3, s[4:5]
	s_mov_b32 s3, 0
	s_mov_b32 s6, exec_lo
	v_mov_b64_e32 v[4:5], s[2:3]
	global_load_b64 v[2:3], v[2:3], off
	s_wait_loadcnt 0x0
	v_sub_nc_u64_e64 v[2:3], v[2:3], s[2:3]
.LBB89_8:
	s_or_b32 exec_lo, exec_lo, s8
	s_delay_alu instid0(SALU_CYCLE_1)
	s_and_b32 vcc_lo, exec_lo, s7
	s_cbranch_vccnz .LBB89_12
.LBB89_9:
	s_and_saveexec_b32 s2, s6
	s_cbranch_execnz .LBB89_15
.LBB89_10:
	s_sendmsg sendmsg(MSG_DEALLOC_VGPRS)
	s_endpgm
.LBB89_11:
                                        ; implicit-def: $vgpr2_vgpr3
                                        ; implicit-def: $vgpr4_vgpr5
	s_cbranch_execz .LBB89_9
.LBB89_12:
	s_load_b64 s[4:5], s[0:1], 0x0
	s_wait_kmcnt 0x0
	v_cmp_gt_i64_e32 vcc_lo, s[4:5], v[6:7]
	s_and_saveexec_b32 s4, vcc_lo
; %bb.13:
	s_mov_b32 s3, 0
	s_or_b32 s6, s6, exec_lo
; %bb.14:
	s_or_b32 exec_lo, exec_lo, s4
	v_mov_b64_e32 v[4:5], s[2:3]
	v_mov_b64_e32 v[2:3], v[6:7]
	s_and_saveexec_b32 s2, s6
	s_cbranch_execz .LBB89_10
.LBB89_15:
	s_load_b256 s[4:11], s[0:1], 0x28
	s_delay_alu instid0(VALU_DEP_1) | instskip(SKIP_2) | instid1(VALU_DEP_2)
	v_lshlrev_b64_e32 v[6:7], 3, v[2:3]
	v_dual_mov_b32 v1, 0 :: v_dual_bitop2_b32 v0, 63, v0 bitop3:0x40
	s_wait_kmcnt 0x0
	v_add_nc_u64_e32 v[8:9], s[4:5], v[6:7]
	v_add_nc_u64_e32 v[6:7], s[6:7], v[6:7]
	s_cmp_eq_u64 s[6:7], 0
	s_cselect_b32 vcc_lo, -1, 0
	s_delay_alu instid0(VALU_DEP_2)
	v_add_nc_u64_e32 v[10:11], 8, v[8:9]
	global_load_b64 v[16:17], v[8:9], off
	v_dual_cndmask_b32 v7, v7, v11 :: v_dual_cndmask_b32 v6, v6, v10
	global_load_b64 v[6:7], v[6:7], off
	s_clause 0x1
	s_load_b32 s3, s[0:1], 0x8
	s_load_b64 s[4:5], s[0:1], 0x48
	s_wait_kmcnt 0x0
	s_cmp_eq_u32 s3, 1
	s_wait_loadcnt 0x1
	v_sub_nc_u64_e32 v[8:9], v[16:17], v[4:5]
	s_delay_alu instid0(VALU_DEP_1) | instskip(SKIP_2) | instid1(VALU_DEP_2)
	v_add_nc_u64_e32 v[8:9], v[8:9], v[0:1]
	s_wait_loadcnt 0x0
	v_sub_nc_u64_e32 v[6:7], v[6:7], v[4:5]
	v_lshl_add_u64 v[10:11], v[8:9], 4, s[10:11]
	s_delay_alu instid0(VALU_DEP_2)
	v_cmp_lt_i64_e64 s2, v[8:9], v[6:7]
	s_cbranch_scc1 .LBB89_27
; %bb.16:
	v_dual_mov_b32 v15, v1 :: v_dual_mov_b32 v14, v1
	v_dual_mov_b32 v13, v1 :: v_dual_mov_b32 v12, v1
	s_and_saveexec_b32 s3, s2
	s_cbranch_execz .LBB89_26
; %bb.17:
	v_dual_mov_b32 v13, v1 :: v_dual_bitop2_b32 v12, 64, v0 bitop3:0x54
	v_sub_nc_u64_e32 v[14:15], v[4:5], v[0:1]
	v_not_b32_e32 v19, v17
	v_not_b32_e32 v18, v16
	v_mov_b64_e32 v[20:21], v[10:11]
	v_sub_nc_u64_e32 v[12:13], v[12:13], v[4:5]
	s_delay_alu instid0(VALU_DEP_3) | instskip(SKIP_1) | instid1(VALU_DEP_3)
	v_add_nc_u64_e32 v[14:15], v[14:15], v[18:19]
	v_mov_b64_e32 v[18:19], v[8:9]
	v_add_nc_u64_e32 v[12:13], v[12:13], v[16:17]
	s_delay_alu instid0(VALU_DEP_1) | instskip(NEXT) | instid1(VALU_DEP_1)
	v_max_i64 v[12:13], v[12:13], v[6:7]
	v_add_nc_u64_e32 v[22:23], v[14:15], v[12:13]
	v_mov_b32_e32 v13, 0
	s_delay_alu instid0(VALU_DEP_1) | instskip(NEXT) | instid1(VALU_DEP_3)
	v_mov_b32_e32 v14, v13
	v_and_b32_e32 v12, 0xc0, v22
	v_mov_b32_e32 v15, v13
	s_delay_alu instid0(VALU_DEP_2)
	v_cmp_ne_u64_e32 vcc_lo, 0xc0, v[12:13]
	v_mov_b32_e32 v12, v13
	s_and_saveexec_b32 s6, vcc_lo
	s_cbranch_execz .LBB89_21
; %bb.18:
	v_dual_mov_b32 v15, 0 :: v_dual_lshrrev_b32 v12, 6, v22
	v_mov_b64_e32 v[20:21], v[10:11]
	v_mov_b64_e32 v[18:19], v[8:9]
	v_lshl_add_u64 v[24:25], v[8:9], 3, s[8:9]
	s_delay_alu instid0(VALU_DEP_4) | instskip(SKIP_1) | instid1(VALU_DEP_1)
	v_add_nc_u32_e32 v12, 1, v12
	s_mov_b32 s7, 0
	v_dual_mov_b32 v13, v15 :: v_dual_bitop2_b32 v14, 3, v12 bitop3:0x40
	v_mov_b32_e32 v12, v15
	s_delay_alu instid0(VALU_DEP_2)
	v_sub_nc_u64_e32 v[26:27], 0, v[14:15]
	v_mov_b32_e32 v14, v15
.LBB89_19:                              ; =>This Inner Loop Header: Depth=1
	global_load_b64 v[28:29], v[24:25], off
	v_add_nc_u64_e32 v[26:27], 1, v[26:27]
	v_add_nc_u64_e32 v[18:19], 64, v[18:19]
	s_wait_xcnt 0x0
	v_add_nc_u64_e32 v[24:25], 0x200, v[24:25]
	s_delay_alu instid0(VALU_DEP_3) | instskip(SKIP_3) | instid1(VALU_DEP_1)
	v_cmp_eq_u64_e32 vcc_lo, 0, v[26:27]
	s_or_b32 s7, vcc_lo, s7
	s_wait_loadcnt 0x0
	v_sub_nc_u64_e32 v[28:29], v[28:29], v[4:5]
	v_lshl_add_u64 v[32:33], v[28:29], 2, s[4:5]
	global_load_b128 v[28:31], v[20:21], off
	global_load_b32 v34, v[32:33], off
	s_wait_xcnt 0x1
	v_add_nc_u64_e32 v[20:21], 0x400, v[20:21]
	s_wait_loadcnt 0x1
	s_wait_xcnt 0x0
	v_bfe_i32 v32, v28, 0, 8
	v_bfe_i32 v36, v29, 0, 8
	;; [unrolled: 1-line block ×4, first 2 shown]
	s_wait_loadcnt 0x0
	v_bfe_i32 v45, v34, 0, 8
	v_bfe_i32 v33, v28, 8, 8
	v_bfe_i32 v37, v29, 8, 8
	v_bfe_i32 v40, v30, 8, 8
	v_bfe_i32 v43, v31, 8, 8
	v_cvt_f32_i32_e32 v32, v32
	v_cvt_f32_i32_e32 v36, v36
	;; [unrolled: 1-line block ×4, first 2 shown]
	v_bfe_i32 v46, v34, 8, 8
	v_cvt_f32_i32_e32 v45, v45
	v_bfe_i32 v35, v28, 16, 8
	v_bfe_i32 v38, v29, 16, 8
	;; [unrolled: 1-line block ×4, first 2 shown]
	v_cvt_f32_i32_e32 v33, v33
	v_cvt_f32_i32_e32 v37, v37
	;; [unrolled: 1-line block ×4, first 2 shown]
	v_bfe_i32 v47, v34, 16, 8
	v_dual_ashrrev_i32 v34, 24, v34 :: v_dual_fmac_f32 v12, v32, v45
	v_cvt_f32_i32_e32 v46, v46
	v_dual_fmac_f32 v13, v36, v45 :: v_dual_fmac_f32 v14, v39, v45
	v_dual_fmac_f32 v15, v42, v45 :: v_dual_ashrrev_i32 v28, 24, v28
	v_dual_ashrrev_i32 v29, 24, v29 :: v_dual_ashrrev_i32 v30, 24, v30
	v_ashrrev_i32_e32 v31, 24, v31
	v_cvt_f32_i32_e32 v35, v35
	v_cvt_f32_i32_e32 v38, v38
	;; [unrolled: 1-line block ×5, first 2 shown]
	v_fmac_f32_e32 v12, v33, v46
	v_dual_fmac_f32 v13, v37, v46 :: v_dual_fmac_f32 v14, v40, v46
	v_fmac_f32_e32 v15, v43, v46
	v_cvt_f32_i32_e32 v28, v28
	v_cvt_f32_i32_e32 v29, v29
	;; [unrolled: 1-line block ×5, first 2 shown]
	v_dual_fmac_f32 v12, v35, v36 :: v_dual_fmac_f32 v14, v41, v36
	v_dual_fmac_f32 v13, v38, v36 :: v_dual_fmac_f32 v15, v44, v36
	s_delay_alu instid0(VALU_DEP_1) | instskip(NEXT) | instid1(VALU_DEP_2)
	v_pk_fma_f32 v[12:13], v[28:29], v[32:33], v[12:13] op_sel_hi:[1,0,1]
	v_pk_fma_f32 v[14:15], v[30:31], v[32:33], v[14:15] op_sel_hi:[1,0,1]
	s_and_not1_b32 exec_lo, exec_lo, s7
	s_cbranch_execnz .LBB89_19
; %bb.20:
	s_or_b32 exec_lo, exec_lo, s7
.LBB89_21:
	s_delay_alu instid0(SALU_CYCLE_1) | instskip(NEXT) | instid1(SALU_CYCLE_1)
	s_or_b32 exec_lo, exec_lo, s6
	s_mov_b32 s6, exec_lo
	v_cmpx_lt_u64_e32 0xbf, v[22:23]
	s_cbranch_execz .LBB89_25
; %bb.22:
	v_lshl_add_u64 v[22:23], v[18:19], 3, s[8:9]
	s_mov_b32 s7, 0
	s_delay_alu instid0(VALU_DEP_1)
	v_add_nc_u64_e32 v[22:23], 0x400, v[22:23]
.LBB89_23:                              ; =>This Inner Loop Header: Depth=1
	s_clause 0x3
	global_load_b128 v[24:27], v[20:21], off
	global_load_b128 v[28:31], v[20:21], off offset:3072
	global_load_b128 v[32:35], v[20:21], off offset:1024
	global_load_b128 v[36:39], v[20:21], off offset:2048
	v_add_nc_u64_e32 v[18:19], 0x100, v[18:19]
	s_wait_xcnt 0x0
	v_add_nc_u64_e32 v[20:21], 0x1000, v[20:21]
	s_delay_alu instid0(VALU_DEP_2)
	v_cmp_ge_i64_e32 vcc_lo, v[18:19], v[6:7]
	s_or_b32 s7, vcc_lo, s7
	s_wait_loadcnt 0x3
	v_bfe_i32 v40, v24, 0, 8
	v_bfe_i32 v62, v24, 8, 8
	;; [unrolled: 1-line block ×3, first 2 shown]
	v_dual_ashrrev_i32 v41, 24, v24 :: v_dual_ashrrev_i32 v43, 24, v25
	v_bfe_i32 v42, v25, 0, 8
	v_bfe_i32 v64, v25, 8, 8
	;; [unrolled: 1-line block ×6, first 2 shown]
	v_dual_ashrrev_i32 v45, 24, v26 :: v_dual_ashrrev_i32 v47, 24, v27
	v_bfe_i32 v46, v27, 0, 8
	v_bfe_i32 v68, v27, 8, 8
	;; [unrolled: 1-line block ×3, first 2 shown]
	s_wait_loadcnt 0x2
	v_bfe_i32 v52, v28, 16, 8
	v_bfe_i32 v73, v29, 0, 8
	;; [unrolled: 1-line block ×6, first 2 shown]
	s_wait_loadcnt 0x1
	v_dual_ashrrev_i32 v78, 24, v29 :: v_dual_ashrrev_i32 v81, 24, v35
	s_wait_loadcnt 0x0
	v_dual_ashrrev_i32 v90, 24, v38 :: v_dual_ashrrev_i32 v91, 24, v28
	v_bfe_i32 v92, v30, 16, 8
	v_bfe_i32 v93, v31, 0, 8
	v_bfe_i32 v94, v30, 0, 8
	v_bfe_i32 v95, v31, 8, 8
	v_bfe_i32 v96, v30, 8, 8
	v_bfe_i32 v97, v31, 16, 8
	v_dual_ashrrev_i32 v98, 24, v31 :: v_dual_ashrrev_i32 v99, 24, v30
	s_clause 0x3
	global_load_b64 v[24:25], v[22:23], off offset:-1024
	global_load_b64 v[26:27], v[22:23], off offset:-512
	global_load_b64 v[28:29], v[22:23], off
	global_load_b64 v[30:31], v[22:23], off offset:512
	v_bfe_i32 v70, v36, 16, 8
	v_cvt_f32_i32_e32 v62, v62
	v_cvt_f32_i32_e32 v65, v65
	v_bfe_i32 v48, v33, 0, 8
	v_bfe_i32 v49, v32, 0, 8
	;; [unrolled: 1-line block ×6, first 2 shown]
	v_dual_ashrrev_i32 v55, 24, v33 :: v_dual_ashrrev_i32 v56, 24, v32
	v_bfe_i32 v32, v35, 0, 8
	v_bfe_i32 v33, v34, 0, 8
	;; [unrolled: 1-line block ×7, first 2 shown]
	v_dual_ashrrev_i32 v71, 24, v37 :: v_dual_ashrrev_i32 v72, 24, v36
	v_bfe_i32 v36, v35, 8, 8
	v_bfe_i32 v37, v34, 8, 8
	;; [unrolled: 1-line block ×4, first 2 shown]
	v_dual_ashrrev_i32 v82, 24, v34 :: v_dual_ashrrev_i32 v89, 24, v39
	v_cvt_f32_i32_e32 v35, v36
	v_cvt_f32_i32_e32 v34, v37
	v_bfe_i32 v84, v38, 0, 8
	v_bfe_i32 v86, v38, 8, 8
	;; [unrolled: 1-line block ×3, first 2 shown]
	v_cvt_f32_i32_e32 v37, v53
	v_cvt_f32_i32_e32 v36, v54
	;; [unrolled: 1-line block ×4, first 2 shown]
	v_bfe_i32 v83, v39, 0, 8
	v_bfe_i32 v85, v39, 8, 8
	;; [unrolled: 1-line block ×3, first 2 shown]
	v_cvt_f32_i32_e32 v39, v55
	v_cvt_f32_i32_e32 v52, v52
	;; [unrolled: 1-line block ×5, first 2 shown]
	s_wait_xcnt 0x0
	v_add_nc_u64_e32 v[22:23], 0x800, v[22:23]
	s_wait_loadcnt 0x3
	v_sub_nc_u64_e32 v[24:25], v[24:25], v[4:5]
	s_delay_alu instid0(VALU_DEP_1)
	v_lshl_add_u64 v[24:25], v[24:25], 2, s[4:5]
	global_load_b32 v100, v[24:25], off
	s_wait_loadcnt 0x3
	s_wait_xcnt 0x0
	v_sub_nc_u64_e32 v[24:25], v[26:27], v[4:5]
	v_cvt_f32_i32_e32 v26, v45
	v_cvt_f32_i32_e32 v27, v47
	;; [unrolled: 1-line block ×5, first 2 shown]
	v_lshl_add_u64 v[24:25], v[24:25], 2, s[4:5]
	global_load_b32 v101, v[24:25], off
	s_wait_loadcnt 0x3
	s_wait_xcnt 0x0
	v_sub_nc_u64_e32 v[24:25], v[28:29], v[4:5]
	v_cvt_f32_i32_e32 v29, v48
	v_cvt_f32_i32_e32 v28, v49
	;; [unrolled: 1-line block ×4, first 2 shown]
	v_lshl_add_u64 v[24:25], v[24:25], 2, s[4:5]
	global_load_b32 v102, v[24:25], off
	s_wait_loadcnt 0x3
	s_wait_xcnt 0x0
	v_sub_nc_u64_e32 v[24:25], v[30:31], v[4:5]
	v_cvt_f32_i32_e32 v31, v32
	v_cvt_f32_i32_e32 v30, v33
	;; [unrolled: 1-line block ×6, first 2 shown]
	v_lshl_add_u64 v[24:25], v[24:25], 2, s[4:5]
	global_load_b32 v103, v[24:25], off
	s_wait_xcnt 0x0
	v_cvt_f32_i32_e32 v24, v40
	v_cvt_f32_i32_e32 v40, v58
	v_cvt_f32_i32_e32 v58, v82
	s_wait_loadcnt 0x3
	v_bfe_i32 v25, v100, 0, 8
	s_delay_alu instid0(VALU_DEP_1) | instskip(NEXT) | instid1(VALU_DEP_1)
	v_cvt_f32_i32_e32 v25, v25
	v_fmac_f32_e32 v12, v24, v25
	v_cvt_f32_i32_e32 v24, v42
	v_cvt_f32_i32_e32 v42, v60
	;; [unrolled: 1-line block ×3, first 2 shown]
	s_delay_alu instid0(VALU_DEP_3) | instskip(SKIP_3) | instid1(VALU_DEP_3)
	v_fmac_f32_e32 v13, v24, v25
	v_cvt_f32_i32_e32 v24, v44
	v_cvt_f32_i32_e32 v44, v70
	v_bfe_i32 v70, v100, 8, 8
	v_fmac_f32_e32 v14, v24, v25
	v_cvt_f32_i32_e32 v24, v46
	s_delay_alu instid0(VALU_DEP_3) | instskip(SKIP_1) | instid1(VALU_DEP_2)
	v_cvt_f32_i32_e32 v70, v70
	v_cvt_f32_i32_e32 v46, v72
	v_dual_fmac_f32 v15, v24, v25 :: v_dual_fmac_f32 v12, v62, v70
	v_cvt_f32_i32_e32 v62, v64
	v_cvt_f32_i32_e32 v64, v63
	v_cvt_f32_i32_e32 v24, v41
	v_cvt_f32_i32_e32 v25, v43
	v_cvt_f32_i32_e32 v41, v57
	v_fmac_f32_e32 v13, v62, v70
	v_cvt_f32_i32_e32 v62, v66
	v_cvt_f32_i32_e32 v66, v67
	;; [unrolled: 1-line block ×3, first 2 shown]
	s_wait_loadcnt 0x2
	v_bfe_i32 v69, v101, 0, 8
	v_cvt_f32_i32_e32 v57, v79
	v_fmac_f32_e32 v14, v62, v70
	v_cvt_f32_i32_e32 v62, v68
	v_cvt_f32_i32_e32 v43, v59
	;; [unrolled: 1-line block ×4, first 2 shown]
	s_delay_alu instid0(VALU_DEP_4) | instskip(SKIP_1) | instid1(VALU_DEP_1)
	v_fmac_f32_e32 v15, v62, v70
	v_bfe_i32 v62, v100, 16, 8
	v_cvt_f32_i32_e32 v62, v62
	s_delay_alu instid0(VALU_DEP_1) | instskip(SKIP_1) | instid1(VALU_DEP_2)
	v_dual_ashrrev_i32 v68, 24, v100 :: v_dual_fmac_f32 v12, v64, v62
	v_dual_fmac_f32 v13, v65, v62 :: v_dual_fmac_f32 v14, v66, v62
	v_cvt_f32_i32_e32 v64, v68
	v_bfe_i32 v65, v101, 8, 8
	v_fmac_f32_e32 v15, v67, v62
	v_cvt_f32_i32_e32 v66, v69
	v_cvt_f32_i32_e32 v62, v86
	s_delay_alu instid0(VALU_DEP_4) | instskip(SKIP_2) | instid1(VALU_DEP_3)
	v_pk_fma_f32 v[12:13], v[24:25], v[64:65], v[12:13] op_sel_hi:[1,0,1]
	v_cvt_f32_i32_e32 v25, v87
	v_cvt_f32_i32_e32 v24, v88
	v_pk_fma_f32 v[12:13], v[28:29], v[66:67], v[12:13] op_sel_hi:[1,0,1]
	v_ashrrev_i32_e32 v29, 24, v101
	v_pk_fma_f32 v[14:15], v[26:27], v[64:65], v[14:15] op_sel_hi:[1,0,1]
	v_bfe_i32 v27, v101, 16, 8
	v_cvt_f32_i32_e32 v26, v65
	s_delay_alu instid0(VALU_DEP_3) | instskip(NEXT) | instid1(VALU_DEP_3)
	v_pk_fma_f32 v[14:15], v[30:31], v[66:67], v[14:15] op_sel_hi:[1,0,1]
	v_cvt_f32_i32_e32 v28, v27
	s_delay_alu instid0(VALU_DEP_3)
	v_pk_fma_f32 v[12:13], v[32:33], v[26:27], v[12:13] op_sel_hi:[1,0,1]
	v_cvt_f32_i32_e32 v30, v29
	s_wait_loadcnt 0x1
	v_bfe_i32 v31, v102, 8, 8
	v_pk_fma_f32 v[14:15], v[34:35], v[26:27], v[14:15] op_sel_hi:[1,0,1]
	v_bfe_i32 v27, v102, 0, 8
	v_pk_fma_f32 v[12:13], v[36:37], v[28:29], v[12:13] op_sel_hi:[1,0,1]
	v_cvt_f32_i32_e32 v26, v92
	s_delay_alu instid0(VALU_DEP_4) | instskip(NEXT) | instid1(VALU_DEP_4)
	v_pk_fma_f32 v[14:15], v[56:57], v[28:29], v[14:15] op_sel_hi:[1,0,1]
	v_cvt_f32_i32_e32 v32, v27
	s_delay_alu instid0(VALU_DEP_4)
	v_pk_fma_f32 v[12:13], v[38:39], v[30:31], v[12:13] op_sel_hi:[1,0,1]
	v_bfe_i32 v27, v102, 16, 8
	v_cvt_f32_i32_e32 v29, v89
	v_pk_fma_f32 v[14:15], v[58:59], v[30:31], v[14:15] op_sel_hi:[1,0,1]
	v_cvt_f32_i32_e32 v30, v31
	v_pk_fma_f32 v[12:13], v[40:41], v[32:33], v[12:13] op_sel_hi:[1,0,1]
	v_cvt_f32_i32_e32 v31, v93
	v_cvt_f32_i32_e32 v28, v90
	v_pk_fma_f32 v[14:15], v[60:61], v[32:33], v[14:15] op_sel_hi:[1,0,1]
	v_ashrrev_i32_e32 v33, 24, v102
	v_cvt_f32_i32_e32 v32, v27
	v_pk_fma_f32 v[12:13], v[42:43], v[30:31], v[12:13] op_sel_hi:[1,0,1]
	s_wait_loadcnt 0x0
	v_bfe_i32 v27, v103, 0, 8
	v_pk_fma_f32 v[14:15], v[62:63], v[30:31], v[14:15] op_sel_hi:[1,0,1]
	v_cvt_f32_i32_e32 v34, v33
	v_cvt_f32_i32_e32 v30, v94
	v_pk_fma_f32 v[12:13], v[44:45], v[32:33], v[12:13] op_sel_hi:[1,0,1]
	s_delay_alu instid0(VALU_DEP_4) | instskip(SKIP_2) | instid1(VALU_DEP_4)
	v_pk_fma_f32 v[14:15], v[24:25], v[32:33], v[14:15] op_sel_hi:[1,0,1]
	v_bfe_i32 v33, v103, 8, 8
	v_cvt_f32_i32_e32 v32, v27
	v_pk_fma_f32 v[12:13], v[46:47], v[34:35], v[12:13] op_sel_hi:[1,0,1]
	v_cvt_f32_i32_e32 v25, v95
	v_pk_fma_f32 v[14:15], v[28:29], v[34:35], v[14:15] op_sel_hi:[1,0,1]
	v_cvt_f32_i32_e32 v24, v96
	v_bfe_i32 v29, v103, 16, 8
	v_cvt_f32_i32_e32 v28, v33
	v_pk_fma_f32 v[12:13], v[48:49], v[32:33], v[12:13] op_sel_hi:[1,0,1]
	v_pk_fma_f32 v[14:15], v[30:31], v[32:33], v[14:15] op_sel_hi:[1,0,1]
	v_cvt_f32_i32_e32 v27, v97
	v_ashrrev_i32_e32 v31, 24, v103
	v_cvt_f32_i32_e32 v30, v29
	v_pk_fma_f32 v[12:13], v[50:51], v[28:29], v[12:13] op_sel_hi:[1,0,1]
	v_pk_fma_f32 v[14:15], v[24:25], v[28:29], v[14:15] op_sel_hi:[1,0,1]
	v_cvt_f32_i32_e32 v25, v98
	v_cvt_f32_i32_e32 v24, v99
	;; [unrolled: 1-line block ×3, first 2 shown]
	v_pk_fma_f32 v[12:13], v[52:53], v[30:31], v[12:13] op_sel_hi:[1,0,1]
	v_pk_fma_f32 v[14:15], v[26:27], v[30:31], v[14:15] op_sel_hi:[1,0,1]
	s_delay_alu instid0(VALU_DEP_2) | instskip(NEXT) | instid1(VALU_DEP_2)
	v_pk_fma_f32 v[12:13], v[54:55], v[28:29], v[12:13] op_sel_hi:[1,0,1]
	v_pk_fma_f32 v[14:15], v[24:25], v[28:29], v[14:15] op_sel_hi:[1,0,1]
	s_and_not1_b32 exec_lo, exec_lo, s7
	s_cbranch_execnz .LBB89_23
; %bb.24:
	s_or_b32 exec_lo, exec_lo, s7
.LBB89_25:
	s_delay_alu instid0(SALU_CYCLE_1)
	s_or_b32 exec_lo, exec_lo, s6
.LBB89_26:
	s_delay_alu instid0(SALU_CYCLE_1)
	s_or_b32 exec_lo, exec_lo, s3
	s_cbranch_execz .LBB89_28
	s_branch .LBB89_39
.LBB89_27:
                                        ; implicit-def: $vgpr15
                                        ; implicit-def: $vgpr13
.LBB89_28:
	v_dual_mov_b32 v15, 0 :: v_dual_mov_b32 v14, 0
	v_dual_mov_b32 v13, 0 :: v_dual_mov_b32 v12, 0
	s_and_saveexec_b32 s3, s2
	s_cbranch_execz .LBB89_38
; %bb.29:
	v_dual_mov_b32 v13, v1 :: v_dual_bitop2_b32 v12, 64, v0 bitop3:0x54
	v_sub_nc_u64_e32 v[14:15], v[4:5], v[0:1]
	s_delay_alu instid0(VALU_DEP_2) | instskip(NEXT) | instid1(VALU_DEP_1)
	v_sub_nc_u64_e32 v[12:13], v[12:13], v[4:5]
	v_add_nc_u64_e32 v[12:13], v[12:13], v[16:17]
	v_not_b32_e32 v17, v17
	v_not_b32_e32 v16, v16
	s_delay_alu instid0(VALU_DEP_1) | instskip(NEXT) | instid1(VALU_DEP_4)
	v_add_nc_u64_e32 v[14:15], v[14:15], v[16:17]
	v_max_i64 v[12:13], v[12:13], v[6:7]
	s_delay_alu instid0(VALU_DEP_1) | instskip(SKIP_2) | instid1(VALU_DEP_2)
	v_add_nc_u64_e32 v[18:19], v[14:15], v[12:13]
	v_mov_b32_e32 v14, 0
	v_mov_b64_e32 v[12:13], 0
	v_mov_b32_e32 v17, v14
	s_delay_alu instid0(VALU_DEP_4) | instskip(NEXT) | instid1(VALU_DEP_1)
	v_and_b32_e32 v16, 0xc0, v18
	v_cmp_ne_u64_e32 vcc_lo, 0xc0, v[16:17]
	v_mov_b64_e32 v[16:17], 0
	s_and_saveexec_b32 s2, vcc_lo
	s_cbranch_execz .LBB89_33
; %bb.30:
	v_dual_lshrrev_b32 v1, 6, v18 :: v_dual_mov_b32 v13, v14
	v_lshl_add_u64 v[16:17], v[8:9], 3, s[8:9]
	s_mov_b32 s6, 0
	s_delay_alu instid0(VALU_DEP_2) | instskip(NEXT) | instid1(VALU_DEP_1)
	v_dual_mov_b32 v15, v14 :: v_dual_add_nc_u32 v1, 1, v1
	v_and_b32_e32 v12, 3, v1
	s_delay_alu instid0(VALU_DEP_1)
	v_sub_nc_u64_e32 v[20:21], 0, v[12:13]
	v_mov_b32_e32 v12, v14
.LBB89_31:                              ; =>This Inner Loop Header: Depth=1
	global_load_b64 v[22:23], v[16:17], off
	v_add_nc_u64_e32 v[20:21], 1, v[20:21]
	v_add_nc_u64_e32 v[8:9], 64, v[8:9]
	s_wait_xcnt 0x0
	v_add_nc_u64_e32 v[16:17], 0x200, v[16:17]
	s_delay_alu instid0(VALU_DEP_3) | instskip(SKIP_3) | instid1(VALU_DEP_1)
	v_cmp_eq_u64_e32 vcc_lo, 0, v[20:21]
	s_or_b32 s6, vcc_lo, s6
	s_wait_loadcnt 0x0
	v_sub_nc_u64_e32 v[22:23], v[22:23], v[4:5]
	v_lshl_add_u64 v[26:27], v[22:23], 2, s[4:5]
	global_load_b128 v[22:25], v[10:11], off
	global_load_b32 v1, v[26:27], off
	s_wait_xcnt 0x1
	v_add_nc_u64_e32 v[10:11], 0x400, v[10:11]
	s_wait_loadcnt 0x1
	s_wait_xcnt 0x0
	v_bfe_i32 v26, v22, 8, 8
	v_bfe_i32 v31, v24, 0, 8
	v_dual_ashrrev_i32 v32, 24, v22 :: v_dual_ashrrev_i32 v34, 24, v23
	v_bfe_i32 v27, v22, 0, 8
	v_bfe_i32 v28, v23, 8, 8
	;; [unrolled: 1-line block ×6, first 2 shown]
	v_dual_ashrrev_i32 v36, 24, v24 :: v_dual_ashrrev_i32 v40, 24, v25
	v_bfe_i32 v38, v25, 8, 8
	v_cvt_f32_i32_e32 v23, v26
	v_cvt_f32_i32_e32 v26, v31
	;; [unrolled: 1-line block ×3, first 2 shown]
	s_wait_loadcnt 0x0
	v_bfe_i32 v34, v1, 0, 8
	v_bfe_i32 v37, v24, 16, 8
	;; [unrolled: 1-line block ×4, first 2 shown]
	v_cvt_f32_i32_e32 v22, v27
	v_cvt_f32_i32_e32 v25, v28
	;; [unrolled: 1-line block ×8, first 2 shown]
	v_bfe_i32 v36, v1, 8, 8
	v_cvt_f32_i32_e32 v34, v34
	v_cvt_f32_i32_e32 v35, v38
	;; [unrolled: 1-line block ×3, first 2 shown]
	v_bfe_i32 v37, v1, 16, 8
	v_cvt_f32_i32_e32 v36, v36
	v_ashrrev_i32_e32 v1, 24, v1
	v_pk_fma_f32 v[12:13], v[22:23], v[34:35], v[12:13] op_sel_hi:[1,0,1]
	v_pk_fma_f32 v[14:15], v[28:29], v[34:35], v[14:15] op_sel_hi:[1,0,1]
	v_cvt_f32_i32_e32 v22, v37
	v_cvt_f32_i32_e32 v34, v39
	;; [unrolled: 1-line block ×3, first 2 shown]
	v_pk_fma_f32 v[12:13], v[24:25], v[36:37], v[12:13] op_sel_hi:[1,0,1]
	v_pk_fma_f32 v[14:15], v[30:31], v[36:37], v[14:15] op_sel_hi:[1,0,1]
	v_cvt_f32_i32_e32 v25, v40
	v_cvt_f32_i32_e32 v24, v41
	s_delay_alu instid0(VALU_DEP_4) | instskip(NEXT) | instid1(VALU_DEP_4)
	v_pk_fma_f32 v[12:13], v[26:27], v[22:23], v[12:13] op_sel_hi:[1,0,1]
	v_pk_fma_f32 v[14:15], v[32:33], v[22:23], v[14:15] op_sel_hi:[1,0,1]
	s_delay_alu instid0(VALU_DEP_2) | instskip(NEXT) | instid1(VALU_DEP_2)
	v_pk_fma_f32 v[12:13], v[34:35], v[28:29], v[12:13] op_sel_hi:[1,0,1]
	v_pk_fma_f32 v[14:15], v[24:25], v[28:29], v[14:15] op_sel_hi:[1,0,1]
	s_and_not1_b32 exec_lo, exec_lo, s6
	s_cbranch_execnz .LBB89_31
; %bb.32:
	s_or_b32 exec_lo, exec_lo, s6
	s_delay_alu instid0(VALU_DEP_1)
	v_mov_b64_e32 v[16:17], v[14:15]
.LBB89_33:
	s_or_b32 exec_lo, exec_lo, s2
	s_delay_alu instid0(SALU_CYCLE_1)
	s_mov_b32 s2, exec_lo
	v_cmpx_lt_u64_e32 0xbf, v[18:19]
	s_cbranch_execz .LBB89_37
; %bb.34:
	v_lshl_add_u64 v[14:15], v[8:9], 3, s[8:9]
	s_mov_b32 s6, 0
	s_delay_alu instid0(VALU_DEP_1)
	v_add_nc_u64_e32 v[14:15], 0x400, v[14:15]
.LBB89_35:                              ; =>This Inner Loop Header: Depth=1
	s_clause 0x3
	global_load_b64 v[30:31], v[14:15], off offset:-1024
	global_load_b64 v[32:33], v[14:15], off offset:-512
	global_load_b64 v[34:35], v[14:15], off
	global_load_b64 v[36:37], v[14:15], off offset:512
	s_clause 0x2
	global_load_b128 v[18:21], v[10:11], off
	global_load_b128 v[22:25], v[10:11], off offset:1024
	global_load_b128 v[26:29], v[10:11], off offset:2048
	v_add_nc_u64_e32 v[8:9], 0x100, v[8:9]
	s_wait_xcnt 0x3
	v_add_nc_u64_e32 v[14:15], 0x800, v[14:15]
	s_delay_alu instid0(VALU_DEP_2)
	v_cmp_ge_i64_e32 vcc_lo, v[8:9], v[6:7]
	s_or_b32 s6, vcc_lo, s6
	s_wait_loadcnt 0x6
	v_sub_nc_u64_e32 v[30:31], v[30:31], v[4:5]
	s_wait_loadcnt 0x5
	v_sub_nc_u64_e32 v[32:33], v[32:33], v[4:5]
	;; [unrolled: 2-line block ×4, first 2 shown]
	s_wait_loadcnt 0x2
	v_dual_ashrrev_i32 v44, 24, v20 :: v_dual_ashrrev_i32 v48, 24, v21
	v_bfe_i32 v45, v20, 16, 8
	v_lshl_add_u64 v[38:39], v[30:31], 2, s[4:5]
	v_lshl_add_u64 v[40:41], v[32:33], 2, s[4:5]
	;; [unrolled: 1-line block ×4, first 2 shown]
	v_bfe_i32 v43, v19, 16, 8
	s_clause 0x2
	global_load_b32 v1, v[38:39], off
	global_load_b32 v61, v[40:41], off
	;; [unrolled: 1-line block ×3, first 2 shown]
	global_load_b128 v[30:33], v[10:11], off offset:3072
	global_load_b32 v63, v[36:37], off
	s_wait_xcnt 0x2
	v_bfe_i32 v34, v18, 8, 8
	v_bfe_i32 v35, v18, 0, 8
	;; [unrolled: 1-line block ×4, first 2 shown]
	s_wait_xcnt 0x0
	v_bfe_i32 v36, v19, 8, 8
	v_bfe_i32 v37, v19, 0, 8
	v_dual_ashrrev_i32 v40, 24, v18 :: v_dual_ashrrev_i32 v42, 24, v19
	v_bfe_i32 v41, v18, 16, 8
	v_cvt_f32_i32_e32 v19, v34
	v_cvt_f32_i32_e32 v18, v35
	s_wait_loadcnt 0x5
	v_bfe_i32 v60, v27, 8, 8
	v_bfe_i32 v46, v21, 8, 8
	;; [unrolled: 1-line block ×13, first 2 shown]
	v_dual_ashrrev_i32 v72, 24, v22 :: v_dual_ashrrev_i32 v74, 24, v23
	v_bfe_i32 v73, v22, 16, 8
	v_bfe_i32 v75, v23, 16, 8
	v_dual_ashrrev_i32 v76, 24, v24 :: v_dual_ashrrev_i32 v78, 24, v25
	v_bfe_i32 v77, v24, 16, 8
	v_bfe_i32 v79, v25, 16, 8
	v_cvt_f32_i32_e32 v23, v46
	v_cvt_f32_i32_e32 v22, v47
	v_cvt_f32_i32_e32 v25, v48
	v_cvt_f32_i32_e32 v24, v49
	v_bfe_i32 v58, v26, 8, 8
	v_bfe_i32 v59, v26, 0, 8
	;; [unrolled: 1-line block ×6, first 2 shown]
	v_dual_ashrrev_i32 v80, 24, v26 :: v_dual_ashrrev_i32 v82, 24, v27
	v_bfe_i32 v81, v26, 16, 8
	v_bfe_i32 v83, v27, 16, 8
	v_dual_ashrrev_i32 v84, 24, v28 :: v_dual_ashrrev_i32 v86, 24, v29
	v_bfe_i32 v85, v28, 16, 8
	v_bfe_i32 v87, v29, 16, 8
	v_cvt_f32_i32_e32 v27, v50
	v_cvt_f32_i32_e32 v26, v51
	;; [unrolled: 1-line block ×10, first 2 shown]
	v_add_nc_u64_e32 v[10:11], 0x1000, v[10:11]
	s_wait_loadcnt 0x4
	v_bfe_i32 v20, v1, 0, 8
	s_wait_loadcnt 0x1
	v_bfe_i32 v69, v30, 8, 8
	v_bfe_i32 v70, v30, 0, 8
	s_delay_alu instid0(VALU_DEP_3) | instskip(SKIP_3) | instid1(VALU_DEP_4)
	v_cvt_f32_i32_e32 v20, v20
	v_bfe_i32 v71, v31, 8, 8
	v_bfe_i32 v88, v31, 0, 8
	v_dual_ashrrev_i32 v89, 24, v30 :: v_dual_ashrrev_i32 v91, 24, v31
	v_pk_fma_f32 v[12:13], v[18:19], v[20:21], v[12:13] op_sel_hi:[1,0,1]
	v_cvt_f32_i32_e32 v19, v40
	v_cvt_f32_i32_e32 v18, v41
	;; [unrolled: 1-line block ×3, first 2 shown]
	v_bfe_i32 v60, v1, 16, 8
	v_cvt_f32_i32_e32 v40, v64
	v_bfe_i32 v64, v61, 0, 8
	v_pk_fma_f32 v[16:17], v[18:19], v[20:21], v[16:17] op_sel_hi:[1,0,1]
	v_bfe_i32 v20, v1, 8, 8
	v_cvt_f32_i32_e32 v19, v36
	v_cvt_f32_i32_e32 v18, v37
	v_ashrrev_i32_e32 v1, 24, v1
	v_cvt_f32_i32_e32 v60, v60
	v_cvt_f32_i32_e32 v20, v20
	v_bfe_i32 v90, v30, 16, 8
	v_bfe_i32 v92, v31, 16, 8
	;; [unrolled: 1-line block ×4, first 2 shown]
	v_pk_fma_f32 v[12:13], v[18:19], v[20:21], v[12:13] op_sel_hi:[1,0,1]
	v_cvt_f32_i32_e32 v19, v42
	v_cvt_f32_i32_e32 v18, v43
	v_dual_ashrrev_i32 v95, 24, v32 :: v_dual_ashrrev_i32 v99, 24, v33
	v_bfe_i32 v96, v32, 16, 8
	v_bfe_i32 v97, v33, 8, 8
	s_delay_alu instid0(VALU_DEP_4)
	v_pk_fma_f32 v[16:17], v[18:19], v[20:21], v[16:17] op_sel_hi:[1,0,1]
	v_cvt_f32_i32_e32 v19, v38
	v_cvt_f32_i32_e32 v18, v39
	;; [unrolled: 1-line block ×4, first 2 shown]
	v_bfe_i32 v98, v33, 0, 8
	v_bfe_i32 v100, v33, 16, 8
	v_pk_fma_f32 v[12:13], v[18:19], v[60:61], v[12:13] op_sel_hi:[1,0,1]
	v_cvt_f32_i32_e32 v31, v52
	v_pk_fma_f32 v[16:17], v[20:21], v[60:61], v[16:17] op_sel_hi:[1,0,1]
	v_cvt_f32_i32_e32 v20, v1
	v_bfe_i32 v1, v61, 8, 8
	v_cvt_f32_i32_e32 v60, v64
	v_cvt_f32_i32_e32 v30, v53
	;; [unrolled: 1-line block ×3, first 2 shown]
	v_pk_fma_f32 v[12:13], v[22:23], v[20:21], v[12:13] op_sel_hi:[1,0,1]
	v_pk_fma_f32 v[16:17], v[24:25], v[20:21], v[16:17] op_sel_hi:[1,0,1]
	v_cvt_f32_i32_e32 v32, v75
	v_bfe_i32 v23, v61, 16, 8
	v_cvt_f32_i32_e32 v22, v1
	v_pk_fma_f32 v[12:13], v[26:27], v[60:61], v[12:13] op_sel_hi:[1,0,1]
	v_pk_fma_f32 v[16:17], v[28:29], v[60:61], v[16:17] op_sel_hi:[1,0,1]
	v_ashrrev_i32_e32 v1, 24, v61
	v_cvt_f32_i32_e32 v24, v23
	v_bfe_i32 v25, v62, 0, 8
	v_pk_fma_f32 v[12:13], v[30:31], v[22:23], v[12:13] op_sel_hi:[1,0,1]
	v_pk_fma_f32 v[16:17], v[32:33], v[22:23], v[16:17] op_sel_hi:[1,0,1]
	v_cvt_f32_i32_e32 v37, v56
	v_cvt_f32_i32_e32 v36, v57
	v_cvt_f32_i32_e32 v53, v78
	v_cvt_f32_i32_e32 v52, v79
	v_cvt_f32_i32_e32 v26, v1
	v_pk_fma_f32 v[12:13], v[34:35], v[24:25], v[12:13] op_sel_hi:[1,0,1]
	v_pk_fma_f32 v[16:17], v[50:51], v[24:25], v[16:17] op_sel_hi:[1,0,1]
	v_cvt_f32_i32_e32 v39, v58
	v_cvt_f32_i32_e32 v38, v59
	v_bfe_i32 v1, v62, 8, 8
	v_cvt_f32_i32_e32 v24, v25
	v_pk_fma_f32 v[12:13], v[36:37], v[26:27], v[12:13] op_sel_hi:[1,0,1]
	v_pk_fma_f32 v[16:17], v[52:53], v[26:27], v[16:17] op_sel_hi:[1,0,1]
	v_cvt_f32_i32_e32 v25, v93
	v_cvt_f32_i32_e32 v57, v82
	;; [unrolled: 1-line block ×3, first 2 shown]
	v_bfe_i32 v27, v62, 16, 8
	v_cvt_f32_i32_e32 v26, v1
	v_pk_fma_f32 v[12:13], v[38:39], v[24:25], v[12:13] op_sel_hi:[1,0,1]
	v_pk_fma_f32 v[16:17], v[54:55], v[24:25], v[16:17] op_sel_hi:[1,0,1]
	v_cvt_f32_i32_e32 v43, v65
	v_cvt_f32_i32_e32 v42, v66
	;; [unrolled: 1-line block ×4, first 2 shown]
	v_ashrrev_i32_e32 v1, 24, v62
	v_cvt_f32_i32_e32 v28, v27
	v_pk_fma_f32 v[12:13], v[40:41], v[26:27], v[12:13] op_sel_hi:[1,0,1]
	v_pk_fma_f32 v[16:17], v[56:57], v[26:27], v[16:17] op_sel_hi:[1,0,1]
	s_wait_loadcnt 0x0
	v_bfe_i32 v29, v63, 0, 8
	v_cvt_f32_i32_e32 v45, v67
	v_cvt_f32_i32_e32 v44, v68
	;; [unrolled: 1-line block ×5, first 2 shown]
	v_pk_fma_f32 v[12:13], v[42:43], v[28:29], v[12:13] op_sel_hi:[1,0,1]
	v_pk_fma_f32 v[16:17], v[58:59], v[28:29], v[16:17] op_sel_hi:[1,0,1]
	v_cvt_f32_i32_e32 v47, v69
	v_cvt_f32_i32_e32 v46, v70
	v_cvt_f32_i32_e32 v21, v89
	v_cvt_f32_i32_e32 v20, v90
	v_bfe_i32 v1, v63, 8, 8
	v_cvt_f32_i32_e32 v28, v29
	v_pk_fma_f32 v[12:13], v[44:45], v[30:31], v[12:13] op_sel_hi:[1,0,1]
	v_pk_fma_f32 v[16:17], v[18:19], v[30:31], v[16:17] op_sel_hi:[1,0,1]
	v_bfe_i32 v29, v63, 16, 8
	v_cvt_f32_i32_e32 v49, v71
	v_cvt_f32_i32_e32 v48, v88
	;; [unrolled: 1-line block ×5, first 2 shown]
	v_pk_fma_f32 v[12:13], v[46:47], v[28:29], v[12:13] op_sel_hi:[1,0,1]
	v_pk_fma_f32 v[16:17], v[20:21], v[28:29], v[16:17] op_sel_hi:[1,0,1]
	v_cvt_f32_i32_e32 v24, v94
	v_cvt_f32_i32_e32 v27, v95
	;; [unrolled: 1-line block ×3, first 2 shown]
	v_ashrrev_i32_e32 v1, 24, v63
	v_cvt_f32_i32_e32 v20, v29
	v_pk_fma_f32 v[12:13], v[48:49], v[30:31], v[12:13] op_sel_hi:[1,0,1]
	v_pk_fma_f32 v[16:17], v[22:23], v[30:31], v[16:17] op_sel_hi:[1,0,1]
	v_cvt_f32_i32_e32 v19, v97
	v_cvt_f32_i32_e32 v18, v98
	;; [unrolled: 1-line block ×5, first 2 shown]
	v_pk_fma_f32 v[12:13], v[24:25], v[20:21], v[12:13] op_sel_hi:[1,0,1]
	v_pk_fma_f32 v[16:17], v[26:27], v[20:21], v[16:17] op_sel_hi:[1,0,1]
	s_delay_alu instid0(VALU_DEP_2) | instskip(NEXT) | instid1(VALU_DEP_2)
	v_pk_fma_f32 v[12:13], v[18:19], v[28:29], v[12:13] op_sel_hi:[1,0,1]
	v_pk_fma_f32 v[16:17], v[22:23], v[28:29], v[16:17] op_sel_hi:[1,0,1]
	s_and_not1_b32 exec_lo, exec_lo, s6
	s_cbranch_execnz .LBB89_35
; %bb.36:
	s_or_b32 exec_lo, exec_lo, s6
	s_delay_alu instid0(VALU_DEP_1)
	v_dual_mov_b32 v15, v17 :: v_dual_mov_b32 v14, v16
.LBB89_37:
	s_or_b32 exec_lo, exec_lo, s2
.LBB89_38:
	s_delay_alu instid0(SALU_CYCLE_1)
	s_or_b32 exec_lo, exec_lo, s3
.LBB89_39:
	v_mbcnt_lo_u32_b32 v1, -1, 0
	s_mov_b32 s2, -1
	s_delay_alu instid0(VALU_DEP_1) | instskip(SKIP_1) | instid1(VALU_DEP_1)
	v_xor_b32_e32 v8, 16, v1
	v_or_b32_e32 v4, 32, v1
	v_cmp_gt_i32_e32 vcc_lo, 32, v4
	v_cndmask_b32_e32 v4, v1, v4, vcc_lo
	s_delay_alu instid0(VALU_DEP_4) | instskip(NEXT) | instid1(VALU_DEP_2)
	v_cmp_gt_i32_e32 vcc_lo, 32, v8
	v_lshlrev_b32_e32 v7, 2, v4
	v_cndmask_b32_e32 v8, v1, v8, vcc_lo
	ds_bpermute_b32 v4, v7, v12
	ds_bpermute_b32 v5, v7, v13
	ds_bpermute_b32 v6, v7, v14
	ds_bpermute_b32 v7, v7, v15
	v_lshlrev_b32_e32 v11, 2, v8
	s_wait_dscnt 0x2
	v_pk_add_f32 v[4:5], v[12:13], v[4:5]
	v_xor_b32_e32 v12, 8, v1
	s_wait_dscnt 0x0
	v_pk_add_f32 v[6:7], v[14:15], v[6:7]
	ds_bpermute_b32 v8, v11, v4
	ds_bpermute_b32 v9, v11, v5
	;; [unrolled: 1-line block ×4, first 2 shown]
	v_cmp_gt_i32_e32 vcc_lo, 32, v12
	v_cndmask_b32_e32 v12, v1, v12, vcc_lo
	s_delay_alu instid0(VALU_DEP_1)
	v_lshlrev_b32_e32 v12, 2, v12
	s_wait_dscnt 0x2
	v_pk_add_f32 v[4:5], v[4:5], v[8:9]
	s_wait_dscnt 0x0
	v_pk_add_f32 v[6:7], v[6:7], v[10:11]
	ds_bpermute_b32 v8, v12, v4
	ds_bpermute_b32 v9, v12, v5
	;; [unrolled: 1-line block ×4, first 2 shown]
	v_xor_b32_e32 v12, 4, v1
	s_delay_alu instid0(VALU_DEP_1) | instskip(SKIP_1) | instid1(VALU_DEP_1)
	v_cmp_gt_i32_e32 vcc_lo, 32, v12
	v_cndmask_b32_e32 v12, v1, v12, vcc_lo
	v_lshlrev_b32_e32 v12, 2, v12
	s_wait_dscnt 0x2
	v_pk_add_f32 v[4:5], v[4:5], v[8:9]
	s_wait_dscnt 0x0
	v_pk_add_f32 v[6:7], v[6:7], v[10:11]
	ds_bpermute_b32 v8, v12, v4
	ds_bpermute_b32 v9, v12, v5
	;; [unrolled: 1-line block ×4, first 2 shown]
	v_xor_b32_e32 v12, 2, v1
	s_delay_alu instid0(VALU_DEP_1) | instskip(SKIP_1) | instid1(VALU_DEP_1)
	v_cmp_gt_i32_e32 vcc_lo, 32, v12
	v_cndmask_b32_e32 v12, v1, v12, vcc_lo
	v_lshlrev_b32_e32 v12, 2, v12
	s_wait_dscnt 0x2
	v_pk_add_f32 v[4:5], v[4:5], v[8:9]
	s_wait_dscnt 0x0
	v_pk_add_f32 v[6:7], v[6:7], v[10:11]
	ds_bpermute_b32 v8, v12, v4
	ds_bpermute_b32 v9, v12, v5
	;; [unrolled: 1-line block ×4, first 2 shown]
	v_xor_b32_e32 v12, 1, v1
	s_delay_alu instid0(VALU_DEP_1) | instskip(SKIP_2) | instid1(VALU_DEP_2)
	v_cmp_gt_i32_e32 vcc_lo, 32, v12
	v_cndmask_b32_e32 v1, v1, v12, vcc_lo
	v_cmp_eq_u32_e32 vcc_lo, 63, v0
	v_lshlrev_b32_e32 v1, 2, v1
	s_wait_dscnt 0x2
	v_pk_add_f32 v[4:5], v[4:5], v[8:9]
	s_wait_dscnt 0x0
	v_pk_add_f32 v[8:9], v[6:7], v[10:11]
	ds_bpermute_b32 v6, v1, v4
	ds_bpermute_b32 v7, v1, v5
	;; [unrolled: 1-line block ×4, first 2 shown]
	s_and_b32 exec_lo, exec_lo, vcc_lo
	s_cbranch_execz .LBB89_10
; %bb.40:
	s_load_b64 s[0:1], s[0:1], 0x58
	s_wait_dscnt 0x2
	v_pk_add_f32 v[6:7], v[4:5], v[6:7]
	s_wait_dscnt 0x0
	v_pk_add_f32 v[4:5], v[8:9], v[10:11]
	s_cmp_eq_f32 s16, 0
	s_wait_kmcnt 0x0
	v_lshl_add_u64 v[0:1], v[2:3], 4, s[0:1]
	s_cbranch_scc0 .LBB89_42
; %bb.41:
	v_pk_mul_f32 v[8:9], s[12:13], v[6:7] op_sel_hi:[0,1]
	v_pk_mul_f32 v[10:11], s[12:13], v[4:5] op_sel_hi:[0,1]
	s_mov_b32 s2, 0
	global_store_b128 v[0:1], v[8:11], off
.LBB89_42:
	s_and_not1_b32 vcc_lo, exec_lo, s2
	s_cbranch_vccnz .LBB89_10
; %bb.43:
	global_load_b128 v[8:11], v[0:1], off
	v_pk_mul_f32 v[2:3], s[12:13], v[6:7] op_sel_hi:[0,1]
	v_pk_mul_f32 v[4:5], s[12:13], v[4:5] op_sel_hi:[0,1]
	s_wait_loadcnt 0x0
	s_delay_alu instid0(VALU_DEP_2) | instskip(NEXT) | instid1(VALU_DEP_2)
	v_pk_fma_f32 v[2:3], s[16:17], v[8:9], v[2:3] op_sel_hi:[0,1,1]
	v_pk_fma_f32 v[4:5], s[16:17], v[10:11], v[4:5] op_sel_hi:[0,1,1]
	global_store_b128 v[0:1], v[2:5], off
	s_sendmsg sendmsg(MSG_DEALLOC_VGPRS)
	s_endpgm
	.section	.rodata,"a",@progbits
	.p2align	6, 0x0
	.amdhsa_kernel _ZN9rocsparseL18bsrxmvn_4x4_kernelILj128ELj64EfllaafEEvT3_20rocsparse_direction_NS_24const_host_device_scalarIT1_EES1_PKS1_PKT2_SA_S7_PKT4_PKT5_S5_PT6_21rocsparse_index_base_b
		.amdhsa_group_segment_fixed_size 0
		.amdhsa_private_segment_fixed_size 0
		.amdhsa_kernarg_size 104
		.amdhsa_user_sgpr_count 2
		.amdhsa_user_sgpr_dispatch_ptr 0
		.amdhsa_user_sgpr_queue_ptr 0
		.amdhsa_user_sgpr_kernarg_segment_ptr 1
		.amdhsa_user_sgpr_dispatch_id 0
		.amdhsa_user_sgpr_kernarg_preload_length 0
		.amdhsa_user_sgpr_kernarg_preload_offset 0
		.amdhsa_user_sgpr_private_segment_size 0
		.amdhsa_wavefront_size32 1
		.amdhsa_uses_dynamic_stack 0
		.amdhsa_enable_private_segment 0
		.amdhsa_system_sgpr_workgroup_id_x 1
		.amdhsa_system_sgpr_workgroup_id_y 0
		.amdhsa_system_sgpr_workgroup_id_z 0
		.amdhsa_system_sgpr_workgroup_info 0
		.amdhsa_system_vgpr_workitem_id 0
		.amdhsa_next_free_vgpr 104
		.amdhsa_next_free_sgpr 18
		.amdhsa_named_barrier_count 0
		.amdhsa_reserve_vcc 1
		.amdhsa_float_round_mode_32 0
		.amdhsa_float_round_mode_16_64 0
		.amdhsa_float_denorm_mode_32 3
		.amdhsa_float_denorm_mode_16_64 3
		.amdhsa_fp16_overflow 0
		.amdhsa_memory_ordered 1
		.amdhsa_forward_progress 1
		.amdhsa_inst_pref_size 44
		.amdhsa_round_robin_scheduling 0
		.amdhsa_exception_fp_ieee_invalid_op 0
		.amdhsa_exception_fp_denorm_src 0
		.amdhsa_exception_fp_ieee_div_zero 0
		.amdhsa_exception_fp_ieee_overflow 0
		.amdhsa_exception_fp_ieee_underflow 0
		.amdhsa_exception_fp_ieee_inexact 0
		.amdhsa_exception_int_div_zero 0
	.end_amdhsa_kernel
	.section	.text._ZN9rocsparseL18bsrxmvn_4x4_kernelILj128ELj64EfllaafEEvT3_20rocsparse_direction_NS_24const_host_device_scalarIT1_EES1_PKS1_PKT2_SA_S7_PKT4_PKT5_S5_PT6_21rocsparse_index_base_b,"axG",@progbits,_ZN9rocsparseL18bsrxmvn_4x4_kernelILj128ELj64EfllaafEEvT3_20rocsparse_direction_NS_24const_host_device_scalarIT1_EES1_PKS1_PKT2_SA_S7_PKT4_PKT5_S5_PT6_21rocsparse_index_base_b,comdat
.Lfunc_end89:
	.size	_ZN9rocsparseL18bsrxmvn_4x4_kernelILj128ELj64EfllaafEEvT3_20rocsparse_direction_NS_24const_host_device_scalarIT1_EES1_PKS1_PKT2_SA_S7_PKT4_PKT5_S5_PT6_21rocsparse_index_base_b, .Lfunc_end89-_ZN9rocsparseL18bsrxmvn_4x4_kernelILj128ELj64EfllaafEEvT3_20rocsparse_direction_NS_24const_host_device_scalarIT1_EES1_PKS1_PKT2_SA_S7_PKT4_PKT5_S5_PT6_21rocsparse_index_base_b
                                        ; -- End function
	.set _ZN9rocsparseL18bsrxmvn_4x4_kernelILj128ELj64EfllaafEEvT3_20rocsparse_direction_NS_24const_host_device_scalarIT1_EES1_PKS1_PKT2_SA_S7_PKT4_PKT5_S5_PT6_21rocsparse_index_base_b.num_vgpr, 104
	.set _ZN9rocsparseL18bsrxmvn_4x4_kernelILj128ELj64EfllaafEEvT3_20rocsparse_direction_NS_24const_host_device_scalarIT1_EES1_PKS1_PKT2_SA_S7_PKT4_PKT5_S5_PT6_21rocsparse_index_base_b.num_agpr, 0
	.set _ZN9rocsparseL18bsrxmvn_4x4_kernelILj128ELj64EfllaafEEvT3_20rocsparse_direction_NS_24const_host_device_scalarIT1_EES1_PKS1_PKT2_SA_S7_PKT4_PKT5_S5_PT6_21rocsparse_index_base_b.numbered_sgpr, 18
	.set _ZN9rocsparseL18bsrxmvn_4x4_kernelILj128ELj64EfllaafEEvT3_20rocsparse_direction_NS_24const_host_device_scalarIT1_EES1_PKS1_PKT2_SA_S7_PKT4_PKT5_S5_PT6_21rocsparse_index_base_b.num_named_barrier, 0
	.set _ZN9rocsparseL18bsrxmvn_4x4_kernelILj128ELj64EfllaafEEvT3_20rocsparse_direction_NS_24const_host_device_scalarIT1_EES1_PKS1_PKT2_SA_S7_PKT4_PKT5_S5_PT6_21rocsparse_index_base_b.private_seg_size, 0
	.set _ZN9rocsparseL18bsrxmvn_4x4_kernelILj128ELj64EfllaafEEvT3_20rocsparse_direction_NS_24const_host_device_scalarIT1_EES1_PKS1_PKT2_SA_S7_PKT4_PKT5_S5_PT6_21rocsparse_index_base_b.uses_vcc, 1
	.set _ZN9rocsparseL18bsrxmvn_4x4_kernelILj128ELj64EfllaafEEvT3_20rocsparse_direction_NS_24const_host_device_scalarIT1_EES1_PKS1_PKT2_SA_S7_PKT4_PKT5_S5_PT6_21rocsparse_index_base_b.uses_flat_scratch, 0
	.set _ZN9rocsparseL18bsrxmvn_4x4_kernelILj128ELj64EfllaafEEvT3_20rocsparse_direction_NS_24const_host_device_scalarIT1_EES1_PKS1_PKT2_SA_S7_PKT4_PKT5_S5_PT6_21rocsparse_index_base_b.has_dyn_sized_stack, 0
	.set _ZN9rocsparseL18bsrxmvn_4x4_kernelILj128ELj64EfllaafEEvT3_20rocsparse_direction_NS_24const_host_device_scalarIT1_EES1_PKS1_PKT2_SA_S7_PKT4_PKT5_S5_PT6_21rocsparse_index_base_b.has_recursion, 0
	.set _ZN9rocsparseL18bsrxmvn_4x4_kernelILj128ELj64EfllaafEEvT3_20rocsparse_direction_NS_24const_host_device_scalarIT1_EES1_PKS1_PKT2_SA_S7_PKT4_PKT5_S5_PT6_21rocsparse_index_base_b.has_indirect_call, 0
	.section	.AMDGPU.csdata,"",@progbits
; Kernel info:
; codeLenInByte = 5540
; TotalNumSgprs: 20
; NumVgprs: 104
; ScratchSize: 0
; MemoryBound: 0
; FloatMode: 240
; IeeeMode: 1
; LDSByteSize: 0 bytes/workgroup (compile time only)
; SGPRBlocks: 0
; VGPRBlocks: 6
; NumSGPRsForWavesPerEU: 20
; NumVGPRsForWavesPerEU: 104
; NamedBarCnt: 0
; Occupancy: 9
; WaveLimiterHint : 1
; COMPUTE_PGM_RSRC2:SCRATCH_EN: 0
; COMPUTE_PGM_RSRC2:USER_SGPR: 2
; COMPUTE_PGM_RSRC2:TRAP_HANDLER: 0
; COMPUTE_PGM_RSRC2:TGID_X_EN: 1
; COMPUTE_PGM_RSRC2:TGID_Y_EN: 0
; COMPUTE_PGM_RSRC2:TGID_Z_EN: 0
; COMPUTE_PGM_RSRC2:TIDIG_COMP_CNT: 0
	.section	.text._ZN9rocsparseL18bsrxmvn_4x4_kernelILj128ELj4EfiiDF16_DF16_fEEvT3_20rocsparse_direction_NS_24const_host_device_scalarIT1_EES1_PKS1_PKT2_SA_S7_PKT4_PKT5_S5_PT6_21rocsparse_index_base_b,"axG",@progbits,_ZN9rocsparseL18bsrxmvn_4x4_kernelILj128ELj4EfiiDF16_DF16_fEEvT3_20rocsparse_direction_NS_24const_host_device_scalarIT1_EES1_PKS1_PKT2_SA_S7_PKT4_PKT5_S5_PT6_21rocsparse_index_base_b,comdat
	.globl	_ZN9rocsparseL18bsrxmvn_4x4_kernelILj128ELj4EfiiDF16_DF16_fEEvT3_20rocsparse_direction_NS_24const_host_device_scalarIT1_EES1_PKS1_PKT2_SA_S7_PKT4_PKT5_S5_PT6_21rocsparse_index_base_b ; -- Begin function _ZN9rocsparseL18bsrxmvn_4x4_kernelILj128ELj4EfiiDF16_DF16_fEEvT3_20rocsparse_direction_NS_24const_host_device_scalarIT1_EES1_PKS1_PKT2_SA_S7_PKT4_PKT5_S5_PT6_21rocsparse_index_base_b
	.p2align	8
	.type	_ZN9rocsparseL18bsrxmvn_4x4_kernelILj128ELj4EfiiDF16_DF16_fEEvT3_20rocsparse_direction_NS_24const_host_device_scalarIT1_EES1_PKS1_PKT2_SA_S7_PKT4_PKT5_S5_PT6_21rocsparse_index_base_b,@function
_ZN9rocsparseL18bsrxmvn_4x4_kernelILj128ELj4EfiiDF16_DF16_fEEvT3_20rocsparse_direction_NS_24const_host_device_scalarIT1_EES1_PKS1_PKT2_SA_S7_PKT4_PKT5_S5_PT6_21rocsparse_index_base_b: ; @_ZN9rocsparseL18bsrxmvn_4x4_kernelILj128ELj4EfiiDF16_DF16_fEEvT3_20rocsparse_direction_NS_24const_host_device_scalarIT1_EES1_PKS1_PKT2_SA_S7_PKT4_PKT5_S5_PT6_21rocsparse_index_base_b
; %bb.0:
	s_clause 0x2
	s_load_b64 s[16:17], s[0:1], 0x58
	s_load_b64 s[12:13], s[0:1], 0x8
	;; [unrolled: 1-line block ×3, first 2 shown]
	s_wait_kmcnt 0x0
	s_bitcmp1_b32 s17, 0
	s_cselect_b32 s2, -1, 0
	s_delay_alu instid0(SALU_CYCLE_1)
	s_and_b32 vcc_lo, exec_lo, s2
	s_xor_b32 s2, s2, -1
	s_cbranch_vccnz .LBB90_2
; %bb.1:
	s_load_b32 s12, s[12:13], 0x0
.LBB90_2:
	s_and_not1_b32 vcc_lo, exec_lo, s2
	s_cbranch_vccnz .LBB90_4
; %bb.3:
	s_load_b32 s14, s[14:15], 0x0
.LBB90_4:
	s_wait_kmcnt 0x0
	s_cmp_neq_f32 s12, 0
	s_mov_b32 s6, 0
	s_cselect_b32 s2, -1, 0
	s_cmp_neq_f32 s14, 1.0
	s_cselect_b32 s3, -1, 0
	s_delay_alu instid0(SALU_CYCLE_1) | instskip(NEXT) | instid1(SALU_CYCLE_1)
	s_or_b32 s2, s2, s3
	s_and_not1_b32 vcc_lo, exec_lo, s2
	s_cbranch_vccnz .LBB90_10
; %bb.5:
	s_clause 0x1
	s_load_b64 s[4:5], s[0:1], 0x18
	s_load_b64 s[2:3], s[0:1], 0x0
	s_bfe_u32 s7, ttmp6, 0x4000c
	s_and_b32 s8, ttmp6, 15
	s_add_co_i32 s7, s7, 1
	s_getreg_b32 s9, hwreg(HW_REG_IB_STS2, 6, 4)
	s_mul_i32 s7, ttmp9, s7
	v_lshrrev_b32_e32 v1, 2, v0
	s_add_co_i32 s8, s8, s7
	s_cmp_eq_u32 s9, 0
	s_cselect_b32 s7, ttmp9, s8
	s_delay_alu instid0(VALU_DEP_1) | instid1(SALU_CYCLE_1)
	v_lshl_or_b32 v2, s7, 5, v1
	s_wait_kmcnt 0x0
	s_cmp_lg_u64 s[4:5], 0
	s_cbranch_scc0 .LBB90_11
; %bb.6:
	s_load_b32 s6, s[0:1], 0x10
	s_mov_b32 s7, 0
                                        ; implicit-def: $vgpr1
	s_wait_kmcnt 0x0
	v_cmp_gt_i32_e32 vcc_lo, s6, v2
	s_mov_b32 s6, 0
	s_and_saveexec_b32 s8, vcc_lo
	s_delay_alu instid0(SALU_CYCLE_1)
	s_xor_b32 s8, exec_lo, s8
	s_cbranch_execz .LBB90_8
; %bb.7:
	global_load_b32 v1, v2, s[4:5] scale_offset
	s_mov_b32 s6, exec_lo
	s_wait_loadcnt 0x0
	v_subrev_nc_u32_e32 v1, s16, v1
.LBB90_8:
	s_or_b32 exec_lo, exec_lo, s8
	s_delay_alu instid0(SALU_CYCLE_1)
	s_and_b32 vcc_lo, exec_lo, s7
	s_cbranch_vccz .LBB90_12
.LBB90_9:
	v_cmp_gt_i32_e32 vcc_lo, s2, v2
	s_and_not1_b32 s2, s6, exec_lo
	s_and_b32 s4, vcc_lo, exec_lo
	s_delay_alu instid0(SALU_CYCLE_1) | instskip(NEXT) | instid1(SALU_CYCLE_1)
	s_or_b32 s6, s2, s4
	s_and_saveexec_b32 s2, s6
	s_cbranch_execnz .LBB90_13
.LBB90_10:
	s_sendmsg sendmsg(MSG_DEALLOC_VGPRS)
	s_endpgm
.LBB90_11:
                                        ; implicit-def: $vgpr1
	s_cbranch_execnz .LBB90_9
.LBB90_12:
	s_delay_alu instid0(VALU_DEP_1)
	v_mov_b32_e32 v2, v1
	s_and_saveexec_b32 s2, s6
	s_cbranch_execz .LBB90_10
.LBB90_13:
	s_load_b256 s[4:11], s[0:1], 0x20
	s_wait_kmcnt 0x0
	s_cmp_eq_u64 s[6:7], 0
	global_load_b32 v12, v2, s[4:5] scale_offset
	s_cselect_b32 vcc_lo, -1, 0
	v_ashrrev_i32_e32 v3, 31, v2
	s_cmp_eq_u32 s3, 1
	s_delay_alu instid0(VALU_DEP_1) | instskip(SKIP_1) | instid1(VALU_DEP_2)
	v_lshlrev_b64_e32 v[4:5], 2, v[2:3]
	v_and_b32_e32 v3, 3, v0
	v_add_nc_u64_e32 v[6:7], s[4:5], v[4:5]
	v_add_nc_u64_e32 v[4:5], s[6:7], v[4:5]
	s_wait_xcnt 0x0
	s_load_b64 s[4:5], s[0:1], 0x40
	s_delay_alu instid0(VALU_DEP_2) | instskip(NEXT) | instid1(VALU_DEP_1)
	v_add_nc_u64_e32 v[6:7], 4, v[6:7]
	v_dual_cndmask_b32 v5, v5, v7 :: v_dual_cndmask_b32 v4, v4, v6
	global_load_b32 v6, v[4:5], off
	s_wait_loadcnt 0x1
	v_subrev_nc_u32_e32 v0, s16, v12
	s_delay_alu instid0(VALU_DEP_1) | instskip(NEXT) | instid1(VALU_DEP_1)
	v_add_nc_u32_e32 v0, v0, v3
	v_ashrrev_i32_e32 v1, 31, v0
	s_wait_xcnt 0x0
	s_delay_alu instid0(VALU_DEP_1) | instskip(NEXT) | instid1(VALU_DEP_1)
	v_lshlrev_b64_e32 v[4:5], 5, v[0:1]
	v_add_nc_u64_e32 v[4:5], s[10:11], v[4:5]
	s_wait_loadcnt 0x0
	v_subrev_nc_u32_e32 v1, s16, v6
	s_delay_alu instid0(VALU_DEP_1)
	v_cmp_lt_i32_e64 s2, v0, v1
	s_cbranch_scc1 .LBB90_25
; %bb.14:
	v_dual_mov_b32 v7, 0 :: v_dual_mov_b32 v6, 0
	v_dual_mov_b32 v9, 0 :: v_dual_mov_b32 v8, 0
	s_and_saveexec_b32 s3, s2
	s_cbranch_execz .LBB90_24
; %bb.15:
	v_add_nc_u32_e32 v6, v12, v3
	v_not_b32_e32 v7, v12
	v_mov_b64_e32 v[8:9], 0
	v_mov_b32_e32 v13, v0
	s_delay_alu instid0(VALU_DEP_4) | instskip(NEXT) | instid1(VALU_DEP_1)
	v_subrev_nc_u32_e32 v6, s16, v6
	v_add_max_i32_e64 v6, v6, 4, v1
	s_delay_alu instid0(VALU_DEP_1) | instskip(NEXT) | instid1(VALU_DEP_1)
	v_add3_u32 v6, s16, v6, v7
	v_sub_nc_u32_e32 v14, v6, v3
	v_mov_b64_e32 v[6:7], 0
	s_delay_alu instid0(VALU_DEP_2) | instskip(NEXT) | instid1(VALU_DEP_1)
	v_and_b32_e32 v10, 12, v14
	v_cmp_ne_u32_e32 vcc_lo, 12, v10
	v_mov_b64_e32 v[10:11], v[4:5]
	s_and_saveexec_b32 s6, vcc_lo
	s_cbranch_execz .LBB90_19
; %bb.16:
	v_dual_lshrrev_b32 v6, 2, v14 :: v_dual_mov_b32 v8, 0
	v_mov_b64_e32 v[10:11], v[4:5]
	s_mov_b32 s7, 0
	s_delay_alu instid0(VALU_DEP_2) | instskip(NEXT) | instid1(VALU_DEP_1)
	v_dual_mov_b32 v13, v0 :: v_dual_add_nc_u32 v6, 1, v6
	v_dual_mov_b32 v9, v8 :: v_dual_bitop2_b32 v7, 3, v6 bitop3:0x40
	s_delay_alu instid0(VALU_DEP_1)
	v_dual_mov_b32 v6, v8 :: v_dual_sub_nc_u32 v15, 0, v7
	v_mov_b32_e32 v7, v8
.LBB90_17:                              ; =>This Inner Loop Header: Depth=1
	global_load_b32 v20, v13, s[8:9] scale_offset
	global_load_b128 v[16:19], v[10:11], off
	s_wait_xcnt 0x1
	v_add_nc_u32_e32 v13, 4, v13
	v_add_co_u32 v15, s10, v15, 1
	s_or_b32 s7, s10, s7
	s_wait_loadcnt 0x1
	v_subrev_nc_u32_e32 v20, s16, v20
	s_wait_loadcnt 0x0
	v_dual_lshrrev_b32 v30, 16, v16 :: v_dual_lshrrev_b32 v33, 16, v19
	v_cvt_f32_f16_e32 v29, v19
	v_cvt_f32_f16_e32 v28, v17
	v_dual_lshlrev_b32 v20, 2, v20 :: v_dual_lshrrev_b32 v31, 16, v18
	s_delay_alu instid0(VALU_DEP_1) | instskip(SKIP_1) | instid1(VALU_DEP_1)
	v_dual_lshrrev_b32 v32, 16, v17 :: v_dual_ashrrev_i32 v21, 31, v20
	s_wait_kmcnt 0x0
	v_lshl_add_u64 v[24:25], v[20:21], 1, s[4:5]
	global_load_b128 v[20:23], v[10:11], off offset:16
	global_load_b64 v[26:27], v[24:25], off
	s_wait_xcnt 0x0
	v_cvt_f32_f16_e32 v25, v18
	v_cvt_f32_f16_e32 v24, v16
	v_add_nc_u64_e32 v[10:11], 0x80, v[10:11]
	s_wait_loadcnt 0x1
	v_cvt_f32_f16_e32 v17, v22
	v_cvt_f32_f16_e32 v16, v20
	v_dual_lshrrev_b32 v34, 16, v20 :: v_dual_lshrrev_b32 v35, 16, v22
	v_cvt_f32_f16_e32 v19, v23
	v_dual_lshrrev_b32 v36, 16, v21 :: v_dual_lshrrev_b32 v37, 16, v23
	v_cvt_f32_f16_e32 v23, v33
	s_wait_loadcnt 0x0
	v_lshrrev_b32_e32 v33, 16, v26
	v_cvt_f32_f16_e32 v22, v26
	v_cvt_f32_f16_e32 v18, v21
	;; [unrolled: 1-line block ×6, first 2 shown]
	v_pk_fma_f32 v[8:9], v[24:25], v[22:23], v[8:9] op_sel_hi:[1,0,1]
	v_pk_fma_f32 v[6:7], v[16:17], v[22:23], v[6:7] op_sel_hi:[1,0,1]
	v_lshrrev_b32_e32 v17, 16, v27
	v_cvt_f32_f16_e32 v26, v33
	v_cvt_f32_f16_e32 v16, v27
	;; [unrolled: 1-line block ×3, first 2 shown]
	s_delay_alu instid0(VALU_DEP_4) | instskip(NEXT) | instid1(VALU_DEP_4)
	v_cvt_f32_f16_e32 v24, v17
	v_pk_fma_f32 v[8:9], v[20:21], v[26:27], v[8:9] op_sel_hi:[1,0,1]
	v_pk_fma_f32 v[6:7], v[30:31], v[26:27], v[6:7] op_sel_hi:[1,0,1]
	v_cvt_f32_f16_e32 v21, v37
	v_cvt_f32_f16_e32 v20, v36
	s_delay_alu instid0(VALU_DEP_4) | instskip(NEXT) | instid1(VALU_DEP_4)
	v_pk_fma_f32 v[8:9], v[28:29], v[16:17], v[8:9] op_sel_hi:[1,0,1]
	v_pk_fma_f32 v[6:7], v[18:19], v[16:17], v[6:7] op_sel_hi:[1,0,1]
	s_delay_alu instid0(VALU_DEP_2) | instskip(NEXT) | instid1(VALU_DEP_2)
	v_pk_fma_f32 v[8:9], v[22:23], v[24:25], v[8:9] op_sel_hi:[1,0,1]
	v_pk_fma_f32 v[6:7], v[20:21], v[24:25], v[6:7] op_sel_hi:[1,0,1]
	s_and_not1_b32 exec_lo, exec_lo, s7
	s_cbranch_execnz .LBB90_17
; %bb.18:
	s_or_b32 exec_lo, exec_lo, s7
.LBB90_19:
	s_delay_alu instid0(SALU_CYCLE_1) | instskip(NEXT) | instid1(SALU_CYCLE_1)
	s_or_b32 exec_lo, exec_lo, s6
	s_mov_b32 s6, exec_lo
	v_cmpx_lt_u32_e32 11, v14
	s_cbranch_execz .LBB90_23
; %bb.20:
	s_mov_b32 s7, 0
.LBB90_21:                              ; =>This Inner Loop Header: Depth=1
	global_load_b32 v38, v13, s[8:9] scale_offset
	s_clause 0x4
	global_load_b128 v[14:17], v[10:11], off
	global_load_b128 v[18:21], v[10:11], off offset:16
	global_load_b128 v[22:25], v[10:11], off offset:128
	;; [unrolled: 1-line block ×4, first 2 shown]
	s_clause 0x2
	global_load_b32 v42, v13, s[8:9] offset:16 scale_offset
	global_load_b32 v43, v13, s[8:9] offset:32 scale_offset
	;; [unrolled: 1-line block ×3, first 2 shown]
	global_load_b128 v[34:37], v[10:11], off offset:272
	s_wait_xcnt 0x1
	v_add_nc_u32_e32 v13, 16, v13
	s_delay_alu instid0(VALU_DEP_1)
	v_cmp_ge_i32_e32 vcc_lo, v13, v1
	s_or_b32 s7, vcc_lo, s7
	s_wait_loadcnt 0x9
	v_subrev_nc_u32_e32 v45, s16, v38
	s_wait_loadcnt 0x8
	v_cvt_f32_f16_e32 v40, v15
	v_dual_lshrrev_b32 v56, 16, v15 :: v_dual_lshrrev_b32 v57, 16, v17
	s_wait_loadcnt 0x7
	v_cvt_f32_f16_e32 v15, v20
	v_dual_lshrrev_b32 v58, 16, v18 :: v_dual_lshrrev_b32 v59, 16, v20
	;; [unrolled: 3-line block ×5, first 2 shown]
	s_wait_loadcnt 0x3
	v_subrev_nc_u32_e32 v31, s16, v42
	v_cvt_f32_f16_e32 v41, v17
	v_cvt_f32_f16_e32 v17, v21
	v_dual_lshrrev_b32 v60, 16, v19 :: v_dual_lshrrev_b32 v61, 16, v21
	v_cvt_f32_f16_e32 v21, v25
	v_cvt_f32_f16_e32 v25, v29
	v_dual_lshrrev_b32 v68, 16, v27 :: v_dual_lshrrev_b32 v69, 16, v29
	v_cvt_f32_f16_e32 v29, v33
	s_wait_loadcnt 0x2
	v_subrev_nc_u32_e32 v33, s16, v43
	s_wait_loadcnt 0x1
	v_subrev_nc_u32_e32 v43, s16, v44
	v_cvt_f32_f16_e32 v38, v14
	v_dual_lshrrev_b32 v54, 16, v14 :: v_dual_lshrrev_b32 v55, 16, v16
	v_cvt_f32_f16_e32 v14, v18
	v_cvt_f32_f16_e32 v18, v22
	v_dual_lshrrev_b32 v62, 16, v22 :: v_dual_lshrrev_b32 v63, 16, v24
	v_cvt_f32_f16_e32 v22, v26
	v_cvt_f32_f16_e32 v26, v30
	v_dual_lshrrev_b32 v70, 16, v30 :: v_dual_lshrrev_b32 v71, 16, v32
	v_lshlrev_b32_e32 v30, 2, v45
	v_cvt_f32_f16_e32 v39, v16
	v_cvt_f32_f16_e32 v16, v19
	;; [unrolled: 1-line block ×5, first 2 shown]
	v_dual_lshlrev_b32 v32, 2, v31 :: v_dual_lshlrev_b32 v42, 2, v33
	v_dual_lshlrev_b32 v44, 2, v43 :: v_dual_ashrrev_i32 v31, 31, v30
	s_wait_loadcnt 0x0
	v_dual_lshrrev_b32 v75, 16, v35 :: v_dual_lshrrev_b32 v76, 16, v37
	s_delay_alu instid0(VALU_DEP_3) | instskip(NEXT) | instid1(VALU_DEP_3)
	v_dual_ashrrev_i32 v33, 31, v32 :: v_dual_ashrrev_i32 v43, 31, v42
	v_ashrrev_i32_e32 v45, 31, v44
	s_wait_kmcnt 0x0
	v_lshl_add_u64 v[30:31], v[30:31], 1, s[4:5]
	v_lshrrev_b32_e32 v74, 16, v36
	v_lshl_add_u64 v[32:33], v[32:33], 1, s[4:5]
	v_lshl_add_u64 v[42:43], v[42:43], 1, s[4:5]
	;; [unrolled: 1-line block ×3, first 2 shown]
	s_clause 0x3
	global_load_b64 v[46:47], v[30:31], off
	global_load_b64 v[48:49], v[32:33], off
	;; [unrolled: 1-line block ×4, first 2 shown]
	s_wait_xcnt 0x0
	v_lshrrev_b32_e32 v45, 16, v34
	v_cvt_f32_f16_e32 v32, v35
	v_cvt_f32_f16_e32 v33, v37
	;; [unrolled: 1-line block ×3, first 2 shown]
	s_wait_loadcnt 0x3
	v_cvt_f32_f16_e32 v30, v46
	s_wait_loadcnt 0x2
	v_dual_lshrrev_b32 v42, 16, v47 :: v_dual_lshrrev_b32 v44, 16, v48
	s_delay_alu instid0(VALU_DEP_2)
	v_pk_fma_f32 v[8:9], v[38:39], v[30:31], v[8:9] op_sel_hi:[1,0,1]
	v_pk_fma_f32 v[6:7], v[14:15], v[30:31], v[6:7] op_sel_hi:[1,0,1]
	v_cvt_f32_f16_e32 v30, v34
	v_lshrrev_b32_e32 v34, 16, v46
	v_cvt_f32_f16_e32 v15, v55
	v_cvt_f32_f16_e32 v14, v54
	;; [unrolled: 1-line block ×9, first 2 shown]
	v_pk_fma_f32 v[8:9], v[14:15], v[34:35], v[8:9] op_sel_hi:[1,0,1]
	v_cvt_f32_f16_e32 v15, v59
	v_cvt_f32_f16_e32 v14, v58
	s_delay_alu instid0(VALU_DEP_1) | instskip(SKIP_1) | instid1(VALU_DEP_1)
	v_pk_fma_f32 v[14:15], v[14:15], v[34:35], v[6:7] op_sel_hi:[1,0,1]
	v_cvt_f32_f16_e32 v34, v47
	v_pk_fma_f32 v[40:41], v[40:41], v[34:35], v[8:9] op_sel_hi:[1,0,1]
	global_load_b128 v[6:9], v[10:11], off offset:384
	v_pk_fma_f32 v[34:35], v[16:17], v[34:35], v[14:15] op_sel_hi:[1,0,1]
	global_load_b128 v[14:17], v[10:11], off offset:400
	s_wait_xcnt 0x0
	v_add_nc_u64_e32 v[10:11], 0x200, v[10:11]
	v_pk_fma_f32 v[36:37], v[36:37], v[42:43], v[40:41] op_sel_hi:[1,0,1]
	v_pk_fma_f32 v[34:35], v[38:39], v[42:43], v[34:35] op_sel_hi:[1,0,1]
	v_cvt_f32_f16_e32 v43, v71
	v_cvt_f32_f16_e32 v42, v70
	s_wait_loadcnt 0x1
	v_cvt_f32_f16_e32 v40, v6
	v_dual_lshrrev_b32 v46, 16, v6 :: v_dual_lshrrev_b32 v47, 16, v8
	v_cvt_f32_f16_e32 v6, v48
	v_cvt_f32_f16_e32 v41, v8
	;; [unrolled: 1-line block ×4, first 2 shown]
	v_dual_lshrrev_b32 v54, 16, v7 :: v_dual_lshrrev_b32 v55, 16, v9
	v_pk_fma_f32 v[8:9], v[18:19], v[6:7], v[36:37] op_sel_hi:[1,0,1]
	s_wait_loadcnt 0x0
	v_cvt_f32_f16_e32 v19, v16
	v_cvt_f32_f16_e32 v18, v14
	v_pk_fma_f32 v[6:7], v[22:23], v[6:7], v[34:35] op_sel_hi:[1,0,1]
	v_dual_lshrrev_b32 v56, 16, v14 :: v_dual_lshrrev_b32 v57, 16, v16
	v_cvt_f32_f16_e32 v23, v17
	v_cvt_f32_f16_e32 v22, v15
	v_dual_lshrrev_b32 v58, 16, v15 :: v_dual_lshrrev_b32 v59, 16, v17
	v_cvt_f32_f16_e32 v15, v63
	v_cvt_f32_f16_e32 v14, v62
	;; [unrolled: 1-line block ×6, first 2 shown]
	v_pk_fma_f32 v[8:9], v[14:15], v[44:45], v[8:9] op_sel_hi:[1,0,1]
	v_lshrrev_b32_e32 v15, 16, v49
	v_cvt_f32_f16_e32 v14, v49
	v_pk_fma_f32 v[6:7], v[16:17], v[44:45], v[6:7] op_sel_hi:[1,0,1]
	v_cvt_f32_f16_e32 v37, v69
	v_cvt_f32_f16_e32 v36, v68
	;; [unrolled: 1-line block ×4, first 2 shown]
	v_pk_fma_f32 v[6:7], v[24:25], v[14:15], v[6:7] op_sel_hi:[1,0,1]
	v_lshrrev_b32_e32 v24, 16, v50
	v_cvt_f32_f16_e32 v44, v15
	v_pk_fma_f32 v[8:9], v[20:21], v[14:15], v[8:9] op_sel_hi:[1,0,1]
	v_cvt_f32_f16_e32 v20, v50
	v_cvt_f32_f16_e32 v21, v76
	;; [unrolled: 1-line block ×3, first 2 shown]
	v_pk_fma_f32 v[6:7], v[36:37], v[44:45], v[6:7] op_sel_hi:[1,0,1]
	v_pk_fma_f32 v[8:9], v[34:35], v[44:45], v[8:9] op_sel_hi:[1,0,1]
	v_cvt_f32_f16_e32 v14, v45
	v_cvt_f32_f16_e32 v24, v24
	v_lshrrev_b32_e32 v25, 16, v51
	v_pk_fma_f32 v[6:7], v[30:31], v[20:21], v[6:7] op_sel_hi:[1,0,1]
	v_pk_fma_f32 v[8:9], v[26:27], v[20:21], v[8:9] op_sel_hi:[1,0,1]
	v_cvt_f32_f16_e32 v26, v51
	v_cvt_f32_f16_e32 v20, v75
	s_delay_alu instid0(VALU_DEP_4) | instskip(NEXT) | instid1(VALU_DEP_4)
	v_pk_fma_f32 v[6:7], v[14:15], v[24:25], v[6:7] op_sel_hi:[1,0,1]
	v_pk_fma_f32 v[8:9], v[42:43], v[24:25], v[8:9] op_sel_hi:[1,0,1]
	v_cvt_f32_f16_e32 v15, v47
	v_cvt_f32_f16_e32 v14, v46
	s_delay_alu instid0(VALU_DEP_4) | instskip(NEXT) | instid1(VALU_DEP_4)
	v_pk_fma_f32 v[6:7], v[32:33], v[26:27], v[6:7] op_sel_hi:[1,0,1]
	v_pk_fma_f32 v[8:9], v[28:29], v[26:27], v[8:9] op_sel_hi:[1,0,1]
	v_lshrrev_b32_e32 v27, 16, v52
	v_cvt_f32_f16_e32 v24, v25
	v_cvt_f32_f16_e32 v25, v55
	;; [unrolled: 1-line block ×3, first 2 shown]
	s_delay_alu instid0(VALU_DEP_2)
	v_pk_fma_f32 v[8:9], v[16:17], v[24:25], v[8:9] op_sel_hi:[1,0,1]
	v_pk_fma_f32 v[6:7], v[20:21], v[24:25], v[6:7] op_sel_hi:[1,0,1]
	v_cvt_f32_f16_e32 v17, v57
	v_cvt_f32_f16_e32 v16, v56
	;; [unrolled: 1-line block ×3, first 2 shown]
	v_pk_fma_f32 v[8:9], v[40:41], v[26:27], v[8:9] op_sel_hi:[1,0,1]
	v_pk_fma_f32 v[6:7], v[18:19], v[26:27], v[6:7] op_sel_hi:[1,0,1]
	v_lshrrev_b32_e32 v19, 16, v53
	v_cvt_f32_f16_e32 v18, v53
	v_cvt_f32_f16_e32 v24, v54
	v_pk_fma_f32 v[8:9], v[14:15], v[20:21], v[8:9] op_sel_hi:[1,0,1]
	v_pk_fma_f32 v[6:7], v[16:17], v[20:21], v[6:7] op_sel_hi:[1,0,1]
	v_cvt_f32_f16_e32 v15, v59
	v_cvt_f32_f16_e32 v14, v58
	;; [unrolled: 1-line block ×3, first 2 shown]
	v_pk_fma_f32 v[8:9], v[38:39], v[18:19], v[8:9] op_sel_hi:[1,0,1]
	v_pk_fma_f32 v[6:7], v[22:23], v[18:19], v[6:7] op_sel_hi:[1,0,1]
	s_delay_alu instid0(VALU_DEP_2) | instskip(NEXT) | instid1(VALU_DEP_2)
	v_pk_fma_f32 v[8:9], v[24:25], v[16:17], v[8:9] op_sel_hi:[1,0,1]
	v_pk_fma_f32 v[6:7], v[14:15], v[16:17], v[6:7] op_sel_hi:[1,0,1]
	s_and_not1_b32 exec_lo, exec_lo, s7
	s_cbranch_execnz .LBB90_21
; %bb.22:
	s_or_b32 exec_lo, exec_lo, s7
.LBB90_23:
	s_delay_alu instid0(SALU_CYCLE_1)
	s_or_b32 exec_lo, exec_lo, s6
.LBB90_24:
	s_delay_alu instid0(SALU_CYCLE_1)
	s_or_b32 exec_lo, exec_lo, s3
	s_cbranch_execz .LBB90_26
	s_branch .LBB90_37
.LBB90_25:
                                        ; implicit-def: $vgpr7
                                        ; implicit-def: $vgpr9
.LBB90_26:
	v_dual_mov_b32 v7, 0 :: v_dual_mov_b32 v6, 0
	v_dual_mov_b32 v9, 0 :: v_dual_mov_b32 v8, 0
	s_and_saveexec_b32 s3, s2
	s_cbranch_execz .LBB90_36
; %bb.27:
	v_add_nc_u32_e32 v6, v12, v3
	v_not_b32_e32 v7, v12
	v_mov_b64_e32 v[8:9], 0
	s_mov_b32 s2, exec_lo
	s_delay_alu instid0(VALU_DEP_3) | instskip(NEXT) | instid1(VALU_DEP_1)
	v_subrev_nc_u32_e32 v6, s16, v6
	v_add_max_i32_e64 v6, v6, 4, v1
	s_delay_alu instid0(VALU_DEP_1) | instskip(NEXT) | instid1(VALU_DEP_1)
	v_add3_u32 v6, s16, v6, v7
	v_sub_nc_u32_e32 v10, v6, v3
	v_mov_b64_e32 v[6:7], 0
	s_delay_alu instid0(VALU_DEP_2) | instskip(NEXT) | instid1(VALU_DEP_1)
	v_and_b32_e32 v11, 12, v10
	v_cmpx_ne_u32_e32 12, v11
	s_cbranch_execz .LBB90_31
; %bb.28:
	v_dual_lshrrev_b32 v6, 2, v10 :: v_dual_mov_b32 v8, 0
	s_mov_b32 s6, 0
	s_delay_alu instid0(VALU_DEP_1) | instskip(NEXT) | instid1(VALU_DEP_1)
	v_dual_mov_b32 v9, v8 :: v_dual_add_nc_u32 v6, 1, v6
	v_dual_mov_b32 v6, v8 :: v_dual_bitop2_b32 v7, 3, v6 bitop3:0x40
	s_delay_alu instid0(VALU_DEP_1)
	v_dual_sub_nc_u32 v11, 0, v7 :: v_dual_mov_b32 v7, v8
.LBB90_29:                              ; =>This Inner Loop Header: Depth=1
	global_load_b32 v16, v0, s[8:9] scale_offset
	global_load_b128 v[12:15], v[4:5], off
	s_wait_xcnt 0x1
	v_add_nc_u32_e32 v0, 4, v0
	v_add_co_u32 v11, s7, v11, 1
	s_or_b32 s6, s7, s6
	s_wait_loadcnt 0x1
	v_subrev_nc_u32_e32 v16, s16, v16
	s_wait_loadcnt 0x0
	v_dual_lshrrev_b32 v30, 16, v13 :: v_dual_lshrrev_b32 v31, 16, v15
	v_cvt_f32_f16_e32 v24, v15
	s_delay_alu instid0(VALU_DEP_3) | instskip(SKIP_1) | instid1(VALU_DEP_2)
	v_dual_lshrrev_b32 v25, 16, v14 :: v_dual_lshlrev_b32 v16, 2, v16
	v_cvt_f32_f16_e32 v14, v14
	v_cvt_f32_f16_e32 v15, v25
	s_delay_alu instid0(VALU_DEP_3) | instskip(SKIP_2) | instid1(VALU_DEP_2)
	v_ashrrev_i32_e32 v17, 31, v16
	v_cvt_f32_f16_e32 v25, v31
	s_wait_kmcnt 0x0
	v_lshl_add_u64 v[20:21], v[16:17], 1, s[4:5]
	global_load_b64 v[22:23], v[20:21], off
	global_load_b128 v[16:19], v[4:5], off offset:16
	s_wait_xcnt 0x1
	v_lshrrev_b32_e32 v21, 16, v12
	v_cvt_f32_f16_e32 v12, v12
	v_cvt_f32_f16_e32 v20, v13
	s_wait_xcnt 0x0
	v_add_nc_u64_e32 v[4:5], 0x80, v[4:5]
	s_wait_loadcnt 0x0
	v_dual_lshrrev_b32 v29, 16, v18 :: v_dual_lshrrev_b32 v32, 16, v17
	v_lshrrev_b32_e32 v33, 16, v19
	v_cvt_f32_f16_e32 v28, v19
	v_cvt_f32_f16_e32 v13, v21
	;; [unrolled: 1-line block ×3, first 2 shown]
	v_lshrrev_b32_e32 v19, 16, v22
	v_cvt_f32_f16_e32 v22, v22
	v_lshrrev_b32_e32 v27, 16, v16
	v_cvt_f32_f16_e32 v16, v16
	v_cvt_f32_f16_e32 v26, v17
	;; [unrolled: 1-line block ×3, first 2 shown]
	v_pk_fma_f32 v[8:9], v[12:13], v[22:23], v[8:9] op_sel_hi:[1,0,1]
	v_pk_fma_f32 v[6:7], v[20:21], v[22:23], v[6:7] op_sel_hi:[1,0,1]
	v_lshrrev_b32_e32 v13, 16, v23
	v_cvt_f32_f16_e32 v30, v19
	v_cvt_f32_f16_e32 v17, v27
	;; [unrolled: 1-line block ×5, first 2 shown]
	v_pk_fma_f32 v[8:9], v[14:15], v[30:31], v[8:9] op_sel_hi:[1,0,1]
	v_pk_fma_f32 v[6:7], v[24:25], v[30:31], v[6:7] op_sel_hi:[1,0,1]
	v_cvt_f32_f16_e32 v29, v33
	v_cvt_f32_f16_e32 v14, v13
	s_delay_alu instid0(VALU_DEP_4) | instskip(NEXT) | instid1(VALU_DEP_4)
	v_pk_fma_f32 v[8:9], v[16:17], v[12:13], v[8:9] op_sel_hi:[1,0,1]
	v_pk_fma_f32 v[6:7], v[26:27], v[12:13], v[6:7] op_sel_hi:[1,0,1]
	s_delay_alu instid0(VALU_DEP_2) | instskip(NEXT) | instid1(VALU_DEP_2)
	v_pk_fma_f32 v[8:9], v[18:19], v[14:15], v[8:9] op_sel_hi:[1,0,1]
	v_pk_fma_f32 v[6:7], v[28:29], v[14:15], v[6:7] op_sel_hi:[1,0,1]
	s_and_not1_b32 exec_lo, exec_lo, s6
	s_cbranch_execnz .LBB90_29
; %bb.30:
	s_or_b32 exec_lo, exec_lo, s6
.LBB90_31:
	s_delay_alu instid0(SALU_CYCLE_1) | instskip(NEXT) | instid1(SALU_CYCLE_1)
	s_or_b32 exec_lo, exec_lo, s2
	s_mov_b32 s2, exec_lo
	v_cmpx_lt_u32_e32 11, v10
	s_cbranch_execz .LBB90_35
; %bb.32:
	s_mov_b32 s6, 0
.LBB90_33:                              ; =>This Inner Loop Header: Depth=1
	s_clause 0x3
	global_load_b128 v[10:13], v[4:5], off
	global_load_b128 v[14:17], v[4:5], off offset:16
	global_load_b128 v[18:21], v[4:5], off offset:128
	;; [unrolled: 1-line block ×3, first 2 shown]
	global_load_b32 v27, v0, s[8:9] scale_offset
	s_wait_loadcnt 0x4
	v_dual_lshrrev_b32 v37, 16, v11 :: v_dual_lshrrev_b32 v39, 16, v13
	v_cvt_f32_f16_e32 v28, v13
	s_wait_loadcnt 0x3
	v_dual_lshrrev_b32 v41, 16, v15 :: v_dual_lshrrev_b32 v58, 16, v17
	v_cvt_f32_f16_e32 v30, v15
	s_clause 0x1
	global_load_b32 v13, v0, s[8:9] offset:16 scale_offset
	global_load_b32 v15, v0, s[8:9] offset:32 scale_offset
	v_cvt_f32_f16_e32 v32, v17
	global_load_b32 v17, v0, s[8:9] offset:48 scale_offset
	s_wait_loadcnt 0x5
	v_dual_lshrrev_b32 v63, 16, v19 :: v_dual_lshrrev_b32 v64, 16, v21
	v_cvt_f32_f16_e32 v34, v19
	s_wait_loadcnt 0x3
	v_subrev_nc_u32_e32 v19, s16, v27
	v_dual_lshrrev_b32 v29, 16, v10 :: v_dual_lshrrev_b32 v31, 16, v12
	v_cvt_f32_f16_e32 v10, v10
	v_cvt_f32_f16_e32 v26, v11
	v_cvt_f32_f16_e32 v27, v37
	s_delay_alu instid0(VALU_DEP_4)
	v_cvt_f32_f16_e32 v11, v29
	v_cvt_f32_f16_e32 v12, v12
	v_dual_lshrrev_b32 v33, 16, v14 :: v_dual_lshrrev_b32 v35, 16, v16
	v_cvt_f32_f16_e32 v29, v39
	v_cvt_f32_f16_e32 v14, v14
	;; [unrolled: 1-line block ×3, first 2 shown]
	v_dual_lshrrev_b32 v59, 16, v18 :: v_dual_lshrrev_b32 v60, 16, v20
	v_cvt_f32_f16_e32 v18, v18
	v_cvt_f32_f16_e32 v20, v20
	;; [unrolled: 1-line block ×5, first 2 shown]
	v_dual_lshrrev_b32 v61, 16, v22 :: v_dual_lshrrev_b32 v62, 16, v24
	v_dual_lshrrev_b32 v65, 16, v23 :: v_dual_lshrrev_b32 v66, 16, v25
	v_cvt_f32_f16_e32 v22, v22
	v_cvt_f32_f16_e32 v38, v23
	s_delay_alu instid0(VALU_DEP_4) | instskip(NEXT) | instid1(VALU_DEP_4)
	v_cvt_f32_f16_e32 v23, v61
	v_cvt_f32_f16_e32 v39, v65
	;; [unrolled: 1-line block ×5, first 2 shown]
	s_wait_xcnt 0x0
	v_add_nc_u32_e32 v0, 16, v0
	s_delay_alu instid0(VALU_DEP_1)
	v_cmp_ge_i32_e32 vcc_lo, v0, v1
	s_or_b32 s6, vcc_lo, s6
	s_wait_loadcnt 0x2
	v_subrev_nc_u32_e32 v13, s16, v13
	s_wait_loadcnt 0x1
	v_subrev_nc_u32_e32 v15, s16, v15
	v_lshlrev_b32_e32 v42, 2, v19
	s_wait_loadcnt 0x0
	v_subrev_nc_u32_e32 v17, s16, v17
	v_cvt_f32_f16_e32 v19, v59
	v_dual_lshlrev_b32 v44, 2, v13 :: v_dual_lshlrev_b32 v46, 2, v15
	s_delay_alu instid0(VALU_DEP_3) | instskip(SKIP_1) | instid1(VALU_DEP_3)
	v_dual_ashrrev_i32 v43, 31, v42 :: v_dual_lshlrev_b32 v48, 2, v17
	v_cvt_f32_f16_e32 v13, v31
	v_dual_ashrrev_i32 v45, 31, v44 :: v_dual_ashrrev_i32 v47, 31, v46
	s_wait_kmcnt 0x0
	s_delay_alu instid0(VALU_DEP_3)
	v_lshl_add_u64 v[42:43], v[42:43], 1, s[4:5]
	v_ashrrev_i32_e32 v49, 31, v48
	v_cvt_f32_f16_e32 v15, v33
	v_lshl_add_u64 v[44:45], v[44:45], 1, s[4:5]
	v_lshl_add_u64 v[46:47], v[46:47], 1, s[4:5]
	v_cvt_f32_f16_e32 v31, v41
	v_lshl_add_u64 v[48:49], v[48:49], 1, s[4:5]
	s_clause 0x3
	global_load_b64 v[50:51], v[42:43], off
	global_load_b64 v[52:53], v[44:45], off
	;; [unrolled: 1-line block ×4, first 2 shown]
	v_cvt_f32_f16_e32 v17, v35
	v_cvt_f32_f16_e32 v33, v58
	;; [unrolled: 1-line block ×4, first 2 shown]
	s_wait_loadcnt 0x3
	s_wait_xcnt 0x3
	v_cvt_f32_f16_e32 v42, v50
	s_delay_alu instid0(VALU_DEP_1) | instskip(SKIP_2) | instid1(VALU_DEP_1)
	v_pk_fma_f32 v[8:9], v[10:11], v[42:43], v[8:9] op_sel_hi:[1,0,1]
	v_pk_fma_f32 v[10:11], v[26:27], v[42:43], v[6:7] op_sel_hi:[1,0,1]
	v_lshrrev_b32_e32 v6, 16, v50
	v_cvt_f32_f16_e32 v26, v6
	s_delay_alu instid0(VALU_DEP_1) | instskip(SKIP_3) | instid1(VALU_DEP_1)
	v_pk_fma_f32 v[12:13], v[12:13], v[26:27], v[8:9] op_sel_hi:[1,0,1]
	global_load_b128 v[6:9], v[4:5], off offset:256
	v_pk_fma_f32 v[26:27], v[28:29], v[26:27], v[10:11] op_sel_hi:[1,0,1]
	v_cvt_f32_f16_e32 v28, v51
	v_pk_fma_f32 v[14:15], v[14:15], v[28:29], v[12:13] op_sel_hi:[1,0,1]
	global_load_b128 v[10:13], v[4:5], off offset:272
	s_wait_loadcnt 0x1
	s_wait_xcnt 0x3
	v_dual_lshrrev_b32 v29, 16, v6 :: v_dual_lshrrev_b32 v47, 16, v9
	v_cvt_f32_f16_e32 v42, v9
	s_delay_alu instid0(VALU_DEP_2)
	v_pk_fma_f32 v[26:27], v[30:31], v[28:29], v[26:27] op_sel_hi:[1,0,1]
	v_cvt_f32_f16_e32 v28, v6
	v_dual_lshrrev_b32 v6, 16, v51 :: v_dual_lshrrev_b32 v31, 16, v8
	v_cvt_f32_f16_e32 v30, v8
	s_wait_loadcnt 0x0
	v_dual_lshrrev_b32 v43, 16, v10 :: v_dual_lshrrev_b32 v49, 16, v11
	v_lshrrev_b32_e32 v50, 16, v13
	v_cvt_f32_f16_e32 v6, v6
	v_cvt_f32_f16_e32 v46, v11
	v_lshrrev_b32_e32 v45, 16, v12
	v_cvt_f32_f16_e32 v44, v12
	v_cvt_f32_f16_e32 v48, v13
	v_pk_fma_f32 v[14:15], v[16:17], v[6:7], v[14:15] op_sel_hi:[1,0,1]
	v_pk_fma_f32 v[26:27], v[32:33], v[6:7], v[26:27] op_sel_hi:[1,0,1]
	v_cvt_f32_f16_e32 v6, v52
	v_cvt_f32_f16_e32 v16, v10
	v_lshrrev_b32_e32 v33, 16, v7
	v_cvt_f32_f16_e32 v32, v7
	v_cvt_f32_f16_e32 v29, v29
	v_pk_fma_f32 v[8:9], v[18:19], v[6:7], v[14:15] op_sel_hi:[1,0,1]
	v_pk_fma_f32 v[10:11], v[34:35], v[6:7], v[26:27] op_sel_hi:[1,0,1]
	v_lshrrev_b32_e32 v6, 16, v52
	v_cvt_f32_f16_e32 v33, v33
	v_cvt_f32_f16_e32 v31, v31
	;; [unrolled: 1-line block ×8, first 2 shown]
	s_delay_alu instid0(VALU_DEP_4)
	v_pk_fma_f32 v[14:15], v[20:21], v[12:13], v[8:9] op_sel_hi:[1,0,1]
	global_load_b128 v[6:9], v[4:5], off offset:384
	v_pk_fma_f32 v[18:19], v[36:37], v[12:13], v[10:11] op_sel_hi:[1,0,1]
	global_load_b128 v[10:13], v[4:5], off offset:400
	v_cvt_f32_f16_e32 v20, v53
	s_wait_xcnt 0x0
	v_add_nc_u64_e32 v[4:5], 0x200, v[4:5]
	s_wait_loadcnt 0x1
	v_dual_lshrrev_b32 v21, 16, v6 :: v_dual_lshrrev_b32 v27, 16, v7
	s_wait_loadcnt 0x0
	v_dual_lshrrev_b32 v35, 16, v9 :: v_dual_lshrrev_b32 v37, 16, v10
	v_cvt_f32_f16_e32 v26, v11
	s_delay_alu instid0(VALU_DEP_3)
	v_pk_fma_f32 v[14:15], v[22:23], v[20:21], v[14:15] op_sel_hi:[1,0,1]
	v_lshrrev_b32_e32 v23, 16, v8
	v_pk_fma_f32 v[18:19], v[38:39], v[20:21], v[18:19] op_sel_hi:[1,0,1]
	v_cvt_f32_f16_e32 v20, v7
	v_dual_lshrrev_b32 v7, 16, v53 :: v_dual_lshrrev_b32 v38, 16, v12
	v_lshrrev_b32_e32 v39, 16, v11
	v_dual_lshrrev_b32 v11, 16, v55 :: v_dual_lshrrev_b32 v51, 16, v13
	s_delay_alu instid0(VALU_DEP_3)
	v_cvt_f32_f16_e32 v36, v7
	v_lshrrev_b32_e32 v7, 16, v54
	v_cvt_f32_f16_e32 v34, v13
	v_lshrrev_b32_e32 v13, 16, v56
	v_cvt_f32_f16_e32 v6, v6
	v_pk_fma_f32 v[14:15], v[24:25], v[36:37], v[14:15] op_sel_hi:[1,0,1]
	v_pk_fma_f32 v[18:19], v[40:41], v[36:37], v[18:19] op_sel_hi:[1,0,1]
	v_cvt_f32_f16_e32 v24, v54
	v_cvt_f32_f16_e32 v36, v7
	;; [unrolled: 1-line block ×5, first 2 shown]
	v_pk_fma_f32 v[14:15], v[28:29], v[24:25], v[14:15] op_sel_hi:[1,0,1]
	v_pk_fma_f32 v[18:19], v[32:33], v[24:25], v[18:19] op_sel_hi:[1,0,1]
	v_cvt_f32_f16_e32 v24, v55
	v_cvt_f32_f16_e32 v28, v11
	v_cvt_f32_f16_e32 v22, v9
	v_pk_fma_f32 v[14:15], v[30:31], v[36:37], v[14:15] op_sel_hi:[1,0,1]
	v_pk_fma_f32 v[18:19], v[42:43], v[36:37], v[18:19] op_sel_hi:[1,0,1]
	v_cvt_f32_f16_e32 v9, v23
	v_cvt_f32_f16_e32 v23, v35
	v_cvt_f32_f16_e32 v10, v10
	;; [unrolled: 5-line block ×4, first 2 shown]
	v_pk_fma_f32 v[6:7], v[6:7], v[18:19], v[14:15] op_sel_hi:[1,0,1]
	v_pk_fma_f32 v[14:15], v[20:21], v[18:19], v[16:17] op_sel_hi:[1,0,1]
	v_lshrrev_b32_e32 v17, 16, v57
	v_cvt_f32_f16_e32 v16, v57
	v_cvt_f32_f16_e32 v35, v51
	v_pk_fma_f32 v[6:7], v[8:9], v[24:25], v[6:7] op_sel_hi:[1,0,1]
	v_pk_fma_f32 v[8:9], v[22:23], v[24:25], v[14:15] op_sel_hi:[1,0,1]
	v_cvt_f32_f16_e32 v14, v17
	s_delay_alu instid0(VALU_DEP_3) | instskip(NEXT) | instid1(VALU_DEP_3)
	v_pk_fma_f32 v[6:7], v[10:11], v[16:17], v[6:7] op_sel_hi:[1,0,1]
	v_pk_fma_f32 v[10:11], v[26:27], v[16:17], v[8:9] op_sel_hi:[1,0,1]
	s_delay_alu instid0(VALU_DEP_2) | instskip(NEXT) | instid1(VALU_DEP_2)
	v_pk_fma_f32 v[8:9], v[12:13], v[14:15], v[6:7] op_sel_hi:[1,0,1]
	v_pk_fma_f32 v[6:7], v[34:35], v[14:15], v[10:11] op_sel_hi:[1,0,1]
	s_and_not1_b32 exec_lo, exec_lo, s6
	s_cbranch_execnz .LBB90_33
; %bb.34:
	s_or_b32 exec_lo, exec_lo, s6
.LBB90_35:
	s_delay_alu instid0(SALU_CYCLE_1)
	s_or_b32 exec_lo, exec_lo, s2
.LBB90_36:
	s_delay_alu instid0(SALU_CYCLE_1)
	s_or_b32 exec_lo, exec_lo, s3
.LBB90_37:
	v_mbcnt_lo_u32_b32 v10, -1, 0
	s_mov_b32 s2, -1
	s_delay_alu instid0(VALU_DEP_1) | instskip(SKIP_1) | instid1(VALU_DEP_1)
	v_xor_b32_e32 v11, 1, v10
	v_xor_b32_e32 v0, 2, v10
	v_cmp_gt_i32_e32 vcc_lo, 32, v0
	v_cndmask_b32_e32 v0, v10, v0, vcc_lo
	s_delay_alu instid0(VALU_DEP_4) | instskip(SKIP_2) | instid1(VALU_DEP_2)
	v_cmp_gt_i32_e32 vcc_lo, 32, v11
	v_cndmask_b32_e32 v10, v10, v11, vcc_lo
	v_cmp_eq_u32_e32 vcc_lo, 3, v3
	v_dual_lshlrev_b32 v10, 2, v10 :: v_dual_lshlrev_b32 v5, 2, v0
	ds_bpermute_b32 v0, v5, v8
	ds_bpermute_b32 v1, v5, v9
	;; [unrolled: 1-line block ×4, first 2 shown]
	s_wait_dscnt 0x2
	v_pk_add_f32 v[0:1], v[8:9], v[0:1]
	s_wait_dscnt 0x0
	v_pk_add_f32 v[6:7], v[6:7], v[4:5]
	ds_bpermute_b32 v4, v10, v0
	ds_bpermute_b32 v5, v10, v1
	;; [unrolled: 1-line block ×4, first 2 shown]
	s_and_b32 exec_lo, exec_lo, vcc_lo
	s_cbranch_execz .LBB90_10
; %bb.38:
	s_load_b64 s[0:1], s[0:1], 0x50
	s_wait_dscnt 0x2
	v_pk_add_f32 v[4:5], v[0:1], v[4:5]
	s_wait_dscnt 0x0
	v_pk_add_f32 v[0:1], v[6:7], v[8:9]
	v_lshlrev_b32_e32 v2, 2, v2
	s_cmp_eq_f32 s14, 0
	s_cbranch_scc0 .LBB90_40
; %bb.39:
	s_delay_alu instid0(VALU_DEP_1)
	v_ashrrev_i32_e32 v3, 31, v2
	v_pk_mul_f32 v[6:7], s[12:13], v[4:5] op_sel_hi:[0,1]
	v_pk_mul_f32 v[8:9], s[12:13], v[0:1] op_sel_hi:[0,1]
	s_mov_b32 s2, 0
	s_wait_kmcnt 0x0
	v_lshl_add_u64 v[10:11], v[2:3], 2, s[0:1]
	global_store_b128 v[10:11], v[6:9], off
.LBB90_40:
	s_and_not1_b32 vcc_lo, exec_lo, s2
	s_cbranch_vccnz .LBB90_10
; %bb.41:
	v_ashrrev_i32_e32 v3, 31, v2
	s_wait_kmcnt 0x0
	s_delay_alu instid0(VALU_DEP_1)
	v_lshl_add_u64 v[10:11], v[2:3], 2, s[0:1]
	v_pk_mul_f32 v[2:3], s[12:13], v[4:5] op_sel_hi:[0,1]
	v_pk_mul_f32 v[4:5], s[12:13], v[0:1] op_sel_hi:[0,1]
	global_load_b128 v[6:9], v[10:11], off
	s_wait_loadcnt 0x0
	v_pk_fma_f32 v[0:1], s[14:15], v[6:7], v[2:3] op_sel_hi:[0,1,1]
	v_pk_fma_f32 v[2:3], s[14:15], v[8:9], v[4:5] op_sel_hi:[0,1,1]
	global_store_b128 v[10:11], v[0:3], off
	s_sendmsg sendmsg(MSG_DEALLOC_VGPRS)
	s_endpgm
	.section	.rodata,"a",@progbits
	.p2align	6, 0x0
	.amdhsa_kernel _ZN9rocsparseL18bsrxmvn_4x4_kernelILj128ELj4EfiiDF16_DF16_fEEvT3_20rocsparse_direction_NS_24const_host_device_scalarIT1_EES1_PKS1_PKT2_SA_S7_PKT4_PKT5_S5_PT6_21rocsparse_index_base_b
		.amdhsa_group_segment_fixed_size 0
		.amdhsa_private_segment_fixed_size 0
		.amdhsa_kernarg_size 96
		.amdhsa_user_sgpr_count 2
		.amdhsa_user_sgpr_dispatch_ptr 0
		.amdhsa_user_sgpr_queue_ptr 0
		.amdhsa_user_sgpr_kernarg_segment_ptr 1
		.amdhsa_user_sgpr_dispatch_id 0
		.amdhsa_user_sgpr_kernarg_preload_length 0
		.amdhsa_user_sgpr_kernarg_preload_offset 0
		.amdhsa_user_sgpr_private_segment_size 0
		.amdhsa_wavefront_size32 1
		.amdhsa_uses_dynamic_stack 0
		.amdhsa_enable_private_segment 0
		.amdhsa_system_sgpr_workgroup_id_x 1
		.amdhsa_system_sgpr_workgroup_id_y 0
		.amdhsa_system_sgpr_workgroup_id_z 0
		.amdhsa_system_sgpr_workgroup_info 0
		.amdhsa_system_vgpr_workitem_id 0
		.amdhsa_next_free_vgpr 77
		.amdhsa_next_free_sgpr 18
		.amdhsa_named_barrier_count 0
		.amdhsa_reserve_vcc 1
		.amdhsa_float_round_mode_32 0
		.amdhsa_float_round_mode_16_64 0
		.amdhsa_float_denorm_mode_32 3
		.amdhsa_float_denorm_mode_16_64 3
		.amdhsa_fp16_overflow 0
		.amdhsa_memory_ordered 1
		.amdhsa_forward_progress 1
		.amdhsa_inst_pref_size 35
		.amdhsa_round_robin_scheduling 0
		.amdhsa_exception_fp_ieee_invalid_op 0
		.amdhsa_exception_fp_denorm_src 0
		.amdhsa_exception_fp_ieee_div_zero 0
		.amdhsa_exception_fp_ieee_overflow 0
		.amdhsa_exception_fp_ieee_underflow 0
		.amdhsa_exception_fp_ieee_inexact 0
		.amdhsa_exception_int_div_zero 0
	.end_amdhsa_kernel
	.section	.text._ZN9rocsparseL18bsrxmvn_4x4_kernelILj128ELj4EfiiDF16_DF16_fEEvT3_20rocsparse_direction_NS_24const_host_device_scalarIT1_EES1_PKS1_PKT2_SA_S7_PKT4_PKT5_S5_PT6_21rocsparse_index_base_b,"axG",@progbits,_ZN9rocsparseL18bsrxmvn_4x4_kernelILj128ELj4EfiiDF16_DF16_fEEvT3_20rocsparse_direction_NS_24const_host_device_scalarIT1_EES1_PKS1_PKT2_SA_S7_PKT4_PKT5_S5_PT6_21rocsparse_index_base_b,comdat
.Lfunc_end90:
	.size	_ZN9rocsparseL18bsrxmvn_4x4_kernelILj128ELj4EfiiDF16_DF16_fEEvT3_20rocsparse_direction_NS_24const_host_device_scalarIT1_EES1_PKS1_PKT2_SA_S7_PKT4_PKT5_S5_PT6_21rocsparse_index_base_b, .Lfunc_end90-_ZN9rocsparseL18bsrxmvn_4x4_kernelILj128ELj4EfiiDF16_DF16_fEEvT3_20rocsparse_direction_NS_24const_host_device_scalarIT1_EES1_PKS1_PKT2_SA_S7_PKT4_PKT5_S5_PT6_21rocsparse_index_base_b
                                        ; -- End function
	.set _ZN9rocsparseL18bsrxmvn_4x4_kernelILj128ELj4EfiiDF16_DF16_fEEvT3_20rocsparse_direction_NS_24const_host_device_scalarIT1_EES1_PKS1_PKT2_SA_S7_PKT4_PKT5_S5_PT6_21rocsparse_index_base_b.num_vgpr, 77
	.set _ZN9rocsparseL18bsrxmvn_4x4_kernelILj128ELj4EfiiDF16_DF16_fEEvT3_20rocsparse_direction_NS_24const_host_device_scalarIT1_EES1_PKS1_PKT2_SA_S7_PKT4_PKT5_S5_PT6_21rocsparse_index_base_b.num_agpr, 0
	.set _ZN9rocsparseL18bsrxmvn_4x4_kernelILj128ELj4EfiiDF16_DF16_fEEvT3_20rocsparse_direction_NS_24const_host_device_scalarIT1_EES1_PKS1_PKT2_SA_S7_PKT4_PKT5_S5_PT6_21rocsparse_index_base_b.numbered_sgpr, 18
	.set _ZN9rocsparseL18bsrxmvn_4x4_kernelILj128ELj4EfiiDF16_DF16_fEEvT3_20rocsparse_direction_NS_24const_host_device_scalarIT1_EES1_PKS1_PKT2_SA_S7_PKT4_PKT5_S5_PT6_21rocsparse_index_base_b.num_named_barrier, 0
	.set _ZN9rocsparseL18bsrxmvn_4x4_kernelILj128ELj4EfiiDF16_DF16_fEEvT3_20rocsparse_direction_NS_24const_host_device_scalarIT1_EES1_PKS1_PKT2_SA_S7_PKT4_PKT5_S5_PT6_21rocsparse_index_base_b.private_seg_size, 0
	.set _ZN9rocsparseL18bsrxmvn_4x4_kernelILj128ELj4EfiiDF16_DF16_fEEvT3_20rocsparse_direction_NS_24const_host_device_scalarIT1_EES1_PKS1_PKT2_SA_S7_PKT4_PKT5_S5_PT6_21rocsparse_index_base_b.uses_vcc, 1
	.set _ZN9rocsparseL18bsrxmvn_4x4_kernelILj128ELj4EfiiDF16_DF16_fEEvT3_20rocsparse_direction_NS_24const_host_device_scalarIT1_EES1_PKS1_PKT2_SA_S7_PKT4_PKT5_S5_PT6_21rocsparse_index_base_b.uses_flat_scratch, 0
	.set _ZN9rocsparseL18bsrxmvn_4x4_kernelILj128ELj4EfiiDF16_DF16_fEEvT3_20rocsparse_direction_NS_24const_host_device_scalarIT1_EES1_PKS1_PKT2_SA_S7_PKT4_PKT5_S5_PT6_21rocsparse_index_base_b.has_dyn_sized_stack, 0
	.set _ZN9rocsparseL18bsrxmvn_4x4_kernelILj128ELj4EfiiDF16_DF16_fEEvT3_20rocsparse_direction_NS_24const_host_device_scalarIT1_EES1_PKS1_PKT2_SA_S7_PKT4_PKT5_S5_PT6_21rocsparse_index_base_b.has_recursion, 0
	.set _ZN9rocsparseL18bsrxmvn_4x4_kernelILj128ELj4EfiiDF16_DF16_fEEvT3_20rocsparse_direction_NS_24const_host_device_scalarIT1_EES1_PKS1_PKT2_SA_S7_PKT4_PKT5_S5_PT6_21rocsparse_index_base_b.has_indirect_call, 0
	.section	.AMDGPU.csdata,"",@progbits
; Kernel info:
; codeLenInByte = 4416
; TotalNumSgprs: 20
; NumVgprs: 77
; ScratchSize: 0
; MemoryBound: 0
; FloatMode: 240
; IeeeMode: 1
; LDSByteSize: 0 bytes/workgroup (compile time only)
; SGPRBlocks: 0
; VGPRBlocks: 4
; NumSGPRsForWavesPerEU: 20
; NumVGPRsForWavesPerEU: 77
; NamedBarCnt: 0
; Occupancy: 12
; WaveLimiterHint : 1
; COMPUTE_PGM_RSRC2:SCRATCH_EN: 0
; COMPUTE_PGM_RSRC2:USER_SGPR: 2
; COMPUTE_PGM_RSRC2:TRAP_HANDLER: 0
; COMPUTE_PGM_RSRC2:TGID_X_EN: 1
; COMPUTE_PGM_RSRC2:TGID_Y_EN: 0
; COMPUTE_PGM_RSRC2:TGID_Z_EN: 0
; COMPUTE_PGM_RSRC2:TIDIG_COMP_CNT: 0
	.section	.text._ZN9rocsparseL18bsrxmvn_4x4_kernelILj128ELj8EfiiDF16_DF16_fEEvT3_20rocsparse_direction_NS_24const_host_device_scalarIT1_EES1_PKS1_PKT2_SA_S7_PKT4_PKT5_S5_PT6_21rocsparse_index_base_b,"axG",@progbits,_ZN9rocsparseL18bsrxmvn_4x4_kernelILj128ELj8EfiiDF16_DF16_fEEvT3_20rocsparse_direction_NS_24const_host_device_scalarIT1_EES1_PKS1_PKT2_SA_S7_PKT4_PKT5_S5_PT6_21rocsparse_index_base_b,comdat
	.globl	_ZN9rocsparseL18bsrxmvn_4x4_kernelILj128ELj8EfiiDF16_DF16_fEEvT3_20rocsparse_direction_NS_24const_host_device_scalarIT1_EES1_PKS1_PKT2_SA_S7_PKT4_PKT5_S5_PT6_21rocsparse_index_base_b ; -- Begin function _ZN9rocsparseL18bsrxmvn_4x4_kernelILj128ELj8EfiiDF16_DF16_fEEvT3_20rocsparse_direction_NS_24const_host_device_scalarIT1_EES1_PKS1_PKT2_SA_S7_PKT4_PKT5_S5_PT6_21rocsparse_index_base_b
	.p2align	8
	.type	_ZN9rocsparseL18bsrxmvn_4x4_kernelILj128ELj8EfiiDF16_DF16_fEEvT3_20rocsparse_direction_NS_24const_host_device_scalarIT1_EES1_PKS1_PKT2_SA_S7_PKT4_PKT5_S5_PT6_21rocsparse_index_base_b,@function
_ZN9rocsparseL18bsrxmvn_4x4_kernelILj128ELj8EfiiDF16_DF16_fEEvT3_20rocsparse_direction_NS_24const_host_device_scalarIT1_EES1_PKS1_PKT2_SA_S7_PKT4_PKT5_S5_PT6_21rocsparse_index_base_b: ; @_ZN9rocsparseL18bsrxmvn_4x4_kernelILj128ELj8EfiiDF16_DF16_fEEvT3_20rocsparse_direction_NS_24const_host_device_scalarIT1_EES1_PKS1_PKT2_SA_S7_PKT4_PKT5_S5_PT6_21rocsparse_index_base_b
; %bb.0:
	s_clause 0x2
	s_load_b64 s[16:17], s[0:1], 0x58
	s_load_b64 s[12:13], s[0:1], 0x8
	;; [unrolled: 1-line block ×3, first 2 shown]
	s_wait_kmcnt 0x0
	s_bitcmp1_b32 s17, 0
	s_cselect_b32 s2, -1, 0
	s_delay_alu instid0(SALU_CYCLE_1)
	s_and_b32 vcc_lo, exec_lo, s2
	s_xor_b32 s2, s2, -1
	s_cbranch_vccnz .LBB91_2
; %bb.1:
	s_load_b32 s12, s[12:13], 0x0
.LBB91_2:
	s_and_not1_b32 vcc_lo, exec_lo, s2
	s_cbranch_vccnz .LBB91_4
; %bb.3:
	s_load_b32 s14, s[14:15], 0x0
.LBB91_4:
	s_wait_kmcnt 0x0
	s_cmp_neq_f32 s12, 0
	s_mov_b32 s6, 0
	s_cselect_b32 s2, -1, 0
	s_cmp_neq_f32 s14, 1.0
	s_cselect_b32 s3, -1, 0
	s_delay_alu instid0(SALU_CYCLE_1) | instskip(NEXT) | instid1(SALU_CYCLE_1)
	s_or_b32 s2, s2, s3
	s_and_not1_b32 vcc_lo, exec_lo, s2
	s_cbranch_vccnz .LBB91_10
; %bb.5:
	s_clause 0x1
	s_load_b64 s[4:5], s[0:1], 0x18
	s_load_b64 s[2:3], s[0:1], 0x0
	s_bfe_u32 s7, ttmp6, 0x4000c
	s_and_b32 s8, ttmp6, 15
	s_add_co_i32 s7, s7, 1
	s_getreg_b32 s9, hwreg(HW_REG_IB_STS2, 6, 4)
	s_mul_i32 s7, ttmp9, s7
	v_lshrrev_b32_e32 v1, 3, v0
	s_add_co_i32 s8, s8, s7
	s_cmp_eq_u32 s9, 0
	s_cselect_b32 s7, ttmp9, s8
	s_delay_alu instid0(VALU_DEP_1) | instid1(SALU_CYCLE_1)
	v_lshl_or_b32 v2, s7, 4, v1
	s_wait_kmcnt 0x0
	s_cmp_lg_u64 s[4:5], 0
	s_cbranch_scc0 .LBB91_11
; %bb.6:
	s_load_b32 s6, s[0:1], 0x10
	s_mov_b32 s7, 0
                                        ; implicit-def: $vgpr1
	s_wait_kmcnt 0x0
	v_cmp_gt_i32_e32 vcc_lo, s6, v2
	s_mov_b32 s6, 0
	s_and_saveexec_b32 s8, vcc_lo
	s_delay_alu instid0(SALU_CYCLE_1)
	s_xor_b32 s8, exec_lo, s8
	s_cbranch_execz .LBB91_8
; %bb.7:
	global_load_b32 v1, v2, s[4:5] scale_offset
	s_mov_b32 s6, exec_lo
	s_wait_loadcnt 0x0
	v_subrev_nc_u32_e32 v1, s16, v1
.LBB91_8:
	s_or_b32 exec_lo, exec_lo, s8
	s_delay_alu instid0(SALU_CYCLE_1)
	s_and_b32 vcc_lo, exec_lo, s7
	s_cbranch_vccz .LBB91_12
.LBB91_9:
	v_cmp_gt_i32_e32 vcc_lo, s2, v2
	s_and_not1_b32 s2, s6, exec_lo
	s_and_b32 s4, vcc_lo, exec_lo
	s_delay_alu instid0(SALU_CYCLE_1) | instskip(NEXT) | instid1(SALU_CYCLE_1)
	s_or_b32 s6, s2, s4
	s_and_saveexec_b32 s2, s6
	s_cbranch_execnz .LBB91_13
.LBB91_10:
	s_sendmsg sendmsg(MSG_DEALLOC_VGPRS)
	s_endpgm
.LBB91_11:
                                        ; implicit-def: $vgpr1
	s_cbranch_execnz .LBB91_9
.LBB91_12:
	s_delay_alu instid0(VALU_DEP_1)
	v_mov_b32_e32 v2, v1
	s_and_saveexec_b32 s2, s6
	s_cbranch_execz .LBB91_10
.LBB91_13:
	s_load_b256 s[4:11], s[0:1], 0x20
	s_wait_kmcnt 0x0
	s_cmp_eq_u64 s[6:7], 0
	global_load_b32 v12, v2, s[4:5] scale_offset
	s_cselect_b32 vcc_lo, -1, 0
	v_ashrrev_i32_e32 v3, 31, v2
	s_cmp_eq_u32 s3, 1
	s_delay_alu instid0(VALU_DEP_1) | instskip(SKIP_1) | instid1(VALU_DEP_2)
	v_lshlrev_b64_e32 v[4:5], 2, v[2:3]
	v_and_b32_e32 v3, 7, v0
	v_add_nc_u64_e32 v[6:7], s[4:5], v[4:5]
	v_add_nc_u64_e32 v[4:5], s[6:7], v[4:5]
	s_wait_xcnt 0x0
	s_load_b64 s[4:5], s[0:1], 0x40
	s_delay_alu instid0(VALU_DEP_2) | instskip(NEXT) | instid1(VALU_DEP_1)
	v_add_nc_u64_e32 v[6:7], 4, v[6:7]
	v_dual_cndmask_b32 v5, v5, v7 :: v_dual_cndmask_b32 v4, v4, v6
	global_load_b32 v6, v[4:5], off
	s_wait_loadcnt 0x1
	v_subrev_nc_u32_e32 v0, s16, v12
	s_delay_alu instid0(VALU_DEP_1) | instskip(NEXT) | instid1(VALU_DEP_1)
	v_add_nc_u32_e32 v0, v0, v3
	v_ashrrev_i32_e32 v1, 31, v0
	s_wait_xcnt 0x0
	s_delay_alu instid0(VALU_DEP_1) | instskip(NEXT) | instid1(VALU_DEP_1)
	v_lshlrev_b64_e32 v[4:5], 5, v[0:1]
	v_add_nc_u64_e32 v[4:5], s[10:11], v[4:5]
	s_wait_loadcnt 0x0
	v_subrev_nc_u32_e32 v1, s16, v6
	s_delay_alu instid0(VALU_DEP_1)
	v_cmp_lt_i32_e64 s2, v0, v1
	s_cbranch_scc1 .LBB91_25
; %bb.14:
	v_dual_mov_b32 v7, 0 :: v_dual_mov_b32 v6, 0
	v_dual_mov_b32 v9, 0 :: v_dual_mov_b32 v8, 0
	s_and_saveexec_b32 s3, s2
	s_cbranch_execz .LBB91_24
; %bb.15:
	v_add_nc_u32_e32 v6, v12, v3
	v_not_b32_e32 v7, v12
	v_mov_b64_e32 v[8:9], 0
	v_mov_b32_e32 v13, v0
	s_delay_alu instid0(VALU_DEP_4) | instskip(NEXT) | instid1(VALU_DEP_1)
	v_subrev_nc_u32_e32 v6, s16, v6
	v_add_max_i32_e64 v6, v6, 8, v1
	s_delay_alu instid0(VALU_DEP_1) | instskip(NEXT) | instid1(VALU_DEP_1)
	v_add3_u32 v6, s16, v6, v7
	v_sub_nc_u32_e32 v14, v6, v3
	v_mov_b64_e32 v[6:7], 0
	s_delay_alu instid0(VALU_DEP_2) | instskip(NEXT) | instid1(VALU_DEP_1)
	v_and_b32_e32 v10, 24, v14
	v_cmp_ne_u32_e32 vcc_lo, 24, v10
	v_mov_b64_e32 v[10:11], v[4:5]
	s_and_saveexec_b32 s6, vcc_lo
	s_cbranch_execz .LBB91_19
; %bb.16:
	v_dual_lshrrev_b32 v6, 3, v14 :: v_dual_mov_b32 v8, 0
	v_mov_b64_e32 v[10:11], v[4:5]
	s_mov_b32 s7, 0
	s_delay_alu instid0(VALU_DEP_2) | instskip(NEXT) | instid1(VALU_DEP_1)
	v_dual_mov_b32 v13, v0 :: v_dual_add_nc_u32 v6, 1, v6
	v_dual_mov_b32 v9, v8 :: v_dual_bitop2_b32 v7, 3, v6 bitop3:0x40
	s_delay_alu instid0(VALU_DEP_1)
	v_dual_mov_b32 v6, v8 :: v_dual_sub_nc_u32 v15, 0, v7
	v_mov_b32_e32 v7, v8
.LBB91_17:                              ; =>This Inner Loop Header: Depth=1
	global_load_b32 v20, v13, s[8:9] scale_offset
	global_load_b128 v[16:19], v[10:11], off
	s_wait_xcnt 0x1
	v_add_nc_u32_e32 v13, 8, v13
	v_add_co_u32 v15, s10, v15, 1
	s_or_b32 s7, s10, s7
	s_wait_loadcnt 0x1
	v_subrev_nc_u32_e32 v20, s16, v20
	s_wait_loadcnt 0x0
	v_dual_lshrrev_b32 v30, 16, v16 :: v_dual_lshrrev_b32 v33, 16, v19
	v_cvt_f32_f16_e32 v29, v19
	v_cvt_f32_f16_e32 v28, v17
	v_dual_lshlrev_b32 v20, 2, v20 :: v_dual_lshrrev_b32 v31, 16, v18
	s_delay_alu instid0(VALU_DEP_1) | instskip(SKIP_1) | instid1(VALU_DEP_1)
	v_dual_lshrrev_b32 v32, 16, v17 :: v_dual_ashrrev_i32 v21, 31, v20
	s_wait_kmcnt 0x0
	v_lshl_add_u64 v[24:25], v[20:21], 1, s[4:5]
	global_load_b128 v[20:23], v[10:11], off offset:16
	global_load_b64 v[26:27], v[24:25], off
	s_wait_xcnt 0x0
	v_cvt_f32_f16_e32 v25, v18
	v_cvt_f32_f16_e32 v24, v16
	v_add_nc_u64_e32 v[10:11], 0x100, v[10:11]
	s_wait_loadcnt 0x1
	v_cvt_f32_f16_e32 v17, v22
	v_cvt_f32_f16_e32 v16, v20
	v_dual_lshrrev_b32 v34, 16, v20 :: v_dual_lshrrev_b32 v35, 16, v22
	v_cvt_f32_f16_e32 v19, v23
	v_dual_lshrrev_b32 v36, 16, v21 :: v_dual_lshrrev_b32 v37, 16, v23
	v_cvt_f32_f16_e32 v23, v33
	s_wait_loadcnt 0x0
	v_lshrrev_b32_e32 v33, 16, v26
	v_cvt_f32_f16_e32 v22, v26
	v_cvt_f32_f16_e32 v18, v21
	;; [unrolled: 1-line block ×6, first 2 shown]
	v_pk_fma_f32 v[8:9], v[24:25], v[22:23], v[8:9] op_sel_hi:[1,0,1]
	v_pk_fma_f32 v[6:7], v[16:17], v[22:23], v[6:7] op_sel_hi:[1,0,1]
	v_lshrrev_b32_e32 v17, 16, v27
	v_cvt_f32_f16_e32 v26, v33
	v_cvt_f32_f16_e32 v16, v27
	v_cvt_f32_f16_e32 v22, v32
	s_delay_alu instid0(VALU_DEP_4) | instskip(NEXT) | instid1(VALU_DEP_4)
	v_cvt_f32_f16_e32 v24, v17
	v_pk_fma_f32 v[8:9], v[20:21], v[26:27], v[8:9] op_sel_hi:[1,0,1]
	v_pk_fma_f32 v[6:7], v[30:31], v[26:27], v[6:7] op_sel_hi:[1,0,1]
	v_cvt_f32_f16_e32 v21, v37
	v_cvt_f32_f16_e32 v20, v36
	s_delay_alu instid0(VALU_DEP_4) | instskip(NEXT) | instid1(VALU_DEP_4)
	v_pk_fma_f32 v[8:9], v[28:29], v[16:17], v[8:9] op_sel_hi:[1,0,1]
	v_pk_fma_f32 v[6:7], v[18:19], v[16:17], v[6:7] op_sel_hi:[1,0,1]
	s_delay_alu instid0(VALU_DEP_2) | instskip(NEXT) | instid1(VALU_DEP_2)
	v_pk_fma_f32 v[8:9], v[22:23], v[24:25], v[8:9] op_sel_hi:[1,0,1]
	v_pk_fma_f32 v[6:7], v[20:21], v[24:25], v[6:7] op_sel_hi:[1,0,1]
	s_and_not1_b32 exec_lo, exec_lo, s7
	s_cbranch_execnz .LBB91_17
; %bb.18:
	s_or_b32 exec_lo, exec_lo, s7
.LBB91_19:
	s_delay_alu instid0(SALU_CYCLE_1) | instskip(NEXT) | instid1(SALU_CYCLE_1)
	s_or_b32 exec_lo, exec_lo, s6
	s_mov_b32 s6, exec_lo
	v_cmpx_lt_u32_e32 23, v14
	s_cbranch_execz .LBB91_23
; %bb.20:
	s_mov_b32 s7, 0
.LBB91_21:                              ; =>This Inner Loop Header: Depth=1
	global_load_b32 v38, v13, s[8:9] scale_offset
	s_clause 0x4
	global_load_b128 v[14:17], v[10:11], off
	global_load_b128 v[18:21], v[10:11], off offset:16
	global_load_b128 v[22:25], v[10:11], off offset:256
	;; [unrolled: 1-line block ×4, first 2 shown]
	s_clause 0x2
	global_load_b32 v42, v13, s[8:9] offset:32 scale_offset
	global_load_b32 v43, v13, s[8:9] offset:64 scale_offset
	;; [unrolled: 1-line block ×3, first 2 shown]
	global_load_b128 v[34:37], v[10:11], off offset:528
	s_wait_xcnt 0x1
	v_add_nc_u32_e32 v13, 32, v13
	s_delay_alu instid0(VALU_DEP_1)
	v_cmp_ge_i32_e32 vcc_lo, v13, v1
	s_or_b32 s7, vcc_lo, s7
	s_wait_loadcnt 0x9
	v_subrev_nc_u32_e32 v45, s16, v38
	s_wait_loadcnt 0x8
	v_cvt_f32_f16_e32 v40, v15
	v_dual_lshrrev_b32 v56, 16, v15 :: v_dual_lshrrev_b32 v57, 16, v17
	s_wait_loadcnt 0x7
	v_cvt_f32_f16_e32 v15, v20
	v_dual_lshrrev_b32 v58, 16, v18 :: v_dual_lshrrev_b32 v59, 16, v20
	;; [unrolled: 3-line block ×5, first 2 shown]
	s_wait_loadcnt 0x3
	v_subrev_nc_u32_e32 v31, s16, v42
	v_cvt_f32_f16_e32 v41, v17
	v_cvt_f32_f16_e32 v17, v21
	v_dual_lshrrev_b32 v60, 16, v19 :: v_dual_lshrrev_b32 v61, 16, v21
	v_cvt_f32_f16_e32 v21, v25
	v_cvt_f32_f16_e32 v25, v29
	v_dual_lshrrev_b32 v68, 16, v27 :: v_dual_lshrrev_b32 v69, 16, v29
	v_cvt_f32_f16_e32 v29, v33
	s_wait_loadcnt 0x2
	v_subrev_nc_u32_e32 v33, s16, v43
	s_wait_loadcnt 0x1
	v_subrev_nc_u32_e32 v43, s16, v44
	v_cvt_f32_f16_e32 v38, v14
	v_dual_lshrrev_b32 v54, 16, v14 :: v_dual_lshrrev_b32 v55, 16, v16
	v_cvt_f32_f16_e32 v14, v18
	v_cvt_f32_f16_e32 v18, v22
	v_dual_lshrrev_b32 v62, 16, v22 :: v_dual_lshrrev_b32 v63, 16, v24
	v_cvt_f32_f16_e32 v22, v26
	v_cvt_f32_f16_e32 v26, v30
	v_dual_lshrrev_b32 v70, 16, v30 :: v_dual_lshrrev_b32 v71, 16, v32
	v_lshlrev_b32_e32 v30, 2, v45
	v_cvt_f32_f16_e32 v39, v16
	v_cvt_f32_f16_e32 v16, v19
	;; [unrolled: 1-line block ×5, first 2 shown]
	v_dual_lshlrev_b32 v32, 2, v31 :: v_dual_lshlrev_b32 v42, 2, v33
	v_dual_lshlrev_b32 v44, 2, v43 :: v_dual_ashrrev_i32 v31, 31, v30
	s_wait_loadcnt 0x0
	v_dual_lshrrev_b32 v75, 16, v35 :: v_dual_lshrrev_b32 v76, 16, v37
	s_delay_alu instid0(VALU_DEP_3) | instskip(NEXT) | instid1(VALU_DEP_3)
	v_dual_ashrrev_i32 v33, 31, v32 :: v_dual_ashrrev_i32 v43, 31, v42
	v_ashrrev_i32_e32 v45, 31, v44
	s_wait_kmcnt 0x0
	v_lshl_add_u64 v[30:31], v[30:31], 1, s[4:5]
	v_lshrrev_b32_e32 v74, 16, v36
	v_lshl_add_u64 v[32:33], v[32:33], 1, s[4:5]
	v_lshl_add_u64 v[42:43], v[42:43], 1, s[4:5]
	;; [unrolled: 1-line block ×3, first 2 shown]
	s_clause 0x3
	global_load_b64 v[46:47], v[30:31], off
	global_load_b64 v[48:49], v[32:33], off
	;; [unrolled: 1-line block ×4, first 2 shown]
	s_wait_xcnt 0x0
	v_lshrrev_b32_e32 v45, 16, v34
	v_cvt_f32_f16_e32 v32, v35
	v_cvt_f32_f16_e32 v33, v37
	;; [unrolled: 1-line block ×3, first 2 shown]
	s_wait_loadcnt 0x3
	v_cvt_f32_f16_e32 v30, v46
	s_wait_loadcnt 0x2
	v_dual_lshrrev_b32 v42, 16, v47 :: v_dual_lshrrev_b32 v44, 16, v48
	s_delay_alu instid0(VALU_DEP_2)
	v_pk_fma_f32 v[8:9], v[38:39], v[30:31], v[8:9] op_sel_hi:[1,0,1]
	v_pk_fma_f32 v[6:7], v[14:15], v[30:31], v[6:7] op_sel_hi:[1,0,1]
	v_cvt_f32_f16_e32 v30, v34
	v_lshrrev_b32_e32 v34, 16, v46
	v_cvt_f32_f16_e32 v15, v55
	v_cvt_f32_f16_e32 v14, v54
	;; [unrolled: 1-line block ×9, first 2 shown]
	v_pk_fma_f32 v[8:9], v[14:15], v[34:35], v[8:9] op_sel_hi:[1,0,1]
	v_cvt_f32_f16_e32 v15, v59
	v_cvt_f32_f16_e32 v14, v58
	s_delay_alu instid0(VALU_DEP_1) | instskip(SKIP_1) | instid1(VALU_DEP_1)
	v_pk_fma_f32 v[14:15], v[14:15], v[34:35], v[6:7] op_sel_hi:[1,0,1]
	v_cvt_f32_f16_e32 v34, v47
	v_pk_fma_f32 v[40:41], v[40:41], v[34:35], v[8:9] op_sel_hi:[1,0,1]
	global_load_b128 v[6:9], v[10:11], off offset:768
	v_pk_fma_f32 v[34:35], v[16:17], v[34:35], v[14:15] op_sel_hi:[1,0,1]
	global_load_b128 v[14:17], v[10:11], off offset:784
	s_wait_xcnt 0x0
	v_add_nc_u64_e32 v[10:11], 0x400, v[10:11]
	v_pk_fma_f32 v[36:37], v[36:37], v[42:43], v[40:41] op_sel_hi:[1,0,1]
	v_pk_fma_f32 v[34:35], v[38:39], v[42:43], v[34:35] op_sel_hi:[1,0,1]
	v_cvt_f32_f16_e32 v43, v71
	v_cvt_f32_f16_e32 v42, v70
	s_wait_loadcnt 0x1
	v_cvt_f32_f16_e32 v40, v6
	v_dual_lshrrev_b32 v46, 16, v6 :: v_dual_lshrrev_b32 v47, 16, v8
	v_cvt_f32_f16_e32 v6, v48
	v_cvt_f32_f16_e32 v41, v8
	;; [unrolled: 1-line block ×4, first 2 shown]
	v_dual_lshrrev_b32 v54, 16, v7 :: v_dual_lshrrev_b32 v55, 16, v9
	v_pk_fma_f32 v[8:9], v[18:19], v[6:7], v[36:37] op_sel_hi:[1,0,1]
	s_wait_loadcnt 0x0
	v_cvt_f32_f16_e32 v19, v16
	v_cvt_f32_f16_e32 v18, v14
	v_pk_fma_f32 v[6:7], v[22:23], v[6:7], v[34:35] op_sel_hi:[1,0,1]
	v_dual_lshrrev_b32 v56, 16, v14 :: v_dual_lshrrev_b32 v57, 16, v16
	v_cvt_f32_f16_e32 v23, v17
	v_cvt_f32_f16_e32 v22, v15
	v_dual_lshrrev_b32 v58, 16, v15 :: v_dual_lshrrev_b32 v59, 16, v17
	v_cvt_f32_f16_e32 v15, v63
	v_cvt_f32_f16_e32 v14, v62
	;; [unrolled: 1-line block ×6, first 2 shown]
	v_pk_fma_f32 v[8:9], v[14:15], v[44:45], v[8:9] op_sel_hi:[1,0,1]
	v_lshrrev_b32_e32 v15, 16, v49
	v_cvt_f32_f16_e32 v14, v49
	v_pk_fma_f32 v[6:7], v[16:17], v[44:45], v[6:7] op_sel_hi:[1,0,1]
	v_cvt_f32_f16_e32 v37, v69
	v_cvt_f32_f16_e32 v36, v68
	;; [unrolled: 1-line block ×4, first 2 shown]
	v_pk_fma_f32 v[6:7], v[24:25], v[14:15], v[6:7] op_sel_hi:[1,0,1]
	v_lshrrev_b32_e32 v24, 16, v50
	v_cvt_f32_f16_e32 v44, v15
	v_pk_fma_f32 v[8:9], v[20:21], v[14:15], v[8:9] op_sel_hi:[1,0,1]
	v_cvt_f32_f16_e32 v20, v50
	v_cvt_f32_f16_e32 v21, v76
	;; [unrolled: 1-line block ×3, first 2 shown]
	v_pk_fma_f32 v[6:7], v[36:37], v[44:45], v[6:7] op_sel_hi:[1,0,1]
	v_pk_fma_f32 v[8:9], v[34:35], v[44:45], v[8:9] op_sel_hi:[1,0,1]
	v_cvt_f32_f16_e32 v14, v45
	v_cvt_f32_f16_e32 v24, v24
	v_lshrrev_b32_e32 v25, 16, v51
	v_pk_fma_f32 v[6:7], v[30:31], v[20:21], v[6:7] op_sel_hi:[1,0,1]
	v_pk_fma_f32 v[8:9], v[26:27], v[20:21], v[8:9] op_sel_hi:[1,0,1]
	v_cvt_f32_f16_e32 v26, v51
	v_cvt_f32_f16_e32 v20, v75
	s_delay_alu instid0(VALU_DEP_4) | instskip(NEXT) | instid1(VALU_DEP_4)
	v_pk_fma_f32 v[6:7], v[14:15], v[24:25], v[6:7] op_sel_hi:[1,0,1]
	v_pk_fma_f32 v[8:9], v[42:43], v[24:25], v[8:9] op_sel_hi:[1,0,1]
	v_cvt_f32_f16_e32 v15, v47
	v_cvt_f32_f16_e32 v14, v46
	s_delay_alu instid0(VALU_DEP_4) | instskip(NEXT) | instid1(VALU_DEP_4)
	v_pk_fma_f32 v[6:7], v[32:33], v[26:27], v[6:7] op_sel_hi:[1,0,1]
	v_pk_fma_f32 v[8:9], v[28:29], v[26:27], v[8:9] op_sel_hi:[1,0,1]
	v_lshrrev_b32_e32 v27, 16, v52
	v_cvt_f32_f16_e32 v24, v25
	v_cvt_f32_f16_e32 v25, v55
	;; [unrolled: 1-line block ×3, first 2 shown]
	s_delay_alu instid0(VALU_DEP_2)
	v_pk_fma_f32 v[8:9], v[16:17], v[24:25], v[8:9] op_sel_hi:[1,0,1]
	v_pk_fma_f32 v[6:7], v[20:21], v[24:25], v[6:7] op_sel_hi:[1,0,1]
	v_cvt_f32_f16_e32 v17, v57
	v_cvt_f32_f16_e32 v16, v56
	;; [unrolled: 1-line block ×3, first 2 shown]
	v_pk_fma_f32 v[8:9], v[40:41], v[26:27], v[8:9] op_sel_hi:[1,0,1]
	v_pk_fma_f32 v[6:7], v[18:19], v[26:27], v[6:7] op_sel_hi:[1,0,1]
	v_lshrrev_b32_e32 v19, 16, v53
	v_cvt_f32_f16_e32 v18, v53
	v_cvt_f32_f16_e32 v24, v54
	v_pk_fma_f32 v[8:9], v[14:15], v[20:21], v[8:9] op_sel_hi:[1,0,1]
	v_pk_fma_f32 v[6:7], v[16:17], v[20:21], v[6:7] op_sel_hi:[1,0,1]
	v_cvt_f32_f16_e32 v15, v59
	v_cvt_f32_f16_e32 v14, v58
	;; [unrolled: 1-line block ×3, first 2 shown]
	v_pk_fma_f32 v[8:9], v[38:39], v[18:19], v[8:9] op_sel_hi:[1,0,1]
	v_pk_fma_f32 v[6:7], v[22:23], v[18:19], v[6:7] op_sel_hi:[1,0,1]
	s_delay_alu instid0(VALU_DEP_2) | instskip(NEXT) | instid1(VALU_DEP_2)
	v_pk_fma_f32 v[8:9], v[24:25], v[16:17], v[8:9] op_sel_hi:[1,0,1]
	v_pk_fma_f32 v[6:7], v[14:15], v[16:17], v[6:7] op_sel_hi:[1,0,1]
	s_and_not1_b32 exec_lo, exec_lo, s7
	s_cbranch_execnz .LBB91_21
; %bb.22:
	s_or_b32 exec_lo, exec_lo, s7
.LBB91_23:
	s_delay_alu instid0(SALU_CYCLE_1)
	s_or_b32 exec_lo, exec_lo, s6
.LBB91_24:
	s_delay_alu instid0(SALU_CYCLE_1)
	s_or_b32 exec_lo, exec_lo, s3
	s_cbranch_execz .LBB91_26
	s_branch .LBB91_37
.LBB91_25:
                                        ; implicit-def: $vgpr7
                                        ; implicit-def: $vgpr9
.LBB91_26:
	v_dual_mov_b32 v7, 0 :: v_dual_mov_b32 v6, 0
	v_dual_mov_b32 v9, 0 :: v_dual_mov_b32 v8, 0
	s_and_saveexec_b32 s3, s2
	s_cbranch_execz .LBB91_36
; %bb.27:
	v_add_nc_u32_e32 v6, v12, v3
	v_not_b32_e32 v7, v12
	v_mov_b64_e32 v[8:9], 0
	s_mov_b32 s2, exec_lo
	s_delay_alu instid0(VALU_DEP_3) | instskip(NEXT) | instid1(VALU_DEP_1)
	v_subrev_nc_u32_e32 v6, s16, v6
	v_add_max_i32_e64 v6, v6, 8, v1
	s_delay_alu instid0(VALU_DEP_1) | instskip(NEXT) | instid1(VALU_DEP_1)
	v_add3_u32 v6, s16, v6, v7
	v_sub_nc_u32_e32 v10, v6, v3
	v_mov_b64_e32 v[6:7], 0
	s_delay_alu instid0(VALU_DEP_2) | instskip(NEXT) | instid1(VALU_DEP_1)
	v_and_b32_e32 v11, 24, v10
	v_cmpx_ne_u32_e32 24, v11
	s_cbranch_execz .LBB91_31
; %bb.28:
	v_dual_lshrrev_b32 v6, 3, v10 :: v_dual_mov_b32 v8, 0
	s_mov_b32 s6, 0
	s_delay_alu instid0(VALU_DEP_1) | instskip(NEXT) | instid1(VALU_DEP_1)
	v_dual_mov_b32 v9, v8 :: v_dual_add_nc_u32 v6, 1, v6
	v_dual_mov_b32 v6, v8 :: v_dual_bitop2_b32 v7, 3, v6 bitop3:0x40
	s_delay_alu instid0(VALU_DEP_1)
	v_dual_sub_nc_u32 v11, 0, v7 :: v_dual_mov_b32 v7, v8
.LBB91_29:                              ; =>This Inner Loop Header: Depth=1
	global_load_b32 v16, v0, s[8:9] scale_offset
	global_load_b128 v[12:15], v[4:5], off
	s_wait_xcnt 0x1
	v_add_nc_u32_e32 v0, 8, v0
	v_add_co_u32 v11, s7, v11, 1
	s_or_b32 s6, s7, s6
	s_wait_loadcnt 0x1
	v_subrev_nc_u32_e32 v16, s16, v16
	s_wait_loadcnt 0x0
	v_dual_lshrrev_b32 v30, 16, v13 :: v_dual_lshrrev_b32 v31, 16, v15
	v_cvt_f32_f16_e32 v24, v15
	s_delay_alu instid0(VALU_DEP_3) | instskip(SKIP_1) | instid1(VALU_DEP_2)
	v_dual_lshrrev_b32 v25, 16, v14 :: v_dual_lshlrev_b32 v16, 2, v16
	v_cvt_f32_f16_e32 v14, v14
	v_cvt_f32_f16_e32 v15, v25
	s_delay_alu instid0(VALU_DEP_3) | instskip(SKIP_2) | instid1(VALU_DEP_2)
	v_ashrrev_i32_e32 v17, 31, v16
	v_cvt_f32_f16_e32 v25, v31
	s_wait_kmcnt 0x0
	v_lshl_add_u64 v[20:21], v[16:17], 1, s[4:5]
	global_load_b64 v[22:23], v[20:21], off
	global_load_b128 v[16:19], v[4:5], off offset:16
	s_wait_xcnt 0x1
	v_lshrrev_b32_e32 v21, 16, v12
	v_cvt_f32_f16_e32 v12, v12
	v_cvt_f32_f16_e32 v20, v13
	s_wait_xcnt 0x0
	v_add_nc_u64_e32 v[4:5], 0x100, v[4:5]
	s_wait_loadcnt 0x0
	v_dual_lshrrev_b32 v29, 16, v18 :: v_dual_lshrrev_b32 v32, 16, v17
	v_lshrrev_b32_e32 v33, 16, v19
	v_cvt_f32_f16_e32 v28, v19
	v_cvt_f32_f16_e32 v13, v21
	;; [unrolled: 1-line block ×3, first 2 shown]
	v_lshrrev_b32_e32 v19, 16, v22
	v_cvt_f32_f16_e32 v22, v22
	v_lshrrev_b32_e32 v27, 16, v16
	v_cvt_f32_f16_e32 v16, v16
	v_cvt_f32_f16_e32 v26, v17
	;; [unrolled: 1-line block ×3, first 2 shown]
	v_pk_fma_f32 v[8:9], v[12:13], v[22:23], v[8:9] op_sel_hi:[1,0,1]
	v_pk_fma_f32 v[6:7], v[20:21], v[22:23], v[6:7] op_sel_hi:[1,0,1]
	v_lshrrev_b32_e32 v13, 16, v23
	v_cvt_f32_f16_e32 v30, v19
	v_cvt_f32_f16_e32 v17, v27
	;; [unrolled: 1-line block ×5, first 2 shown]
	v_pk_fma_f32 v[8:9], v[14:15], v[30:31], v[8:9] op_sel_hi:[1,0,1]
	v_pk_fma_f32 v[6:7], v[24:25], v[30:31], v[6:7] op_sel_hi:[1,0,1]
	v_cvt_f32_f16_e32 v29, v33
	v_cvt_f32_f16_e32 v14, v13
	s_delay_alu instid0(VALU_DEP_4) | instskip(NEXT) | instid1(VALU_DEP_4)
	v_pk_fma_f32 v[8:9], v[16:17], v[12:13], v[8:9] op_sel_hi:[1,0,1]
	v_pk_fma_f32 v[6:7], v[26:27], v[12:13], v[6:7] op_sel_hi:[1,0,1]
	s_delay_alu instid0(VALU_DEP_2) | instskip(NEXT) | instid1(VALU_DEP_2)
	v_pk_fma_f32 v[8:9], v[18:19], v[14:15], v[8:9] op_sel_hi:[1,0,1]
	v_pk_fma_f32 v[6:7], v[28:29], v[14:15], v[6:7] op_sel_hi:[1,0,1]
	s_and_not1_b32 exec_lo, exec_lo, s6
	s_cbranch_execnz .LBB91_29
; %bb.30:
	s_or_b32 exec_lo, exec_lo, s6
.LBB91_31:
	s_delay_alu instid0(SALU_CYCLE_1) | instskip(NEXT) | instid1(SALU_CYCLE_1)
	s_or_b32 exec_lo, exec_lo, s2
	s_mov_b32 s2, exec_lo
	v_cmpx_lt_u32_e32 23, v10
	s_cbranch_execz .LBB91_35
; %bb.32:
	s_mov_b32 s6, 0
.LBB91_33:                              ; =>This Inner Loop Header: Depth=1
	s_clause 0x3
	global_load_b128 v[10:13], v[4:5], off
	global_load_b128 v[14:17], v[4:5], off offset:16
	global_load_b128 v[18:21], v[4:5], off offset:256
	;; [unrolled: 1-line block ×3, first 2 shown]
	global_load_b32 v27, v0, s[8:9] scale_offset
	s_wait_loadcnt 0x4
	v_dual_lshrrev_b32 v37, 16, v11 :: v_dual_lshrrev_b32 v39, 16, v13
	v_cvt_f32_f16_e32 v28, v13
	s_wait_loadcnt 0x3
	v_dual_lshrrev_b32 v41, 16, v15 :: v_dual_lshrrev_b32 v58, 16, v17
	v_cvt_f32_f16_e32 v30, v15
	s_clause 0x1
	global_load_b32 v13, v0, s[8:9] offset:32 scale_offset
	global_load_b32 v15, v0, s[8:9] offset:64 scale_offset
	v_cvt_f32_f16_e32 v32, v17
	global_load_b32 v17, v0, s[8:9] offset:96 scale_offset
	s_wait_loadcnt 0x5
	v_dual_lshrrev_b32 v63, 16, v19 :: v_dual_lshrrev_b32 v64, 16, v21
	v_cvt_f32_f16_e32 v34, v19
	s_wait_loadcnt 0x3
	v_subrev_nc_u32_e32 v19, s16, v27
	v_dual_lshrrev_b32 v29, 16, v10 :: v_dual_lshrrev_b32 v31, 16, v12
	v_cvt_f32_f16_e32 v10, v10
	v_cvt_f32_f16_e32 v26, v11
	;; [unrolled: 1-line block ×3, first 2 shown]
	s_delay_alu instid0(VALU_DEP_4)
	v_cvt_f32_f16_e32 v11, v29
	v_cvt_f32_f16_e32 v12, v12
	v_dual_lshrrev_b32 v33, 16, v14 :: v_dual_lshrrev_b32 v35, 16, v16
	v_cvt_f32_f16_e32 v29, v39
	v_cvt_f32_f16_e32 v14, v14
	;; [unrolled: 1-line block ×3, first 2 shown]
	v_dual_lshrrev_b32 v59, 16, v18 :: v_dual_lshrrev_b32 v60, 16, v20
	v_cvt_f32_f16_e32 v18, v18
	v_cvt_f32_f16_e32 v20, v20
	;; [unrolled: 1-line block ×5, first 2 shown]
	v_dual_lshrrev_b32 v61, 16, v22 :: v_dual_lshrrev_b32 v62, 16, v24
	v_dual_lshrrev_b32 v65, 16, v23 :: v_dual_lshrrev_b32 v66, 16, v25
	v_cvt_f32_f16_e32 v22, v22
	v_cvt_f32_f16_e32 v38, v23
	s_delay_alu instid0(VALU_DEP_4) | instskip(NEXT) | instid1(VALU_DEP_4)
	v_cvt_f32_f16_e32 v23, v61
	v_cvt_f32_f16_e32 v39, v65
	v_cvt_f32_f16_e32 v24, v24
	v_cvt_f32_f16_e32 v40, v25
	v_cvt_f32_f16_e32 v25, v62
	s_wait_xcnt 0x0
	v_add_nc_u32_e32 v0, 32, v0
	s_delay_alu instid0(VALU_DEP_1)
	v_cmp_ge_i32_e32 vcc_lo, v0, v1
	s_or_b32 s6, vcc_lo, s6
	s_wait_loadcnt 0x2
	v_subrev_nc_u32_e32 v13, s16, v13
	s_wait_loadcnt 0x1
	v_subrev_nc_u32_e32 v15, s16, v15
	v_lshlrev_b32_e32 v42, 2, v19
	s_wait_loadcnt 0x0
	v_subrev_nc_u32_e32 v17, s16, v17
	v_cvt_f32_f16_e32 v19, v59
	v_dual_lshlrev_b32 v44, 2, v13 :: v_dual_lshlrev_b32 v46, 2, v15
	s_delay_alu instid0(VALU_DEP_3) | instskip(SKIP_1) | instid1(VALU_DEP_3)
	v_dual_ashrrev_i32 v43, 31, v42 :: v_dual_lshlrev_b32 v48, 2, v17
	v_cvt_f32_f16_e32 v13, v31
	v_dual_ashrrev_i32 v45, 31, v44 :: v_dual_ashrrev_i32 v47, 31, v46
	s_wait_kmcnt 0x0
	s_delay_alu instid0(VALU_DEP_3)
	v_lshl_add_u64 v[42:43], v[42:43], 1, s[4:5]
	v_ashrrev_i32_e32 v49, 31, v48
	v_cvt_f32_f16_e32 v15, v33
	v_lshl_add_u64 v[44:45], v[44:45], 1, s[4:5]
	v_lshl_add_u64 v[46:47], v[46:47], 1, s[4:5]
	v_cvt_f32_f16_e32 v31, v41
	v_lshl_add_u64 v[48:49], v[48:49], 1, s[4:5]
	s_clause 0x3
	global_load_b64 v[50:51], v[42:43], off
	global_load_b64 v[52:53], v[44:45], off
	;; [unrolled: 1-line block ×4, first 2 shown]
	v_cvt_f32_f16_e32 v17, v35
	v_cvt_f32_f16_e32 v33, v58
	;; [unrolled: 1-line block ×4, first 2 shown]
	s_wait_loadcnt 0x3
	s_wait_xcnt 0x3
	v_cvt_f32_f16_e32 v42, v50
	s_delay_alu instid0(VALU_DEP_1) | instskip(SKIP_2) | instid1(VALU_DEP_1)
	v_pk_fma_f32 v[8:9], v[10:11], v[42:43], v[8:9] op_sel_hi:[1,0,1]
	v_pk_fma_f32 v[10:11], v[26:27], v[42:43], v[6:7] op_sel_hi:[1,0,1]
	v_lshrrev_b32_e32 v6, 16, v50
	v_cvt_f32_f16_e32 v26, v6
	s_delay_alu instid0(VALU_DEP_1) | instskip(SKIP_3) | instid1(VALU_DEP_1)
	v_pk_fma_f32 v[12:13], v[12:13], v[26:27], v[8:9] op_sel_hi:[1,0,1]
	global_load_b128 v[6:9], v[4:5], off offset:512
	v_pk_fma_f32 v[26:27], v[28:29], v[26:27], v[10:11] op_sel_hi:[1,0,1]
	v_cvt_f32_f16_e32 v28, v51
	v_pk_fma_f32 v[14:15], v[14:15], v[28:29], v[12:13] op_sel_hi:[1,0,1]
	global_load_b128 v[10:13], v[4:5], off offset:528
	s_wait_loadcnt 0x1
	s_wait_xcnt 0x3
	v_dual_lshrrev_b32 v29, 16, v6 :: v_dual_lshrrev_b32 v47, 16, v9
	v_cvt_f32_f16_e32 v42, v9
	s_delay_alu instid0(VALU_DEP_2)
	v_pk_fma_f32 v[26:27], v[30:31], v[28:29], v[26:27] op_sel_hi:[1,0,1]
	v_cvt_f32_f16_e32 v28, v6
	v_dual_lshrrev_b32 v6, 16, v51 :: v_dual_lshrrev_b32 v31, 16, v8
	v_cvt_f32_f16_e32 v30, v8
	s_wait_loadcnt 0x0
	v_dual_lshrrev_b32 v43, 16, v10 :: v_dual_lshrrev_b32 v49, 16, v11
	v_lshrrev_b32_e32 v50, 16, v13
	v_cvt_f32_f16_e32 v6, v6
	v_cvt_f32_f16_e32 v46, v11
	v_lshrrev_b32_e32 v45, 16, v12
	v_cvt_f32_f16_e32 v44, v12
	v_cvt_f32_f16_e32 v48, v13
	v_pk_fma_f32 v[14:15], v[16:17], v[6:7], v[14:15] op_sel_hi:[1,0,1]
	v_pk_fma_f32 v[26:27], v[32:33], v[6:7], v[26:27] op_sel_hi:[1,0,1]
	v_cvt_f32_f16_e32 v6, v52
	v_cvt_f32_f16_e32 v16, v10
	v_lshrrev_b32_e32 v33, 16, v7
	v_cvt_f32_f16_e32 v32, v7
	v_cvt_f32_f16_e32 v29, v29
	v_pk_fma_f32 v[8:9], v[18:19], v[6:7], v[14:15] op_sel_hi:[1,0,1]
	v_pk_fma_f32 v[10:11], v[34:35], v[6:7], v[26:27] op_sel_hi:[1,0,1]
	v_lshrrev_b32_e32 v6, 16, v52
	v_cvt_f32_f16_e32 v33, v33
	v_cvt_f32_f16_e32 v31, v31
	;; [unrolled: 1-line block ×8, first 2 shown]
	s_delay_alu instid0(VALU_DEP_4)
	v_pk_fma_f32 v[14:15], v[20:21], v[12:13], v[8:9] op_sel_hi:[1,0,1]
	global_load_b128 v[6:9], v[4:5], off offset:768
	v_pk_fma_f32 v[18:19], v[36:37], v[12:13], v[10:11] op_sel_hi:[1,0,1]
	global_load_b128 v[10:13], v[4:5], off offset:784
	v_cvt_f32_f16_e32 v20, v53
	s_wait_xcnt 0x0
	v_add_nc_u64_e32 v[4:5], 0x400, v[4:5]
	s_wait_loadcnt 0x1
	v_dual_lshrrev_b32 v21, 16, v6 :: v_dual_lshrrev_b32 v27, 16, v7
	s_wait_loadcnt 0x0
	v_dual_lshrrev_b32 v35, 16, v9 :: v_dual_lshrrev_b32 v37, 16, v10
	v_cvt_f32_f16_e32 v26, v11
	s_delay_alu instid0(VALU_DEP_3)
	v_pk_fma_f32 v[14:15], v[22:23], v[20:21], v[14:15] op_sel_hi:[1,0,1]
	v_lshrrev_b32_e32 v23, 16, v8
	v_pk_fma_f32 v[18:19], v[38:39], v[20:21], v[18:19] op_sel_hi:[1,0,1]
	v_cvt_f32_f16_e32 v20, v7
	v_dual_lshrrev_b32 v7, 16, v53 :: v_dual_lshrrev_b32 v38, 16, v12
	v_lshrrev_b32_e32 v39, 16, v11
	v_dual_lshrrev_b32 v11, 16, v55 :: v_dual_lshrrev_b32 v51, 16, v13
	s_delay_alu instid0(VALU_DEP_3)
	v_cvt_f32_f16_e32 v36, v7
	v_lshrrev_b32_e32 v7, 16, v54
	v_cvt_f32_f16_e32 v34, v13
	v_lshrrev_b32_e32 v13, 16, v56
	v_cvt_f32_f16_e32 v6, v6
	v_pk_fma_f32 v[14:15], v[24:25], v[36:37], v[14:15] op_sel_hi:[1,0,1]
	v_pk_fma_f32 v[18:19], v[40:41], v[36:37], v[18:19] op_sel_hi:[1,0,1]
	v_cvt_f32_f16_e32 v24, v54
	v_cvt_f32_f16_e32 v36, v7
	v_cvt_f32_f16_e32 v7, v21
	v_cvt_f32_f16_e32 v21, v27
	v_cvt_f32_f16_e32 v8, v8
	v_pk_fma_f32 v[14:15], v[28:29], v[24:25], v[14:15] op_sel_hi:[1,0,1]
	v_pk_fma_f32 v[18:19], v[32:33], v[24:25], v[18:19] op_sel_hi:[1,0,1]
	v_cvt_f32_f16_e32 v24, v55
	v_cvt_f32_f16_e32 v28, v11
	v_cvt_f32_f16_e32 v22, v9
	v_pk_fma_f32 v[14:15], v[30:31], v[36:37], v[14:15] op_sel_hi:[1,0,1]
	v_pk_fma_f32 v[18:19], v[42:43], v[36:37], v[18:19] op_sel_hi:[1,0,1]
	v_cvt_f32_f16_e32 v9, v23
	v_cvt_f32_f16_e32 v23, v35
	v_cvt_f32_f16_e32 v10, v10
	;; [unrolled: 5-line block ×4, first 2 shown]
	v_pk_fma_f32 v[6:7], v[6:7], v[18:19], v[14:15] op_sel_hi:[1,0,1]
	v_pk_fma_f32 v[14:15], v[20:21], v[18:19], v[16:17] op_sel_hi:[1,0,1]
	v_lshrrev_b32_e32 v17, 16, v57
	v_cvt_f32_f16_e32 v16, v57
	v_cvt_f32_f16_e32 v35, v51
	v_pk_fma_f32 v[6:7], v[8:9], v[24:25], v[6:7] op_sel_hi:[1,0,1]
	v_pk_fma_f32 v[8:9], v[22:23], v[24:25], v[14:15] op_sel_hi:[1,0,1]
	v_cvt_f32_f16_e32 v14, v17
	s_delay_alu instid0(VALU_DEP_3) | instskip(NEXT) | instid1(VALU_DEP_3)
	v_pk_fma_f32 v[6:7], v[10:11], v[16:17], v[6:7] op_sel_hi:[1,0,1]
	v_pk_fma_f32 v[10:11], v[26:27], v[16:17], v[8:9] op_sel_hi:[1,0,1]
	s_delay_alu instid0(VALU_DEP_2) | instskip(NEXT) | instid1(VALU_DEP_2)
	v_pk_fma_f32 v[8:9], v[12:13], v[14:15], v[6:7] op_sel_hi:[1,0,1]
	v_pk_fma_f32 v[6:7], v[34:35], v[14:15], v[10:11] op_sel_hi:[1,0,1]
	s_and_not1_b32 exec_lo, exec_lo, s6
	s_cbranch_execnz .LBB91_33
; %bb.34:
	s_or_b32 exec_lo, exec_lo, s6
.LBB91_35:
	s_delay_alu instid0(SALU_CYCLE_1)
	s_or_b32 exec_lo, exec_lo, s2
.LBB91_36:
	s_delay_alu instid0(SALU_CYCLE_1)
	s_or_b32 exec_lo, exec_lo, s3
.LBB91_37:
	v_mbcnt_lo_u32_b32 v10, -1, 0
	s_mov_b32 s2, -1
	s_delay_alu instid0(VALU_DEP_1) | instskip(SKIP_1) | instid1(VALU_DEP_1)
	v_xor_b32_e32 v11, 2, v10
	v_xor_b32_e32 v0, 4, v10
	v_cmp_gt_i32_e32 vcc_lo, 32, v0
	v_cndmask_b32_e32 v0, v10, v0, vcc_lo
	s_delay_alu instid0(VALU_DEP_4) | instskip(SKIP_1) | instid1(VALU_DEP_1)
	v_cmp_gt_i32_e32 vcc_lo, 32, v11
	v_cndmask_b32_e32 v11, v10, v11, vcc_lo
	v_dual_lshlrev_b32 v11, 2, v11 :: v_dual_lshlrev_b32 v5, 2, v0
	ds_bpermute_b32 v0, v5, v8
	ds_bpermute_b32 v1, v5, v9
	;; [unrolled: 1-line block ×4, first 2 shown]
	s_wait_dscnt 0x2
	v_pk_add_f32 v[0:1], v[8:9], v[0:1]
	s_wait_dscnt 0x0
	v_pk_add_f32 v[4:5], v[6:7], v[4:5]
	ds_bpermute_b32 v6, v11, v0
	ds_bpermute_b32 v7, v11, v1
	;; [unrolled: 1-line block ×4, first 2 shown]
	v_xor_b32_e32 v11, 1, v10
	s_delay_alu instid0(VALU_DEP_1) | instskip(SKIP_2) | instid1(VALU_DEP_2)
	v_cmp_gt_i32_e32 vcc_lo, 32, v11
	v_cndmask_b32_e32 v10, v10, v11, vcc_lo
	v_cmp_eq_u32_e32 vcc_lo, 7, v3
	v_lshlrev_b32_e32 v10, 2, v10
	s_wait_dscnt 0x2
	v_pk_add_f32 v[0:1], v[0:1], v[6:7]
	s_wait_dscnt 0x0
	v_pk_add_f32 v[6:7], v[4:5], v[8:9]
	ds_bpermute_b32 v4, v10, v0
	ds_bpermute_b32 v5, v10, v1
	;; [unrolled: 1-line block ×4, first 2 shown]
	s_and_b32 exec_lo, exec_lo, vcc_lo
	s_cbranch_execz .LBB91_10
; %bb.38:
	s_load_b64 s[0:1], s[0:1], 0x50
	s_wait_dscnt 0x2
	v_pk_add_f32 v[4:5], v[0:1], v[4:5]
	s_wait_dscnt 0x0
	v_pk_add_f32 v[0:1], v[6:7], v[8:9]
	v_lshlrev_b32_e32 v2, 2, v2
	s_cmp_eq_f32 s14, 0
	s_cbranch_scc0 .LBB91_40
; %bb.39:
	s_delay_alu instid0(VALU_DEP_1)
	v_ashrrev_i32_e32 v3, 31, v2
	v_pk_mul_f32 v[6:7], s[12:13], v[4:5] op_sel_hi:[0,1]
	v_pk_mul_f32 v[8:9], s[12:13], v[0:1] op_sel_hi:[0,1]
	s_mov_b32 s2, 0
	s_wait_kmcnt 0x0
	v_lshl_add_u64 v[10:11], v[2:3], 2, s[0:1]
	global_store_b128 v[10:11], v[6:9], off
.LBB91_40:
	s_and_not1_b32 vcc_lo, exec_lo, s2
	s_cbranch_vccnz .LBB91_10
; %bb.41:
	v_ashrrev_i32_e32 v3, 31, v2
	s_wait_kmcnt 0x0
	s_delay_alu instid0(VALU_DEP_1)
	v_lshl_add_u64 v[10:11], v[2:3], 2, s[0:1]
	v_pk_mul_f32 v[2:3], s[12:13], v[4:5] op_sel_hi:[0,1]
	v_pk_mul_f32 v[4:5], s[12:13], v[0:1] op_sel_hi:[0,1]
	global_load_b128 v[6:9], v[10:11], off
	s_wait_loadcnt 0x0
	v_pk_fma_f32 v[0:1], s[14:15], v[6:7], v[2:3] op_sel_hi:[0,1,1]
	v_pk_fma_f32 v[2:3], s[14:15], v[8:9], v[4:5] op_sel_hi:[0,1,1]
	global_store_b128 v[10:11], v[0:3], off
	s_sendmsg sendmsg(MSG_DEALLOC_VGPRS)
	s_endpgm
	.section	.rodata,"a",@progbits
	.p2align	6, 0x0
	.amdhsa_kernel _ZN9rocsparseL18bsrxmvn_4x4_kernelILj128ELj8EfiiDF16_DF16_fEEvT3_20rocsparse_direction_NS_24const_host_device_scalarIT1_EES1_PKS1_PKT2_SA_S7_PKT4_PKT5_S5_PT6_21rocsparse_index_base_b
		.amdhsa_group_segment_fixed_size 0
		.amdhsa_private_segment_fixed_size 0
		.amdhsa_kernarg_size 96
		.amdhsa_user_sgpr_count 2
		.amdhsa_user_sgpr_dispatch_ptr 0
		.amdhsa_user_sgpr_queue_ptr 0
		.amdhsa_user_sgpr_kernarg_segment_ptr 1
		.amdhsa_user_sgpr_dispatch_id 0
		.amdhsa_user_sgpr_kernarg_preload_length 0
		.amdhsa_user_sgpr_kernarg_preload_offset 0
		.amdhsa_user_sgpr_private_segment_size 0
		.amdhsa_wavefront_size32 1
		.amdhsa_uses_dynamic_stack 0
		.amdhsa_enable_private_segment 0
		.amdhsa_system_sgpr_workgroup_id_x 1
		.amdhsa_system_sgpr_workgroup_id_y 0
		.amdhsa_system_sgpr_workgroup_id_z 0
		.amdhsa_system_sgpr_workgroup_info 0
		.amdhsa_system_vgpr_workitem_id 0
		.amdhsa_next_free_vgpr 77
		.amdhsa_next_free_sgpr 18
		.amdhsa_named_barrier_count 0
		.amdhsa_reserve_vcc 1
		.amdhsa_float_round_mode_32 0
		.amdhsa_float_round_mode_16_64 0
		.amdhsa_float_denorm_mode_32 3
		.amdhsa_float_denorm_mode_16_64 3
		.amdhsa_fp16_overflow 0
		.amdhsa_memory_ordered 1
		.amdhsa_forward_progress 1
		.amdhsa_inst_pref_size 36
		.amdhsa_round_robin_scheduling 0
		.amdhsa_exception_fp_ieee_invalid_op 0
		.amdhsa_exception_fp_denorm_src 0
		.amdhsa_exception_fp_ieee_div_zero 0
		.amdhsa_exception_fp_ieee_overflow 0
		.amdhsa_exception_fp_ieee_underflow 0
		.amdhsa_exception_fp_ieee_inexact 0
		.amdhsa_exception_int_div_zero 0
	.end_amdhsa_kernel
	.section	.text._ZN9rocsparseL18bsrxmvn_4x4_kernelILj128ELj8EfiiDF16_DF16_fEEvT3_20rocsparse_direction_NS_24const_host_device_scalarIT1_EES1_PKS1_PKT2_SA_S7_PKT4_PKT5_S5_PT6_21rocsparse_index_base_b,"axG",@progbits,_ZN9rocsparseL18bsrxmvn_4x4_kernelILj128ELj8EfiiDF16_DF16_fEEvT3_20rocsparse_direction_NS_24const_host_device_scalarIT1_EES1_PKS1_PKT2_SA_S7_PKT4_PKT5_S5_PT6_21rocsparse_index_base_b,comdat
.Lfunc_end91:
	.size	_ZN9rocsparseL18bsrxmvn_4x4_kernelILj128ELj8EfiiDF16_DF16_fEEvT3_20rocsparse_direction_NS_24const_host_device_scalarIT1_EES1_PKS1_PKT2_SA_S7_PKT4_PKT5_S5_PT6_21rocsparse_index_base_b, .Lfunc_end91-_ZN9rocsparseL18bsrxmvn_4x4_kernelILj128ELj8EfiiDF16_DF16_fEEvT3_20rocsparse_direction_NS_24const_host_device_scalarIT1_EES1_PKS1_PKT2_SA_S7_PKT4_PKT5_S5_PT6_21rocsparse_index_base_b
                                        ; -- End function
	.set _ZN9rocsparseL18bsrxmvn_4x4_kernelILj128ELj8EfiiDF16_DF16_fEEvT3_20rocsparse_direction_NS_24const_host_device_scalarIT1_EES1_PKS1_PKT2_SA_S7_PKT4_PKT5_S5_PT6_21rocsparse_index_base_b.num_vgpr, 77
	.set _ZN9rocsparseL18bsrxmvn_4x4_kernelILj128ELj8EfiiDF16_DF16_fEEvT3_20rocsparse_direction_NS_24const_host_device_scalarIT1_EES1_PKS1_PKT2_SA_S7_PKT4_PKT5_S5_PT6_21rocsparse_index_base_b.num_agpr, 0
	.set _ZN9rocsparseL18bsrxmvn_4x4_kernelILj128ELj8EfiiDF16_DF16_fEEvT3_20rocsparse_direction_NS_24const_host_device_scalarIT1_EES1_PKS1_PKT2_SA_S7_PKT4_PKT5_S5_PT6_21rocsparse_index_base_b.numbered_sgpr, 18
	.set _ZN9rocsparseL18bsrxmvn_4x4_kernelILj128ELj8EfiiDF16_DF16_fEEvT3_20rocsparse_direction_NS_24const_host_device_scalarIT1_EES1_PKS1_PKT2_SA_S7_PKT4_PKT5_S5_PT6_21rocsparse_index_base_b.num_named_barrier, 0
	.set _ZN9rocsparseL18bsrxmvn_4x4_kernelILj128ELj8EfiiDF16_DF16_fEEvT3_20rocsparse_direction_NS_24const_host_device_scalarIT1_EES1_PKS1_PKT2_SA_S7_PKT4_PKT5_S5_PT6_21rocsparse_index_base_b.private_seg_size, 0
	.set _ZN9rocsparseL18bsrxmvn_4x4_kernelILj128ELj8EfiiDF16_DF16_fEEvT3_20rocsparse_direction_NS_24const_host_device_scalarIT1_EES1_PKS1_PKT2_SA_S7_PKT4_PKT5_S5_PT6_21rocsparse_index_base_b.uses_vcc, 1
	.set _ZN9rocsparseL18bsrxmvn_4x4_kernelILj128ELj8EfiiDF16_DF16_fEEvT3_20rocsparse_direction_NS_24const_host_device_scalarIT1_EES1_PKS1_PKT2_SA_S7_PKT4_PKT5_S5_PT6_21rocsparse_index_base_b.uses_flat_scratch, 0
	.set _ZN9rocsparseL18bsrxmvn_4x4_kernelILj128ELj8EfiiDF16_DF16_fEEvT3_20rocsparse_direction_NS_24const_host_device_scalarIT1_EES1_PKS1_PKT2_SA_S7_PKT4_PKT5_S5_PT6_21rocsparse_index_base_b.has_dyn_sized_stack, 0
	.set _ZN9rocsparseL18bsrxmvn_4x4_kernelILj128ELj8EfiiDF16_DF16_fEEvT3_20rocsparse_direction_NS_24const_host_device_scalarIT1_EES1_PKS1_PKT2_SA_S7_PKT4_PKT5_S5_PT6_21rocsparse_index_base_b.has_recursion, 0
	.set _ZN9rocsparseL18bsrxmvn_4x4_kernelILj128ELj8EfiiDF16_DF16_fEEvT3_20rocsparse_direction_NS_24const_host_device_scalarIT1_EES1_PKS1_PKT2_SA_S7_PKT4_PKT5_S5_PT6_21rocsparse_index_base_b.has_indirect_call, 0
	.section	.AMDGPU.csdata,"",@progbits
; Kernel info:
; codeLenInByte = 4492
; TotalNumSgprs: 20
; NumVgprs: 77
; ScratchSize: 0
; MemoryBound: 0
; FloatMode: 240
; IeeeMode: 1
; LDSByteSize: 0 bytes/workgroup (compile time only)
; SGPRBlocks: 0
; VGPRBlocks: 4
; NumSGPRsForWavesPerEU: 20
; NumVGPRsForWavesPerEU: 77
; NamedBarCnt: 0
; Occupancy: 12
; WaveLimiterHint : 1
; COMPUTE_PGM_RSRC2:SCRATCH_EN: 0
; COMPUTE_PGM_RSRC2:USER_SGPR: 2
; COMPUTE_PGM_RSRC2:TRAP_HANDLER: 0
; COMPUTE_PGM_RSRC2:TGID_X_EN: 1
; COMPUTE_PGM_RSRC2:TGID_Y_EN: 0
; COMPUTE_PGM_RSRC2:TGID_Z_EN: 0
; COMPUTE_PGM_RSRC2:TIDIG_COMP_CNT: 0
	.section	.text._ZN9rocsparseL18bsrxmvn_4x4_kernelILj128ELj16EfiiDF16_DF16_fEEvT3_20rocsparse_direction_NS_24const_host_device_scalarIT1_EES1_PKS1_PKT2_SA_S7_PKT4_PKT5_S5_PT6_21rocsparse_index_base_b,"axG",@progbits,_ZN9rocsparseL18bsrxmvn_4x4_kernelILj128ELj16EfiiDF16_DF16_fEEvT3_20rocsparse_direction_NS_24const_host_device_scalarIT1_EES1_PKS1_PKT2_SA_S7_PKT4_PKT5_S5_PT6_21rocsparse_index_base_b,comdat
	.globl	_ZN9rocsparseL18bsrxmvn_4x4_kernelILj128ELj16EfiiDF16_DF16_fEEvT3_20rocsparse_direction_NS_24const_host_device_scalarIT1_EES1_PKS1_PKT2_SA_S7_PKT4_PKT5_S5_PT6_21rocsparse_index_base_b ; -- Begin function _ZN9rocsparseL18bsrxmvn_4x4_kernelILj128ELj16EfiiDF16_DF16_fEEvT3_20rocsparse_direction_NS_24const_host_device_scalarIT1_EES1_PKS1_PKT2_SA_S7_PKT4_PKT5_S5_PT6_21rocsparse_index_base_b
	.p2align	8
	.type	_ZN9rocsparseL18bsrxmvn_4x4_kernelILj128ELj16EfiiDF16_DF16_fEEvT3_20rocsparse_direction_NS_24const_host_device_scalarIT1_EES1_PKS1_PKT2_SA_S7_PKT4_PKT5_S5_PT6_21rocsparse_index_base_b,@function
_ZN9rocsparseL18bsrxmvn_4x4_kernelILj128ELj16EfiiDF16_DF16_fEEvT3_20rocsparse_direction_NS_24const_host_device_scalarIT1_EES1_PKS1_PKT2_SA_S7_PKT4_PKT5_S5_PT6_21rocsparse_index_base_b: ; @_ZN9rocsparseL18bsrxmvn_4x4_kernelILj128ELj16EfiiDF16_DF16_fEEvT3_20rocsparse_direction_NS_24const_host_device_scalarIT1_EES1_PKS1_PKT2_SA_S7_PKT4_PKT5_S5_PT6_21rocsparse_index_base_b
; %bb.0:
	s_clause 0x2
	s_load_b64 s[16:17], s[0:1], 0x58
	s_load_b64 s[12:13], s[0:1], 0x8
	;; [unrolled: 1-line block ×3, first 2 shown]
	s_wait_kmcnt 0x0
	s_bitcmp1_b32 s17, 0
	s_cselect_b32 s2, -1, 0
	s_delay_alu instid0(SALU_CYCLE_1)
	s_and_b32 vcc_lo, exec_lo, s2
	s_xor_b32 s2, s2, -1
	s_cbranch_vccnz .LBB92_2
; %bb.1:
	s_load_b32 s12, s[12:13], 0x0
.LBB92_2:
	s_and_not1_b32 vcc_lo, exec_lo, s2
	s_cbranch_vccnz .LBB92_4
; %bb.3:
	s_load_b32 s14, s[14:15], 0x0
.LBB92_4:
	s_wait_kmcnt 0x0
	s_cmp_neq_f32 s12, 0
	s_mov_b32 s6, 0
	s_cselect_b32 s2, -1, 0
	s_cmp_neq_f32 s14, 1.0
	s_cselect_b32 s3, -1, 0
	s_delay_alu instid0(SALU_CYCLE_1) | instskip(NEXT) | instid1(SALU_CYCLE_1)
	s_or_b32 s2, s2, s3
	s_and_not1_b32 vcc_lo, exec_lo, s2
	s_cbranch_vccnz .LBB92_10
; %bb.5:
	s_clause 0x1
	s_load_b64 s[4:5], s[0:1], 0x18
	s_load_b64 s[2:3], s[0:1], 0x0
	s_bfe_u32 s7, ttmp6, 0x4000c
	s_and_b32 s8, ttmp6, 15
	s_add_co_i32 s7, s7, 1
	s_getreg_b32 s9, hwreg(HW_REG_IB_STS2, 6, 4)
	s_mul_i32 s7, ttmp9, s7
	v_lshrrev_b32_e32 v1, 4, v0
	s_add_co_i32 s8, s8, s7
	s_cmp_eq_u32 s9, 0
	s_cselect_b32 s7, ttmp9, s8
	s_delay_alu instid0(VALU_DEP_1) | instid1(SALU_CYCLE_1)
	v_lshl_or_b32 v2, s7, 3, v1
	s_wait_kmcnt 0x0
	s_cmp_lg_u64 s[4:5], 0
	s_cbranch_scc0 .LBB92_11
; %bb.6:
	s_load_b32 s6, s[0:1], 0x10
	s_mov_b32 s7, 0
                                        ; implicit-def: $vgpr1
	s_wait_kmcnt 0x0
	v_cmp_gt_i32_e32 vcc_lo, s6, v2
	s_mov_b32 s6, 0
	s_and_saveexec_b32 s8, vcc_lo
	s_delay_alu instid0(SALU_CYCLE_1)
	s_xor_b32 s8, exec_lo, s8
	s_cbranch_execz .LBB92_8
; %bb.7:
	global_load_b32 v1, v2, s[4:5] scale_offset
	s_mov_b32 s6, exec_lo
	s_wait_loadcnt 0x0
	v_subrev_nc_u32_e32 v1, s16, v1
.LBB92_8:
	s_or_b32 exec_lo, exec_lo, s8
	s_delay_alu instid0(SALU_CYCLE_1)
	s_and_b32 vcc_lo, exec_lo, s7
	s_cbranch_vccz .LBB92_12
.LBB92_9:
	v_cmp_gt_i32_e32 vcc_lo, s2, v2
	s_and_not1_b32 s2, s6, exec_lo
	s_and_b32 s4, vcc_lo, exec_lo
	s_delay_alu instid0(SALU_CYCLE_1) | instskip(NEXT) | instid1(SALU_CYCLE_1)
	s_or_b32 s6, s2, s4
	s_and_saveexec_b32 s2, s6
	s_cbranch_execnz .LBB92_13
.LBB92_10:
	s_sendmsg sendmsg(MSG_DEALLOC_VGPRS)
	s_endpgm
.LBB92_11:
                                        ; implicit-def: $vgpr1
	s_cbranch_execnz .LBB92_9
.LBB92_12:
	s_delay_alu instid0(VALU_DEP_1)
	v_mov_b32_e32 v2, v1
	s_and_saveexec_b32 s2, s6
	s_cbranch_execz .LBB92_10
.LBB92_13:
	s_load_b256 s[4:11], s[0:1], 0x20
	s_wait_kmcnt 0x0
	s_cmp_eq_u64 s[6:7], 0
	global_load_b32 v12, v2, s[4:5] scale_offset
	s_cselect_b32 vcc_lo, -1, 0
	v_ashrrev_i32_e32 v3, 31, v2
	s_cmp_eq_u32 s3, 1
	s_delay_alu instid0(VALU_DEP_1) | instskip(SKIP_1) | instid1(VALU_DEP_2)
	v_lshlrev_b64_e32 v[4:5], 2, v[2:3]
	v_and_b32_e32 v3, 15, v0
	v_add_nc_u64_e32 v[6:7], s[4:5], v[4:5]
	v_add_nc_u64_e32 v[4:5], s[6:7], v[4:5]
	s_wait_xcnt 0x0
	s_load_b64 s[4:5], s[0:1], 0x40
	s_delay_alu instid0(VALU_DEP_2) | instskip(NEXT) | instid1(VALU_DEP_1)
	v_add_nc_u64_e32 v[6:7], 4, v[6:7]
	v_dual_cndmask_b32 v5, v5, v7 :: v_dual_cndmask_b32 v4, v4, v6
	global_load_b32 v6, v[4:5], off
	s_wait_loadcnt 0x1
	v_subrev_nc_u32_e32 v0, s16, v12
	s_delay_alu instid0(VALU_DEP_1) | instskip(NEXT) | instid1(VALU_DEP_1)
	v_add_nc_u32_e32 v0, v0, v3
	v_ashrrev_i32_e32 v1, 31, v0
	s_wait_xcnt 0x0
	s_delay_alu instid0(VALU_DEP_1) | instskip(NEXT) | instid1(VALU_DEP_1)
	v_lshlrev_b64_e32 v[4:5], 5, v[0:1]
	v_add_nc_u64_e32 v[4:5], s[10:11], v[4:5]
	s_wait_loadcnt 0x0
	v_subrev_nc_u32_e32 v1, s16, v6
	s_delay_alu instid0(VALU_DEP_1)
	v_cmp_lt_i32_e64 s2, v0, v1
	s_cbranch_scc1 .LBB92_25
; %bb.14:
	v_dual_mov_b32 v7, 0 :: v_dual_mov_b32 v6, 0
	v_dual_mov_b32 v9, 0 :: v_dual_mov_b32 v8, 0
	s_and_saveexec_b32 s3, s2
	s_cbranch_execz .LBB92_24
; %bb.15:
	v_dual_add_nc_u32 v6, v12, v3 :: v_dual_mov_b32 v8, 0
	v_not_b32_e32 v7, v12
	v_mov_b32_e32 v13, v0
	s_delay_alu instid0(VALU_DEP_3) | instskip(NEXT) | instid1(VALU_DEP_4)
	v_subrev_nc_u32_e32 v6, s16, v6
	v_mov_b32_e32 v9, v8
	s_delay_alu instid0(VALU_DEP_2) | instskip(NEXT) | instid1(VALU_DEP_1)
	v_add_max_i32_e64 v6, v6, 16, v1
	v_add3_u32 v6, s16, v6, v7
	s_delay_alu instid0(VALU_DEP_1) | instskip(NEXT) | instid1(VALU_DEP_1)
	v_dual_mov_b32 v7, v8 :: v_dual_sub_nc_u32 v14, v6, v3
	v_dual_mov_b32 v6, v8 :: v_dual_bitop2_b32 v10, 48, v14 bitop3:0x40
	s_delay_alu instid0(VALU_DEP_1)
	v_cmp_ne_u32_e32 vcc_lo, 48, v10
	v_mov_b64_e32 v[10:11], v[4:5]
	s_and_saveexec_b32 s6, vcc_lo
	s_cbranch_execz .LBB92_19
; %bb.16:
	v_dual_mov_b32 v7, 0 :: v_dual_lshrrev_b32 v6, 4, v14
	v_mov_b64_e32 v[10:11], v[4:5]
	s_mov_b32 s7, 0
	s_delay_alu instid0(VALU_DEP_2) | instskip(NEXT) | instid1(VALU_DEP_1)
	v_dual_mov_b32 v13, v0 :: v_dual_add_nc_u32 v6, 1, v6
	v_dual_mov_b32 v6, v7 :: v_dual_bitop2_b32 v8, 3, v6 bitop3:0x40
	s_delay_alu instid0(VALU_DEP_1)
	v_dual_mov_b32 v9, v7 :: v_dual_sub_nc_u32 v15, 0, v8
	v_mov_b32_e32 v8, v7
.LBB92_17:                              ; =>This Inner Loop Header: Depth=1
	global_load_b32 v20, v13, s[8:9] scale_offset
	global_load_b128 v[16:19], v[10:11], off
	s_wait_xcnt 0x1
	v_add_nc_u32_e32 v13, 16, v13
	v_add_co_u32 v15, s10, v15, 1
	s_or_b32 s7, s10, s7
	s_wait_loadcnt 0x1
	v_subrev_nc_u32_e32 v20, s16, v20
	s_wait_loadcnt 0x0
	v_dual_lshrrev_b32 v28, 16, v16 :: v_dual_lshrrev_b32 v30, 16, v19
	v_cvt_f32_f16_e32 v19, v19
	s_delay_alu instid0(VALU_DEP_3) | instskip(NEXT) | instid1(VALU_DEP_1)
	v_dual_lshrrev_b32 v33, 16, v17 :: v_dual_lshlrev_b32 v20, 2, v20
	v_dual_lshrrev_b32 v29, 16, v18 :: v_dual_ashrrev_i32 v21, 31, v20
	s_wait_kmcnt 0x0
	s_delay_alu instid0(VALU_DEP_1)
	v_lshl_add_u64 v[24:25], v[20:21], 1, s[4:5]
	global_load_b128 v[20:23], v[10:11], off offset:16
	global_load_b64 v[26:27], v[24:25], off
	s_wait_xcnt 0x0
	v_cvt_f32_f16_e32 v24, v16
	v_cvt_f32_f16_e32 v25, v18
	;; [unrolled: 1-line block ×3, first 2 shown]
	v_add_nc_u64_e32 v[10:11], 0x200, v[10:11]
	s_wait_loadcnt 0x1
	v_dual_lshrrev_b32 v32, 16, v20 :: v_dual_lshrrev_b32 v34, 16, v21
	v_dual_lshrrev_b32 v31, 16, v22 :: v_dual_lshrrev_b32 v35, 16, v23
	v_cvt_f32_f16_e32 v16, v20
	v_cvt_f32_f16_e32 v17, v22
	;; [unrolled: 1-line block ×3, first 2 shown]
	s_wait_loadcnt 0x0
	v_lshrrev_b32_e32 v28, 16, v26
	v_cvt_f32_f16_e32 v26, v26
	v_cvt_f32_f16_e32 v22, v21
	;; [unrolled: 1-line block ×6, first 2 shown]
	v_pk_fma_f32 v[8:9], v[24:25], v[26:27], v[8:9] op_sel_hi:[1,0,1]
	v_pk_fma_f32 v[6:7], v[16:17], v[26:27], v[6:7] op_sel_hi:[1,0,1]
	v_lshrrev_b32_e32 v17, 16, v27
	v_cvt_f32_f16_e32 v32, v28
	v_cvt_f32_f16_e32 v23, v23
	;; [unrolled: 1-line block ×5, first 2 shown]
	v_pk_fma_f32 v[8:9], v[20:21], v[32:33], v[8:9] op_sel_hi:[1,0,1]
	v_pk_fma_f32 v[6:7], v[30:31], v[32:33], v[6:7] op_sel_hi:[1,0,1]
	v_cvt_f32_f16_e32 v21, v35
	v_cvt_f32_f16_e32 v20, v34
	s_delay_alu instid0(VALU_DEP_4) | instskip(NEXT) | instid1(VALU_DEP_4)
	v_pk_fma_f32 v[8:9], v[18:19], v[16:17], v[8:9] op_sel_hi:[1,0,1]
	v_pk_fma_f32 v[6:7], v[22:23], v[16:17], v[6:7] op_sel_hi:[1,0,1]
	s_delay_alu instid0(VALU_DEP_2) | instskip(NEXT) | instid1(VALU_DEP_2)
	v_pk_fma_f32 v[8:9], v[28:29], v[24:25], v[8:9] op_sel_hi:[1,0,1]
	v_pk_fma_f32 v[6:7], v[20:21], v[24:25], v[6:7] op_sel_hi:[1,0,1]
	s_and_not1_b32 exec_lo, exec_lo, s7
	s_cbranch_execnz .LBB92_17
; %bb.18:
	s_or_b32 exec_lo, exec_lo, s7
.LBB92_19:
	s_delay_alu instid0(SALU_CYCLE_1) | instskip(NEXT) | instid1(SALU_CYCLE_1)
	s_or_b32 exec_lo, exec_lo, s6
	s_mov_b32 s6, exec_lo
	v_cmpx_lt_u32_e32 47, v14
	s_cbranch_execz .LBB92_23
; %bb.20:
	s_mov_b32 s7, 0
.LBB92_21:                              ; =>This Inner Loop Header: Depth=1
	global_load_b32 v38, v13, s[8:9] scale_offset
	s_clause 0x4
	global_load_b128 v[14:17], v[10:11], off
	global_load_b128 v[18:21], v[10:11], off offset:16
	global_load_b128 v[22:25], v[10:11], off offset:512
	;; [unrolled: 1-line block ×4, first 2 shown]
	s_clause 0x2
	global_load_b32 v42, v13, s[8:9] offset:64 scale_offset
	global_load_b32 v43, v13, s[8:9] offset:128 scale_offset
	;; [unrolled: 1-line block ×3, first 2 shown]
	global_load_b128 v[34:37], v[10:11], off offset:1040
	s_wait_xcnt 0x1
	v_add_nc_u32_e32 v13, 64, v13
	s_delay_alu instid0(VALU_DEP_1)
	v_cmp_ge_i32_e32 vcc_lo, v13, v1
	s_or_b32 s7, vcc_lo, s7
	s_wait_loadcnt 0x9
	v_subrev_nc_u32_e32 v45, s16, v38
	s_wait_loadcnt 0x8
	v_dual_lshrrev_b32 v54, 16, v14 :: v_dual_lshrrev_b32 v55, 16, v15
	v_cvt_f32_f16_e32 v38, v14
	s_wait_loadcnt 0x7
	v_dual_lshrrev_b32 v58, 16, v18 :: v_dual_lshrrev_b32 v59, 16, v19
	s_wait_loadcnt 0x4
	v_dual_lshrrev_b32 v70, 16, v30 :: v_dual_lshrrev_b32 v71, 16, v31
	v_cvt_f32_f16_e32 v40, v31
	s_wait_loadcnt 0x3
	v_subrev_nc_u32_e32 v31, s16, v42
	v_dual_lshrrev_b32 v72, 16, v32 :: v_dual_lshrrev_b32 v73, 16, v33
	v_cvt_f32_f16_e32 v41, v33
	s_wait_loadcnt 0x2
	v_subrev_nc_u32_e32 v33, s16, v43
	s_wait_loadcnt 0x1
	v_subrev_nc_u32_e32 v43, s16, v44
	v_cvt_f32_f16_e32 v14, v18
	v_dual_lshrrev_b32 v62, 16, v22 :: v_dual_lshrrev_b32 v63, 16, v23
	v_cvt_f32_f16_e32 v18, v22
	v_dual_lshrrev_b32 v66, 16, v26 :: v_dual_lshrrev_b32 v67, 16, v27
	v_cvt_f32_f16_e32 v22, v26
	v_cvt_f32_f16_e32 v26, v30
	v_dual_lshlrev_b32 v30, 2, v45 :: v_dual_lshrrev_b32 v56, 16, v16
	v_lshrrev_b32_e32 v57, 16, v17
	v_cvt_f32_f16_e32 v39, v16
	v_cvt_f32_f16_e32 v16, v15
	v_dual_lshrrev_b32 v60, 16, v20 :: v_dual_lshrrev_b32 v61, 16, v21
	v_cvt_f32_f16_e32 v15, v20
	v_cvt_f32_f16_e32 v20, v19
	v_dual_lshrrev_b32 v64, 16, v24 :: v_dual_lshrrev_b32 v65, 16, v25
	;; [unrolled: 3-line block ×3, first 2 shown]
	v_cvt_f32_f16_e32 v23, v28
	v_cvt_f32_f16_e32 v28, v27
	;; [unrolled: 1-line block ×3, first 2 shown]
	v_dual_lshlrev_b32 v32, 2, v31 :: v_dual_lshlrev_b32 v42, 2, v33
	v_dual_lshlrev_b32 v44, 2, v43 :: v_dual_ashrrev_i32 v31, 31, v30
	v_cvt_f32_f16_e32 v17, v17
	s_delay_alu instid0(VALU_DEP_3) | instskip(NEXT) | instid1(VALU_DEP_3)
	v_dual_ashrrev_i32 v33, 31, v32 :: v_dual_ashrrev_i32 v43, 31, v42
	v_ashrrev_i32_e32 v45, 31, v44
	s_wait_kmcnt 0x0
	v_lshl_add_u64 v[30:31], v[30:31], 1, s[4:5]
	v_cvt_f32_f16_e32 v21, v21
	v_lshl_add_u64 v[32:33], v[32:33], 1, s[4:5]
	v_lshl_add_u64 v[42:43], v[42:43], 1, s[4:5]
	;; [unrolled: 1-line block ×3, first 2 shown]
	s_clause 0x3
	global_load_b64 v[46:47], v[30:31], off
	global_load_b64 v[48:49], v[32:33], off
	;; [unrolled: 1-line block ×4, first 2 shown]
	s_wait_loadcnt 0x4
	s_wait_xcnt 0x0
	v_dual_lshrrev_b32 v45, 16, v34 :: v_dual_lshrrev_b32 v74, 16, v35
	v_cvt_f32_f16_e32 v33, v37
	v_dual_lshrrev_b32 v75, 16, v36 :: v_dual_lshrrev_b32 v76, 16, v37
	v_cvt_f32_f16_e32 v37, v57
	v_cvt_f32_f16_e32 v32, v35
	;; [unrolled: 1-line block ×6, first 2 shown]
	s_wait_loadcnt 0x3
	v_cvt_f32_f16_e32 v30, v46
	s_wait_loadcnt 0x2
	v_lshrrev_b32_e32 v44, 16, v48
	s_delay_alu instid0(VALU_DEP_2)
	v_pk_fma_f32 v[8:9], v[38:39], v[30:31], v[8:9] op_sel_hi:[1,0,1]
	v_pk_fma_f32 v[6:7], v[14:15], v[30:31], v[6:7] op_sel_hi:[1,0,1]
	v_cvt_f32_f16_e32 v30, v34
	v_lshrrev_b32_e32 v34, 16, v46
	v_cvt_f32_f16_e32 v15, v56
	v_cvt_f32_f16_e32 v14, v54
	;; [unrolled: 1-line block ×6, first 2 shown]
	s_delay_alu instid0(VALU_DEP_2) | instskip(SKIP_2) | instid1(VALU_DEP_1)
	v_pk_fma_f32 v[8:9], v[14:15], v[34:35], v[8:9] op_sel_hi:[1,0,1]
	v_cvt_f32_f16_e32 v15, v60
	v_cvt_f32_f16_e32 v14, v58
	v_pk_fma_f32 v[14:15], v[14:15], v[34:35], v[6:7] op_sel_hi:[1,0,1]
	v_cvt_f32_f16_e32 v34, v47
	s_delay_alu instid0(VALU_DEP_1)
	v_pk_fma_f32 v[38:39], v[16:17], v[34:35], v[8:9] op_sel_hi:[1,0,1]
	global_load_b128 v[6:9], v[10:11], off offset:1536
	v_pk_fma_f32 v[20:21], v[20:21], v[34:35], v[14:15] op_sel_hi:[1,0,1]
	global_load_b128 v[14:17], v[10:11], off offset:1552
	v_lshrrev_b32_e32 v34, 16, v47
	s_wait_xcnt 0x0
	v_add_nc_u64_e32 v[10:11], 0x800, v[10:11]
	s_wait_loadcnt 0x1
	v_lshrrev_b32_e32 v46, 16, v6
	v_cvt_f32_f16_e32 v34, v34
	v_dual_lshrrev_b32 v47, 16, v7 :: v_dual_lshrrev_b32 v54, 16, v8
	s_wait_loadcnt 0x0
	v_dual_lshrrev_b32 v55, 16, v9 :: v_dual_lshrrev_b32 v56, 16, v14
	v_lshrrev_b32_e32 v57, 16, v15
	v_pk_fma_f32 v[36:37], v[36:37], v[34:35], v[38:39] op_sel_hi:[1,0,1]
	v_cvt_f32_f16_e32 v39, v61
	v_cvt_f32_f16_e32 v38, v59
	v_dual_lshrrev_b32 v58, 16, v16 :: v_dual_lshrrev_b32 v59, 16, v17
	s_delay_alu instid0(VALU_DEP_2)
	v_pk_fma_f32 v[20:21], v[38:39], v[34:35], v[20:21] op_sel_hi:[1,0,1]
	v_cvt_f32_f16_e32 v34, v6
	v_cvt_f32_f16_e32 v6, v48
	;; [unrolled: 1-line block ×5, first 2 shown]
	s_delay_alu instid0(VALU_DEP_4)
	v_pk_fma_f32 v[8:9], v[18:19], v[6:7], v[36:37] op_sel_hi:[1,0,1]
	v_pk_fma_f32 v[6:7], v[22:23], v[6:7], v[20:21] op_sel_hi:[1,0,1]
	v_cvt_f32_f16_e32 v18, v14
	v_cvt_f32_f16_e32 v19, v16
	;; [unrolled: 1-line block ×10, first 2 shown]
	v_pk_fma_f32 v[8:9], v[14:15], v[44:45], v[8:9] op_sel_hi:[1,0,1]
	v_lshrrev_b32_e32 v15, 16, v49
	v_cvt_f32_f16_e32 v14, v49
	v_pk_fma_f32 v[6:7], v[16:17], v[44:45], v[6:7] op_sel_hi:[1,0,1]
	v_cvt_f32_f16_e32 v37, v69
	v_cvt_f32_f16_e32 v36, v67
	;; [unrolled: 1-line block ×3, first 2 shown]
	v_pk_fma_f32 v[8:9], v[24:25], v[14:15], v[8:9] op_sel_hi:[1,0,1]
	v_lshrrev_b32_e32 v25, 16, v50
	v_cvt_f32_f16_e32 v44, v15
	v_pk_fma_f32 v[6:7], v[28:29], v[14:15], v[6:7] op_sel_hi:[1,0,1]
	v_cvt_f32_f16_e32 v24, v50
	v_cvt_f32_f16_e32 v15, v75
	;; [unrolled: 1-line block ×3, first 2 shown]
	v_pk_fma_f32 v[8:9], v[22:23], v[44:45], v[8:9] op_sel_hi:[1,0,1]
	v_pk_fma_f32 v[6:7], v[36:37], v[44:45], v[6:7] op_sel_hi:[1,0,1]
	v_cvt_f32_f16_e32 v28, v25
	v_cvt_f32_f16_e32 v16, v71
	;; [unrolled: 1-line block ×3, first 2 shown]
	v_pk_fma_f32 v[8:9], v[26:27], v[24:25], v[8:9] op_sel_hi:[1,0,1]
	v_pk_fma_f32 v[6:7], v[30:31], v[24:25], v[6:7] op_sel_hi:[1,0,1]
	v_dual_lshrrev_b32 v25, 16, v51 :: v_dual_lshrrev_b32 v27, 16, v52
	v_cvt_f32_f16_e32 v24, v51
	s_delay_alu instid0(VALU_DEP_4) | instskip(NEXT) | instid1(VALU_DEP_4)
	v_pk_fma_f32 v[8:9], v[42:43], v[28:29], v[8:9] op_sel_hi:[1,0,1]
	v_pk_fma_f32 v[6:7], v[14:15], v[28:29], v[6:7] op_sel_hi:[1,0,1]
	v_cvt_f32_f16_e32 v22, v74
	v_cvt_f32_f16_e32 v26, v25
	v_cvt_f32_f16_e32 v15, v54
	v_pk_fma_f32 v[8:9], v[40:41], v[24:25], v[8:9] op_sel_hi:[1,0,1]
	v_pk_fma_f32 v[6:7], v[32:33], v[24:25], v[6:7] op_sel_hi:[1,0,1]
	v_cvt_f32_f16_e32 v25, v55
	v_cvt_f32_f16_e32 v24, v52
	v_cvt_f32_f16_e32 v14, v46
	;; [unrolled: 5-line block ×3, first 2 shown]
	v_pk_fma_f32 v[8:9], v[34:35], v[24:25], v[8:9] op_sel_hi:[1,0,1]
	v_pk_fma_f32 v[6:7], v[18:19], v[24:25], v[6:7] op_sel_hi:[1,0,1]
	v_lshrrev_b32_e32 v19, 16, v53
	v_cvt_f32_f16_e32 v18, v53
	v_cvt_f32_f16_e32 v24, v47
	v_pk_fma_f32 v[8:9], v[14:15], v[22:23], v[8:9] op_sel_hi:[1,0,1]
	v_pk_fma_f32 v[6:7], v[16:17], v[22:23], v[6:7] op_sel_hi:[1,0,1]
	v_cvt_f32_f16_e32 v15, v59
	v_cvt_f32_f16_e32 v14, v57
	;; [unrolled: 1-line block ×3, first 2 shown]
	v_pk_fma_f32 v[8:9], v[38:39], v[18:19], v[8:9] op_sel_hi:[1,0,1]
	v_pk_fma_f32 v[6:7], v[20:21], v[18:19], v[6:7] op_sel_hi:[1,0,1]
	s_delay_alu instid0(VALU_DEP_2) | instskip(NEXT) | instid1(VALU_DEP_2)
	v_pk_fma_f32 v[8:9], v[24:25], v[16:17], v[8:9] op_sel_hi:[1,0,1]
	v_pk_fma_f32 v[6:7], v[14:15], v[16:17], v[6:7] op_sel_hi:[1,0,1]
	s_and_not1_b32 exec_lo, exec_lo, s7
	s_cbranch_execnz .LBB92_21
; %bb.22:
	s_or_b32 exec_lo, exec_lo, s7
.LBB92_23:
	s_delay_alu instid0(SALU_CYCLE_1)
	s_or_b32 exec_lo, exec_lo, s6
.LBB92_24:
	s_delay_alu instid0(SALU_CYCLE_1)
	s_or_b32 exec_lo, exec_lo, s3
	s_cbranch_execz .LBB92_26
	s_branch .LBB92_37
.LBB92_25:
                                        ; implicit-def: $vgpr7
                                        ; implicit-def: $vgpr9
.LBB92_26:
	v_dual_mov_b32 v7, 0 :: v_dual_mov_b32 v6, 0
	v_dual_mov_b32 v9, 0 :: v_dual_mov_b32 v8, 0
	s_and_saveexec_b32 s3, s2
	s_cbranch_execz .LBB92_36
; %bb.27:
	v_dual_add_nc_u32 v6, v12, v3 :: v_dual_mov_b32 v8, 0
	v_not_b32_e32 v7, v12
	s_delay_alu instid0(VALU_DEP_2) | instskip(NEXT) | instid1(VALU_DEP_3)
	v_subrev_nc_u32_e32 v6, s16, v6
	v_mov_b32_e32 v9, v8
	s_delay_alu instid0(VALU_DEP_2) | instskip(NEXT) | instid1(VALU_DEP_1)
	v_add_max_i32_e64 v6, v6, 16, v1
	v_add3_u32 v6, s16, v6, v7
	s_delay_alu instid0(VALU_DEP_1) | instskip(NEXT) | instid1(VALU_DEP_1)
	v_dual_sub_nc_u32 v10, v6, v3 :: v_dual_mov_b32 v6, v8
	v_and_b32_e32 v7, 48, v10
	s_delay_alu instid0(VALU_DEP_1)
	v_cmp_ne_u32_e32 vcc_lo, 48, v7
	v_mov_b32_e32 v7, v8
	s_and_saveexec_b32 s2, vcc_lo
	s_cbranch_execz .LBB92_31
; %bb.28:
	v_dual_mov_b32 v7, 0 :: v_dual_lshrrev_b32 v6, 4, v10
	s_mov_b32 s6, 0
	s_delay_alu instid0(VALU_DEP_1) | instskip(NEXT) | instid1(VALU_DEP_1)
	v_dual_mov_b32 v9, v7 :: v_dual_add_nc_u32 v6, 1, v6
	v_dual_mov_b32 v6, v7 :: v_dual_bitop2_b32 v8, 3, v6 bitop3:0x40
	s_delay_alu instid0(VALU_DEP_1)
	v_dual_mov_b32 v8, v7 :: v_dual_sub_nc_u32 v11, 0, v8
.LBB92_29:                              ; =>This Inner Loop Header: Depth=1
	global_load_b32 v16, v0, s[8:9] scale_offset
	global_load_b128 v[12:15], v[4:5], off
	s_wait_xcnt 0x1
	v_add_nc_u32_e32 v0, 16, v0
	v_add_co_u32 v11, s7, v11, 1
	s_or_b32 s6, s7, s6
	s_wait_loadcnt 0x1
	v_subrev_nc_u32_e32 v16, s16, v16
	s_wait_loadcnt 0x0
	v_cvt_f32_f16_e32 v24, v15
	v_dual_lshrrev_b32 v25, 16, v13 :: v_dual_lshrrev_b32 v27, 16, v14
	v_cvt_f32_f16_e32 v14, v14
	v_dual_lshlrev_b32 v16, 2, v16 :: v_dual_lshrrev_b32 v30, 16, v15
	s_delay_alu instid0(VALU_DEP_3) | instskip(NEXT) | instid1(VALU_DEP_2)
	v_cvt_f32_f16_e32 v15, v27
	v_ashrrev_i32_e32 v17, 31, v16
	s_wait_kmcnt 0x0
	s_delay_alu instid0(VALU_DEP_1)
	v_lshl_add_u64 v[20:21], v[16:17], 1, s[4:5]
	global_load_b64 v[22:23], v[20:21], off
	global_load_b128 v[16:19], v[4:5], off offset:16
	s_wait_xcnt 0x1
	v_lshrrev_b32_e32 v21, 16, v12
	v_cvt_f32_f16_e32 v12, v12
	v_cvt_f32_f16_e32 v20, v13
	s_wait_xcnt 0x0
	v_add_nc_u64_e32 v[4:5], 0x200, v[4:5]
	s_wait_loadcnt 0x0
	v_dual_lshrrev_b32 v29, 16, v16 :: v_dual_lshrrev_b32 v31, 16, v18
	v_dual_lshrrev_b32 v32, 16, v17 :: v_dual_lshrrev_b32 v33, 16, v19
	v_cvt_f32_f16_e32 v28, v19
	v_cvt_f32_f16_e32 v13, v21
	;; [unrolled: 1-line block ×3, first 2 shown]
	v_lshrrev_b32_e32 v19, 16, v22
	v_cvt_f32_f16_e32 v22, v22
	v_cvt_f32_f16_e32 v25, v30
	;; [unrolled: 1-line block ×5, first 2 shown]
	v_pk_fma_f32 v[8:9], v[12:13], v[22:23], v[8:9] op_sel_hi:[1,0,1]
	v_pk_fma_f32 v[6:7], v[20:21], v[22:23], v[6:7] op_sel_hi:[1,0,1]
	v_lshrrev_b32_e32 v13, 16, v23
	v_cvt_f32_f16_e32 v30, v19
	v_cvt_f32_f16_e32 v27, v32
	;; [unrolled: 1-line block ×5, first 2 shown]
	v_pk_fma_f32 v[8:9], v[14:15], v[30:31], v[8:9] op_sel_hi:[1,0,1]
	v_pk_fma_f32 v[6:7], v[24:25], v[30:31], v[6:7] op_sel_hi:[1,0,1]
	v_cvt_f32_f16_e32 v29, v33
	v_cvt_f32_f16_e32 v14, v13
	s_delay_alu instid0(VALU_DEP_4) | instskip(NEXT) | instid1(VALU_DEP_4)
	v_pk_fma_f32 v[8:9], v[16:17], v[12:13], v[8:9] op_sel_hi:[1,0,1]
	v_pk_fma_f32 v[6:7], v[26:27], v[12:13], v[6:7] op_sel_hi:[1,0,1]
	s_delay_alu instid0(VALU_DEP_2) | instskip(NEXT) | instid1(VALU_DEP_2)
	v_pk_fma_f32 v[8:9], v[18:19], v[14:15], v[8:9] op_sel_hi:[1,0,1]
	v_pk_fma_f32 v[6:7], v[28:29], v[14:15], v[6:7] op_sel_hi:[1,0,1]
	s_and_not1_b32 exec_lo, exec_lo, s6
	s_cbranch_execnz .LBB92_29
; %bb.30:
	s_or_b32 exec_lo, exec_lo, s6
.LBB92_31:
	s_delay_alu instid0(SALU_CYCLE_1) | instskip(NEXT) | instid1(SALU_CYCLE_1)
	s_or_b32 exec_lo, exec_lo, s2
	s_mov_b32 s2, exec_lo
	v_cmpx_lt_u32_e32 47, v10
	s_cbranch_execz .LBB92_35
; %bb.32:
	s_mov_b32 s6, 0
.LBB92_33:                              ; =>This Inner Loop Header: Depth=1
	s_clause 0x3
	global_load_b128 v[10:13], v[4:5], off
	global_load_b128 v[14:17], v[4:5], off offset:16
	global_load_b128 v[18:21], v[4:5], off offset:512
	;; [unrolled: 1-line block ×3, first 2 shown]
	global_load_b32 v27, v0, s[8:9] scale_offset
	s_wait_loadcnt 0x4
	v_cvt_f32_f16_e32 v28, v13
	s_wait_loadcnt 0x3
	v_dual_lshrrev_b32 v37, 16, v16 :: v_dual_lshrrev_b32 v39, 16, v13
	v_dual_lshrrev_b32 v41, 16, v15 :: v_dual_lshrrev_b32 v58, 16, v17
	v_cvt_f32_f16_e32 v30, v15
	s_clause 0x1
	global_load_b32 v13, v0, s[8:9] offset:64 scale_offset
	global_load_b32 v15, v0, s[8:9] offset:128 scale_offset
	v_cvt_f32_f16_e32 v32, v17
	global_load_b32 v17, v0, s[8:9] offset:192 scale_offset
	s_wait_loadcnt 0x5
	v_dual_lshrrev_b32 v59, 16, v18 :: v_dual_lshrrev_b32 v60, 16, v19
	v_cvt_f32_f16_e32 v34, v19
	s_wait_loadcnt 0x3
	v_subrev_nc_u32_e32 v19, s16, v27
	v_dual_lshrrev_b32 v29, 16, v10 :: v_dual_lshrrev_b32 v31, 16, v11
	v_cvt_f32_f16_e32 v10, v10
	v_cvt_f32_f16_e32 v26, v11
	v_dual_lshrrev_b32 v33, 16, v12 :: v_dual_lshrrev_b32 v35, 16, v14
	s_delay_alu instid0(VALU_DEP_4)
	v_cvt_f32_f16_e32 v11, v29
	v_cvt_f32_f16_e32 v27, v31
	;; [unrolled: 1-line block ×8, first 2 shown]
	v_dual_lshrrev_b32 v61, 16, v20 :: v_dual_lshrrev_b32 v62, 16, v22
	v_dual_lshrrev_b32 v63, 16, v24 :: v_dual_lshrrev_b32 v64, 16, v21
	v_cvt_f32_f16_e32 v20, v20
	v_cvt_f32_f16_e32 v36, v21
	s_delay_alu instid0(VALU_DEP_4) | instskip(SKIP_4) | instid1(VALU_DEP_4)
	v_cvt_f32_f16_e32 v21, v61
	v_dual_lshrrev_b32 v65, 16, v23 :: v_dual_lshrrev_b32 v66, 16, v25
	v_cvt_f32_f16_e32 v22, v22
	v_cvt_f32_f16_e32 v38, v23
	;; [unrolled: 1-line block ×8, first 2 shown]
	s_wait_xcnt 0x0
	v_add_nc_u32_e32 v0, 64, v0
	s_delay_alu instid0(VALU_DEP_1)
	v_cmp_ge_i32_e32 vcc_lo, v0, v1
	s_or_b32 s6, vcc_lo, s6
	s_wait_loadcnt 0x2
	v_subrev_nc_u32_e32 v13, s16, v13
	s_wait_loadcnt 0x1
	v_subrev_nc_u32_e32 v15, s16, v15
	v_lshlrev_b32_e32 v42, 2, v19
	s_wait_loadcnt 0x0
	v_subrev_nc_u32_e32 v17, s16, v17
	v_cvt_f32_f16_e32 v19, v59
	v_dual_lshlrev_b32 v44, 2, v13 :: v_dual_lshlrev_b32 v46, 2, v15
	s_delay_alu instid0(VALU_DEP_3) | instskip(SKIP_1) | instid1(VALU_DEP_3)
	v_dual_ashrrev_i32 v43, 31, v42 :: v_dual_lshlrev_b32 v48, 2, v17
	v_cvt_f32_f16_e32 v13, v33
	v_dual_ashrrev_i32 v45, 31, v44 :: v_dual_ashrrev_i32 v47, 31, v46
	s_wait_kmcnt 0x0
	s_delay_alu instid0(VALU_DEP_3)
	v_lshl_add_u64 v[42:43], v[42:43], 1, s[4:5]
	v_ashrrev_i32_e32 v49, 31, v48
	v_cvt_f32_f16_e32 v15, v35
	v_lshl_add_u64 v[44:45], v[44:45], 1, s[4:5]
	v_lshl_add_u64 v[46:47], v[46:47], 1, s[4:5]
	v_cvt_f32_f16_e32 v17, v37
	v_lshl_add_u64 v[48:49], v[48:49], 1, s[4:5]
	s_clause 0x3
	global_load_b64 v[50:51], v[42:43], off
	global_load_b64 v[52:53], v[44:45], off
	;; [unrolled: 1-line block ×4, first 2 shown]
	v_cvt_f32_f16_e32 v33, v58
	v_cvt_f32_f16_e32 v35, v60
	;; [unrolled: 1-line block ×3, first 2 shown]
	s_wait_loadcnt 0x3
	s_wait_xcnt 0x3
	v_cvt_f32_f16_e32 v42, v50
	s_delay_alu instid0(VALU_DEP_1) | instskip(SKIP_2) | instid1(VALU_DEP_1)
	v_pk_fma_f32 v[8:9], v[10:11], v[42:43], v[8:9] op_sel_hi:[1,0,1]
	v_pk_fma_f32 v[10:11], v[26:27], v[42:43], v[6:7] op_sel_hi:[1,0,1]
	v_lshrrev_b32_e32 v6, 16, v50
	v_cvt_f32_f16_e32 v26, v6
	s_delay_alu instid0(VALU_DEP_1) | instskip(SKIP_3) | instid1(VALU_DEP_1)
	v_pk_fma_f32 v[12:13], v[12:13], v[26:27], v[8:9] op_sel_hi:[1,0,1]
	global_load_b128 v[6:9], v[4:5], off offset:1024
	v_pk_fma_f32 v[26:27], v[28:29], v[26:27], v[10:11] op_sel_hi:[1,0,1]
	v_cvt_f32_f16_e32 v28, v51
	v_pk_fma_f32 v[14:15], v[14:15], v[28:29], v[12:13] op_sel_hi:[1,0,1]
	global_load_b128 v[10:13], v[4:5], off offset:1040
	s_wait_loadcnt 0x1
	v_dual_lshrrev_b32 v29, 16, v6 :: v_dual_lshrrev_b32 v43, 16, v8
	s_delay_alu instid0(VALU_DEP_1)
	v_pk_fma_f32 v[26:27], v[30:31], v[28:29], v[26:27] op_sel_hi:[1,0,1]
	v_cvt_f32_f16_e32 v28, v6
	v_lshrrev_b32_e32 v6, 16, v51
	v_lshrrev_b32_e32 v31, 16, v7
	v_cvt_f32_f16_e32 v30, v7
	s_wait_loadcnt 0x0
	v_dual_lshrrev_b32 v45, 16, v12 :: v_dual_lshrrev_b32 v47, 16, v11
	v_lshrrev_b32_e32 v48, 16, v13
	v_cvt_f32_f16_e32 v6, v6
	v_cvt_f32_f16_e32 v42, v12
	;; [unrolled: 1-line block ×5, first 2 shown]
	v_pk_fma_f32 v[14:15], v[16:17], v[6:7], v[14:15] op_sel_hi:[1,0,1]
	v_cvt_f32_f16_e32 v16, v8
	v_pk_fma_f32 v[6:7], v[32:33], v[6:7], v[26:27] op_sel_hi:[1,0,1]
	v_cvt_f32_f16_e32 v8, v52
	v_dual_lshrrev_b32 v33, 16, v9 :: v_dual_lshrrev_b32 v27, 16, v10
	v_cvt_f32_f16_e32 v26, v10
	v_cvt_f32_f16_e32 v32, v9
	s_delay_alu instid0(VALU_DEP_4)
	v_pk_fma_f32 v[12:13], v[34:35], v[8:9], v[6:7] op_sel_hi:[1,0,1]
	v_lshrrev_b32_e32 v6, 16, v52
	v_pk_fma_f32 v[10:11], v[18:19], v[8:9], v[14:15] op_sel_hi:[1,0,1]
	v_cvt_f32_f16_e32 v31, v31
	v_cvt_f32_f16_e32 v17, v43
	;; [unrolled: 1-line block ×4, first 2 shown]
	global_load_b128 v[6:9], v[4:5], off offset:1536
	v_cvt_f32_f16_e32 v27, v27
	v_cvt_f32_f16_e32 v43, v45
	;; [unrolled: 1-line block ×3, first 2 shown]
	v_pk_fma_f32 v[18:19], v[20:21], v[14:15], v[10:11] op_sel_hi:[1,0,1]
	v_pk_fma_f32 v[14:15], v[36:37], v[14:15], v[12:13] op_sel_hi:[1,0,1]
	global_load_b128 v[10:13], v[4:5], off offset:1552
	v_cvt_f32_f16_e32 v20, v53
	v_cvt_f32_f16_e32 v47, v48
	s_wait_xcnt 0x0
	v_add_nc_u64_e32 v[4:5], 0x800, v[4:5]
	s_wait_loadcnt 0x1
	v_dual_lshrrev_b32 v21, 16, v6 :: v_dual_lshrrev_b32 v35, 16, v8
	v_lshrrev_b32_e32 v37, 16, v9
	v_cvt_f32_f16_e32 v6, v6
	v_cvt_f32_f16_e32 v8, v8
	s_delay_alu instid0(VALU_DEP_4)
	v_pk_fma_f32 v[18:19], v[22:23], v[20:21], v[18:19] op_sel_hi:[1,0,1]
	v_pk_fma_f32 v[14:15], v[38:39], v[20:21], v[14:15] op_sel_hi:[1,0,1]
	v_lshrrev_b32_e32 v23, 16, v7
	v_cvt_f32_f16_e32 v20, v7
	v_lshrrev_b32_e32 v7, 16, v53
	v_cvt_f32_f16_e32 v22, v9
	s_wait_loadcnt 0x0
	v_dual_lshrrev_b32 v39, 16, v10 :: v_dual_lshrrev_b32 v9, 16, v55
	v_lshrrev_b32_e32 v51, 16, v13
	v_cvt_f32_f16_e32 v38, v7
	v_lshrrev_b32_e32 v7, 16, v54
	v_cvt_f32_f16_e32 v36, v13
	v_lshrrev_b32_e32 v13, 16, v56
	v_dual_lshrrev_b32 v49, 16, v12 :: v_dual_lshrrev_b32 v50, 16, v11
	v_pk_fma_f32 v[18:19], v[24:25], v[38:39], v[18:19] op_sel_hi:[1,0,1]
	v_pk_fma_f32 v[14:15], v[40:41], v[38:39], v[14:15] op_sel_hi:[1,0,1]
	v_cvt_f32_f16_e32 v24, v54
	v_cvt_f32_f16_e32 v38, v7
	;; [unrolled: 1-line block ×5, first 2 shown]
	v_pk_fma_f32 v[18:19], v[28:29], v[24:25], v[18:19] op_sel_hi:[1,0,1]
	v_pk_fma_f32 v[14:15], v[30:31], v[24:25], v[14:15] op_sel_hi:[1,0,1]
	v_cvt_f32_f16_e32 v24, v55
	v_cvt_f32_f16_e32 v10, v10
	v_cvt_f32_f16_e32 v34, v11
	v_pk_fma_f32 v[16:17], v[16:17], v[38:39], v[18:19] op_sel_hi:[1,0,1]
	v_pk_fma_f32 v[14:15], v[32:33], v[38:39], v[14:15] op_sel_hi:[1,0,1]
	v_cvt_f32_f16_e32 v18, v9
	v_cvt_f32_f16_e32 v9, v35
	v_cvt_f32_f16_e32 v11, v39
	;; [unrolled: 5-line block ×4, first 2 shown]
	v_pk_fma_f32 v[6:7], v[6:7], v[24:25], v[16:17] op_sel_hi:[1,0,1]
	v_pk_fma_f32 v[14:15], v[20:21], v[24:25], v[14:15] op_sel_hi:[1,0,1]
	v_lshrrev_b32_e32 v17, 16, v57
	v_cvt_f32_f16_e32 v16, v57
	s_delay_alu instid0(VALU_DEP_4) | instskip(NEXT) | instid1(VALU_DEP_4)
	v_pk_fma_f32 v[6:7], v[8:9], v[18:19], v[6:7] op_sel_hi:[1,0,1]
	v_pk_fma_f32 v[8:9], v[22:23], v[18:19], v[14:15] op_sel_hi:[1,0,1]
	s_delay_alu instid0(VALU_DEP_4) | instskip(NEXT) | instid1(VALU_DEP_3)
	v_cvt_f32_f16_e32 v14, v17
	v_pk_fma_f32 v[6:7], v[10:11], v[16:17], v[6:7] op_sel_hi:[1,0,1]
	s_delay_alu instid0(VALU_DEP_3) | instskip(NEXT) | instid1(VALU_DEP_2)
	v_pk_fma_f32 v[10:11], v[34:35], v[16:17], v[8:9] op_sel_hi:[1,0,1]
	v_pk_fma_f32 v[8:9], v[12:13], v[14:15], v[6:7] op_sel_hi:[1,0,1]
	s_delay_alu instid0(VALU_DEP_2)
	v_pk_fma_f32 v[6:7], v[36:37], v[14:15], v[10:11] op_sel_hi:[1,0,1]
	s_and_not1_b32 exec_lo, exec_lo, s6
	s_cbranch_execnz .LBB92_33
; %bb.34:
	s_or_b32 exec_lo, exec_lo, s6
.LBB92_35:
	s_delay_alu instid0(SALU_CYCLE_1)
	s_or_b32 exec_lo, exec_lo, s2
.LBB92_36:
	s_delay_alu instid0(SALU_CYCLE_1)
	s_or_b32 exec_lo, exec_lo, s3
.LBB92_37:
	v_mbcnt_lo_u32_b32 v10, -1, 0
	s_mov_b32 s2, -1
	s_delay_alu instid0(VALU_DEP_1) | instskip(SKIP_1) | instid1(VALU_DEP_1)
	v_xor_b32_e32 v11, 4, v10
	v_xor_b32_e32 v0, 8, v10
	v_cmp_gt_i32_e32 vcc_lo, 32, v0
	v_cndmask_b32_e32 v0, v10, v0, vcc_lo
	s_delay_alu instid0(VALU_DEP_4) | instskip(SKIP_1) | instid1(VALU_DEP_1)
	v_cmp_gt_i32_e32 vcc_lo, 32, v11
	v_cndmask_b32_e32 v11, v10, v11, vcc_lo
	v_dual_lshlrev_b32 v11, 2, v11 :: v_dual_lshlrev_b32 v5, 2, v0
	ds_bpermute_b32 v0, v5, v8
	ds_bpermute_b32 v1, v5, v9
	;; [unrolled: 1-line block ×4, first 2 shown]
	s_wait_dscnt 0x2
	v_pk_add_f32 v[0:1], v[8:9], v[0:1]
	s_wait_dscnt 0x0
	v_pk_add_f32 v[4:5], v[6:7], v[4:5]
	ds_bpermute_b32 v6, v11, v0
	ds_bpermute_b32 v7, v11, v1
	;; [unrolled: 1-line block ×4, first 2 shown]
	v_xor_b32_e32 v11, 2, v10
	s_delay_alu instid0(VALU_DEP_1) | instskip(SKIP_1) | instid1(VALU_DEP_1)
	v_cmp_gt_i32_e32 vcc_lo, 32, v11
	v_cndmask_b32_e32 v11, v10, v11, vcc_lo
	v_lshlrev_b32_e32 v11, 2, v11
	s_wait_dscnt 0x2
	v_pk_add_f32 v[0:1], v[0:1], v[6:7]
	s_wait_dscnt 0x0
	v_pk_add_f32 v[4:5], v[4:5], v[8:9]
	ds_bpermute_b32 v6, v11, v0
	ds_bpermute_b32 v7, v11, v1
	;; [unrolled: 1-line block ×4, first 2 shown]
	v_xor_b32_e32 v11, 1, v10
	s_delay_alu instid0(VALU_DEP_1) | instskip(SKIP_2) | instid1(VALU_DEP_2)
	v_cmp_gt_i32_e32 vcc_lo, 32, v11
	v_cndmask_b32_e32 v10, v10, v11, vcc_lo
	v_cmp_eq_u32_e32 vcc_lo, 15, v3
	v_lshlrev_b32_e32 v10, 2, v10
	s_wait_dscnt 0x2
	v_pk_add_f32 v[0:1], v[0:1], v[6:7]
	s_wait_dscnt 0x0
	v_pk_add_f32 v[6:7], v[4:5], v[8:9]
	ds_bpermute_b32 v4, v10, v0
	ds_bpermute_b32 v5, v10, v1
	;; [unrolled: 1-line block ×4, first 2 shown]
	s_and_b32 exec_lo, exec_lo, vcc_lo
	s_cbranch_execz .LBB92_10
; %bb.38:
	s_load_b64 s[0:1], s[0:1], 0x50
	s_wait_dscnt 0x2
	v_pk_add_f32 v[4:5], v[0:1], v[4:5]
	s_wait_dscnt 0x0
	v_pk_add_f32 v[0:1], v[6:7], v[8:9]
	v_lshlrev_b32_e32 v2, 2, v2
	s_cmp_eq_f32 s14, 0
	s_cbranch_scc0 .LBB92_40
; %bb.39:
	s_delay_alu instid0(VALU_DEP_1)
	v_ashrrev_i32_e32 v3, 31, v2
	v_pk_mul_f32 v[6:7], s[12:13], v[4:5] op_sel_hi:[0,1]
	v_pk_mul_f32 v[8:9], s[12:13], v[0:1] op_sel_hi:[0,1]
	s_mov_b32 s2, 0
	s_wait_kmcnt 0x0
	v_lshl_add_u64 v[10:11], v[2:3], 2, s[0:1]
	global_store_b128 v[10:11], v[6:9], off
.LBB92_40:
	s_and_not1_b32 vcc_lo, exec_lo, s2
	s_cbranch_vccnz .LBB92_10
; %bb.41:
	v_ashrrev_i32_e32 v3, 31, v2
	s_wait_kmcnt 0x0
	s_delay_alu instid0(VALU_DEP_1)
	v_lshl_add_u64 v[10:11], v[2:3], 2, s[0:1]
	v_pk_mul_f32 v[2:3], s[12:13], v[4:5] op_sel_hi:[0,1]
	v_pk_mul_f32 v[4:5], s[12:13], v[0:1] op_sel_hi:[0,1]
	global_load_b128 v[6:9], v[10:11], off
	s_wait_loadcnt 0x0
	v_pk_fma_f32 v[0:1], s[14:15], v[6:7], v[2:3] op_sel_hi:[0,1,1]
	v_pk_fma_f32 v[2:3], s[14:15], v[8:9], v[4:5] op_sel_hi:[0,1,1]
	global_store_b128 v[10:11], v[0:3], off
	s_sendmsg sendmsg(MSG_DEALLOC_VGPRS)
	s_endpgm
	.section	.rodata,"a",@progbits
	.p2align	6, 0x0
	.amdhsa_kernel _ZN9rocsparseL18bsrxmvn_4x4_kernelILj128ELj16EfiiDF16_DF16_fEEvT3_20rocsparse_direction_NS_24const_host_device_scalarIT1_EES1_PKS1_PKT2_SA_S7_PKT4_PKT5_S5_PT6_21rocsparse_index_base_b
		.amdhsa_group_segment_fixed_size 0
		.amdhsa_private_segment_fixed_size 0
		.amdhsa_kernarg_size 96
		.amdhsa_user_sgpr_count 2
		.amdhsa_user_sgpr_dispatch_ptr 0
		.amdhsa_user_sgpr_queue_ptr 0
		.amdhsa_user_sgpr_kernarg_segment_ptr 1
		.amdhsa_user_sgpr_dispatch_id 0
		.amdhsa_user_sgpr_kernarg_preload_length 0
		.amdhsa_user_sgpr_kernarg_preload_offset 0
		.amdhsa_user_sgpr_private_segment_size 0
		.amdhsa_wavefront_size32 1
		.amdhsa_uses_dynamic_stack 0
		.amdhsa_enable_private_segment 0
		.amdhsa_system_sgpr_workgroup_id_x 1
		.amdhsa_system_sgpr_workgroup_id_y 0
		.amdhsa_system_sgpr_workgroup_id_z 0
		.amdhsa_system_sgpr_workgroup_info 0
		.amdhsa_system_vgpr_workitem_id 0
		.amdhsa_next_free_vgpr 77
		.amdhsa_next_free_sgpr 18
		.amdhsa_named_barrier_count 0
		.amdhsa_reserve_vcc 1
		.amdhsa_float_round_mode_32 0
		.amdhsa_float_round_mode_16_64 0
		.amdhsa_float_denorm_mode_32 3
		.amdhsa_float_denorm_mode_16_64 3
		.amdhsa_fp16_overflow 0
		.amdhsa_memory_ordered 1
		.amdhsa_forward_progress 1
		.amdhsa_inst_pref_size 36
		.amdhsa_round_robin_scheduling 0
		.amdhsa_exception_fp_ieee_invalid_op 0
		.amdhsa_exception_fp_denorm_src 0
		.amdhsa_exception_fp_ieee_div_zero 0
		.amdhsa_exception_fp_ieee_overflow 0
		.amdhsa_exception_fp_ieee_underflow 0
		.amdhsa_exception_fp_ieee_inexact 0
		.amdhsa_exception_int_div_zero 0
	.end_amdhsa_kernel
	.section	.text._ZN9rocsparseL18bsrxmvn_4x4_kernelILj128ELj16EfiiDF16_DF16_fEEvT3_20rocsparse_direction_NS_24const_host_device_scalarIT1_EES1_PKS1_PKT2_SA_S7_PKT4_PKT5_S5_PT6_21rocsparse_index_base_b,"axG",@progbits,_ZN9rocsparseL18bsrxmvn_4x4_kernelILj128ELj16EfiiDF16_DF16_fEEvT3_20rocsparse_direction_NS_24const_host_device_scalarIT1_EES1_PKS1_PKT2_SA_S7_PKT4_PKT5_S5_PT6_21rocsparse_index_base_b,comdat
.Lfunc_end92:
	.size	_ZN9rocsparseL18bsrxmvn_4x4_kernelILj128ELj16EfiiDF16_DF16_fEEvT3_20rocsparse_direction_NS_24const_host_device_scalarIT1_EES1_PKS1_PKT2_SA_S7_PKT4_PKT5_S5_PT6_21rocsparse_index_base_b, .Lfunc_end92-_ZN9rocsparseL18bsrxmvn_4x4_kernelILj128ELj16EfiiDF16_DF16_fEEvT3_20rocsparse_direction_NS_24const_host_device_scalarIT1_EES1_PKS1_PKT2_SA_S7_PKT4_PKT5_S5_PT6_21rocsparse_index_base_b
                                        ; -- End function
	.set _ZN9rocsparseL18bsrxmvn_4x4_kernelILj128ELj16EfiiDF16_DF16_fEEvT3_20rocsparse_direction_NS_24const_host_device_scalarIT1_EES1_PKS1_PKT2_SA_S7_PKT4_PKT5_S5_PT6_21rocsparse_index_base_b.num_vgpr, 77
	.set _ZN9rocsparseL18bsrxmvn_4x4_kernelILj128ELj16EfiiDF16_DF16_fEEvT3_20rocsparse_direction_NS_24const_host_device_scalarIT1_EES1_PKS1_PKT2_SA_S7_PKT4_PKT5_S5_PT6_21rocsparse_index_base_b.num_agpr, 0
	.set _ZN9rocsparseL18bsrxmvn_4x4_kernelILj128ELj16EfiiDF16_DF16_fEEvT3_20rocsparse_direction_NS_24const_host_device_scalarIT1_EES1_PKS1_PKT2_SA_S7_PKT4_PKT5_S5_PT6_21rocsparse_index_base_b.numbered_sgpr, 18
	.set _ZN9rocsparseL18bsrxmvn_4x4_kernelILj128ELj16EfiiDF16_DF16_fEEvT3_20rocsparse_direction_NS_24const_host_device_scalarIT1_EES1_PKS1_PKT2_SA_S7_PKT4_PKT5_S5_PT6_21rocsparse_index_base_b.num_named_barrier, 0
	.set _ZN9rocsparseL18bsrxmvn_4x4_kernelILj128ELj16EfiiDF16_DF16_fEEvT3_20rocsparse_direction_NS_24const_host_device_scalarIT1_EES1_PKS1_PKT2_SA_S7_PKT4_PKT5_S5_PT6_21rocsparse_index_base_b.private_seg_size, 0
	.set _ZN9rocsparseL18bsrxmvn_4x4_kernelILj128ELj16EfiiDF16_DF16_fEEvT3_20rocsparse_direction_NS_24const_host_device_scalarIT1_EES1_PKS1_PKT2_SA_S7_PKT4_PKT5_S5_PT6_21rocsparse_index_base_b.uses_vcc, 1
	.set _ZN9rocsparseL18bsrxmvn_4x4_kernelILj128ELj16EfiiDF16_DF16_fEEvT3_20rocsparse_direction_NS_24const_host_device_scalarIT1_EES1_PKS1_PKT2_SA_S7_PKT4_PKT5_S5_PT6_21rocsparse_index_base_b.uses_flat_scratch, 0
	.set _ZN9rocsparseL18bsrxmvn_4x4_kernelILj128ELj16EfiiDF16_DF16_fEEvT3_20rocsparse_direction_NS_24const_host_device_scalarIT1_EES1_PKS1_PKT2_SA_S7_PKT4_PKT5_S5_PT6_21rocsparse_index_base_b.has_dyn_sized_stack, 0
	.set _ZN9rocsparseL18bsrxmvn_4x4_kernelILj128ELj16EfiiDF16_DF16_fEEvT3_20rocsparse_direction_NS_24const_host_device_scalarIT1_EES1_PKS1_PKT2_SA_S7_PKT4_PKT5_S5_PT6_21rocsparse_index_base_b.has_recursion, 0
	.set _ZN9rocsparseL18bsrxmvn_4x4_kernelILj128ELj16EfiiDF16_DF16_fEEvT3_20rocsparse_direction_NS_24const_host_device_scalarIT1_EES1_PKS1_PKT2_SA_S7_PKT4_PKT5_S5_PT6_21rocsparse_index_base_b.has_indirect_call, 0
	.section	.AMDGPU.csdata,"",@progbits
; Kernel info:
; codeLenInByte = 4596
; TotalNumSgprs: 20
; NumVgprs: 77
; ScratchSize: 0
; MemoryBound: 0
; FloatMode: 240
; IeeeMode: 1
; LDSByteSize: 0 bytes/workgroup (compile time only)
; SGPRBlocks: 0
; VGPRBlocks: 4
; NumSGPRsForWavesPerEU: 20
; NumVGPRsForWavesPerEU: 77
; NamedBarCnt: 0
; Occupancy: 12
; WaveLimiterHint : 1
; COMPUTE_PGM_RSRC2:SCRATCH_EN: 0
; COMPUTE_PGM_RSRC2:USER_SGPR: 2
; COMPUTE_PGM_RSRC2:TRAP_HANDLER: 0
; COMPUTE_PGM_RSRC2:TGID_X_EN: 1
; COMPUTE_PGM_RSRC2:TGID_Y_EN: 0
; COMPUTE_PGM_RSRC2:TGID_Z_EN: 0
; COMPUTE_PGM_RSRC2:TIDIG_COMP_CNT: 0
	.section	.text._ZN9rocsparseL18bsrxmvn_4x4_kernelILj128ELj32EfiiDF16_DF16_fEEvT3_20rocsparse_direction_NS_24const_host_device_scalarIT1_EES1_PKS1_PKT2_SA_S7_PKT4_PKT5_S5_PT6_21rocsparse_index_base_b,"axG",@progbits,_ZN9rocsparseL18bsrxmvn_4x4_kernelILj128ELj32EfiiDF16_DF16_fEEvT3_20rocsparse_direction_NS_24const_host_device_scalarIT1_EES1_PKS1_PKT2_SA_S7_PKT4_PKT5_S5_PT6_21rocsparse_index_base_b,comdat
	.globl	_ZN9rocsparseL18bsrxmvn_4x4_kernelILj128ELj32EfiiDF16_DF16_fEEvT3_20rocsparse_direction_NS_24const_host_device_scalarIT1_EES1_PKS1_PKT2_SA_S7_PKT4_PKT5_S5_PT6_21rocsparse_index_base_b ; -- Begin function _ZN9rocsparseL18bsrxmvn_4x4_kernelILj128ELj32EfiiDF16_DF16_fEEvT3_20rocsparse_direction_NS_24const_host_device_scalarIT1_EES1_PKS1_PKT2_SA_S7_PKT4_PKT5_S5_PT6_21rocsparse_index_base_b
	.p2align	8
	.type	_ZN9rocsparseL18bsrxmvn_4x4_kernelILj128ELj32EfiiDF16_DF16_fEEvT3_20rocsparse_direction_NS_24const_host_device_scalarIT1_EES1_PKS1_PKT2_SA_S7_PKT4_PKT5_S5_PT6_21rocsparse_index_base_b,@function
_ZN9rocsparseL18bsrxmvn_4x4_kernelILj128ELj32EfiiDF16_DF16_fEEvT3_20rocsparse_direction_NS_24const_host_device_scalarIT1_EES1_PKS1_PKT2_SA_S7_PKT4_PKT5_S5_PT6_21rocsparse_index_base_b: ; @_ZN9rocsparseL18bsrxmvn_4x4_kernelILj128ELj32EfiiDF16_DF16_fEEvT3_20rocsparse_direction_NS_24const_host_device_scalarIT1_EES1_PKS1_PKT2_SA_S7_PKT4_PKT5_S5_PT6_21rocsparse_index_base_b
; %bb.0:
	s_clause 0x2
	s_load_b64 s[16:17], s[0:1], 0x58
	s_load_b64 s[12:13], s[0:1], 0x8
	;; [unrolled: 1-line block ×3, first 2 shown]
	s_wait_kmcnt 0x0
	s_bitcmp1_b32 s17, 0
	s_cselect_b32 s2, -1, 0
	s_delay_alu instid0(SALU_CYCLE_1)
	s_and_b32 vcc_lo, exec_lo, s2
	s_xor_b32 s2, s2, -1
	s_cbranch_vccnz .LBB93_2
; %bb.1:
	s_load_b32 s12, s[12:13], 0x0
.LBB93_2:
	s_and_not1_b32 vcc_lo, exec_lo, s2
	s_cbranch_vccnz .LBB93_4
; %bb.3:
	s_load_b32 s14, s[14:15], 0x0
.LBB93_4:
	s_wait_kmcnt 0x0
	s_cmp_neq_f32 s12, 0
	s_mov_b32 s6, 0
	s_cselect_b32 s2, -1, 0
	s_cmp_neq_f32 s14, 1.0
	s_cselect_b32 s3, -1, 0
	s_delay_alu instid0(SALU_CYCLE_1) | instskip(NEXT) | instid1(SALU_CYCLE_1)
	s_or_b32 s2, s2, s3
	s_and_not1_b32 vcc_lo, exec_lo, s2
	s_cbranch_vccnz .LBB93_10
; %bb.5:
	s_clause 0x1
	s_load_b64 s[4:5], s[0:1], 0x18
	s_load_b64 s[2:3], s[0:1], 0x0
	s_bfe_u32 s7, ttmp6, 0x4000c
	s_and_b32 s8, ttmp6, 15
	s_add_co_i32 s7, s7, 1
	s_getreg_b32 s9, hwreg(HW_REG_IB_STS2, 6, 4)
	s_mul_i32 s7, ttmp9, s7
	v_lshrrev_b32_e32 v1, 5, v0
	s_add_co_i32 s8, s8, s7
	s_cmp_eq_u32 s9, 0
	s_cselect_b32 s7, ttmp9, s8
	s_delay_alu instid0(VALU_DEP_1) | instid1(SALU_CYCLE_1)
	v_lshl_or_b32 v2, s7, 2, v1
	s_wait_kmcnt 0x0
	s_cmp_lg_u64 s[4:5], 0
	s_cbranch_scc0 .LBB93_11
; %bb.6:
	s_load_b32 s6, s[0:1], 0x10
	s_mov_b32 s7, 0
                                        ; implicit-def: $vgpr1
	s_wait_kmcnt 0x0
	v_cmp_gt_i32_e32 vcc_lo, s6, v2
	s_mov_b32 s6, 0
	s_and_saveexec_b32 s8, vcc_lo
	s_delay_alu instid0(SALU_CYCLE_1)
	s_xor_b32 s8, exec_lo, s8
	s_cbranch_execz .LBB93_8
; %bb.7:
	global_load_b32 v1, v2, s[4:5] scale_offset
	s_mov_b32 s6, exec_lo
	s_wait_loadcnt 0x0
	v_subrev_nc_u32_e32 v1, s16, v1
.LBB93_8:
	s_or_b32 exec_lo, exec_lo, s8
	s_delay_alu instid0(SALU_CYCLE_1)
	s_and_b32 vcc_lo, exec_lo, s7
	s_cbranch_vccz .LBB93_12
.LBB93_9:
	v_cmp_gt_i32_e32 vcc_lo, s2, v2
	s_and_not1_b32 s2, s6, exec_lo
	s_and_b32 s4, vcc_lo, exec_lo
	s_delay_alu instid0(SALU_CYCLE_1) | instskip(NEXT) | instid1(SALU_CYCLE_1)
	s_or_b32 s6, s2, s4
	s_and_saveexec_b32 s2, s6
	s_cbranch_execnz .LBB93_13
.LBB93_10:
	s_sendmsg sendmsg(MSG_DEALLOC_VGPRS)
	s_endpgm
.LBB93_11:
                                        ; implicit-def: $vgpr1
	s_cbranch_execnz .LBB93_9
.LBB93_12:
	s_delay_alu instid0(VALU_DEP_1)
	v_mov_b32_e32 v2, v1
	s_and_saveexec_b32 s2, s6
	s_cbranch_execz .LBB93_10
.LBB93_13:
	s_load_b256 s[4:11], s[0:1], 0x20
	s_wait_kmcnt 0x0
	s_cmp_eq_u64 s[6:7], 0
	global_load_b32 v12, v2, s[4:5] scale_offset
	s_cselect_b32 vcc_lo, -1, 0
	v_ashrrev_i32_e32 v3, 31, v2
	s_cmp_eq_u32 s3, 1
	s_delay_alu instid0(VALU_DEP_1) | instskip(SKIP_1) | instid1(VALU_DEP_2)
	v_lshlrev_b64_e32 v[4:5], 2, v[2:3]
	v_and_b32_e32 v3, 31, v0
	v_add_nc_u64_e32 v[6:7], s[4:5], v[4:5]
	v_add_nc_u64_e32 v[4:5], s[6:7], v[4:5]
	s_wait_xcnt 0x0
	s_load_b64 s[4:5], s[0:1], 0x40
	s_delay_alu instid0(VALU_DEP_2) | instskip(NEXT) | instid1(VALU_DEP_1)
	v_add_nc_u64_e32 v[6:7], 4, v[6:7]
	v_dual_cndmask_b32 v5, v5, v7 :: v_dual_cndmask_b32 v4, v4, v6
	global_load_b32 v6, v[4:5], off
	s_wait_loadcnt 0x1
	v_subrev_nc_u32_e32 v0, s16, v12
	s_delay_alu instid0(VALU_DEP_1) | instskip(NEXT) | instid1(VALU_DEP_1)
	v_add_nc_u32_e32 v0, v0, v3
	v_ashrrev_i32_e32 v1, 31, v0
	s_wait_xcnt 0x0
	s_delay_alu instid0(VALU_DEP_1) | instskip(NEXT) | instid1(VALU_DEP_1)
	v_lshlrev_b64_e32 v[4:5], 5, v[0:1]
	v_add_nc_u64_e32 v[4:5], s[10:11], v[4:5]
	s_wait_loadcnt 0x0
	v_subrev_nc_u32_e32 v1, s16, v6
	s_delay_alu instid0(VALU_DEP_1)
	v_cmp_lt_i32_e64 s2, v0, v1
	s_cbranch_scc1 .LBB93_25
; %bb.14:
	v_dual_mov_b32 v7, 0 :: v_dual_mov_b32 v6, 0
	v_dual_mov_b32 v9, 0 :: v_dual_mov_b32 v8, 0
	s_and_saveexec_b32 s3, s2
	s_cbranch_execz .LBB93_24
; %bb.15:
	v_dual_add_nc_u32 v6, v12, v3 :: v_dual_mov_b32 v8, 0
	v_not_b32_e32 v7, v12
	v_mov_b32_e32 v13, v0
	s_delay_alu instid0(VALU_DEP_3) | instskip(NEXT) | instid1(VALU_DEP_4)
	v_subrev_nc_u32_e32 v6, s16, v6
	v_mov_b32_e32 v9, v8
	s_delay_alu instid0(VALU_DEP_2) | instskip(NEXT) | instid1(VALU_DEP_1)
	v_add_max_i32_e64 v6, v6, 32, v1
	v_add3_u32 v6, s16, v6, v7
	s_delay_alu instid0(VALU_DEP_1) | instskip(SKIP_1) | instid1(VALU_DEP_2)
	v_dual_mov_b32 v7, v8 :: v_dual_sub_nc_u32 v14, v6, v3
	v_mov_b32_e32 v6, v8
	v_and_b32_e32 v10, 0x60, v14
	s_delay_alu instid0(VALU_DEP_1)
	v_cmp_ne_u32_e32 vcc_lo, 0x60, v10
	v_mov_b64_e32 v[10:11], v[4:5]
	s_and_saveexec_b32 s6, vcc_lo
	s_cbranch_execz .LBB93_19
; %bb.16:
	v_dual_mov_b32 v7, 0 :: v_dual_lshrrev_b32 v6, 5, v14
	v_mov_b64_e32 v[10:11], v[4:5]
	s_mov_b32 s7, 0
	s_delay_alu instid0(VALU_DEP_2) | instskip(NEXT) | instid1(VALU_DEP_1)
	v_dual_mov_b32 v13, v0 :: v_dual_add_nc_u32 v6, 1, v6
	v_dual_mov_b32 v6, v7 :: v_dual_bitop2_b32 v8, 3, v6 bitop3:0x40
	s_delay_alu instid0(VALU_DEP_1)
	v_dual_mov_b32 v9, v7 :: v_dual_sub_nc_u32 v15, 0, v8
	v_mov_b32_e32 v8, v7
.LBB93_17:                              ; =>This Inner Loop Header: Depth=1
	global_load_b32 v20, v13, s[8:9] scale_offset
	global_load_b128 v[16:19], v[10:11], off
	s_wait_xcnt 0x1
	v_add_nc_u32_e32 v13, 32, v13
	v_add_co_u32 v15, s10, v15, 1
	s_or_b32 s7, s10, s7
	s_wait_loadcnt 0x1
	v_subrev_nc_u32_e32 v20, s16, v20
	s_wait_loadcnt 0x0
	v_dual_lshrrev_b32 v30, 16, v16 :: v_dual_lshrrev_b32 v34, 16, v17
	s_delay_alu instid0(VALU_DEP_2) | instskip(NEXT) | instid1(VALU_DEP_2)
	v_dual_lshrrev_b32 v31, 16, v18 :: v_dual_lshlrev_b32 v20, 2, v20
	v_cvt_f32_f16_e32 v30, v30
	s_delay_alu instid0(VALU_DEP_2) | instskip(NEXT) | instid1(VALU_DEP_3)
	v_cvt_f32_f16_e32 v31, v31
	v_ashrrev_i32_e32 v21, 31, v20
	s_wait_kmcnt 0x0
	s_delay_alu instid0(VALU_DEP_1)
	v_lshl_add_u64 v[24:25], v[20:21], 1, s[4:5]
	global_load_b128 v[20:23], v[10:11], off offset:16
	global_load_b64 v[26:27], v[24:25], off
	s_wait_xcnt 0x0
	v_cvt_f32_f16_e32 v25, v19
	v_lshrrev_b32_e32 v19, 16, v19
	v_cvt_f32_f16_e32 v24, v17
	v_add_nc_u64_e32 v[10:11], 0x400, v[10:11]
	s_delay_alu instid0(VALU_DEP_3)
	v_cvt_f32_f16_e32 v17, v19
	s_wait_loadcnt 0x1
	v_dual_lshrrev_b32 v32, 16, v20 :: v_dual_lshrrev_b32 v33, 16, v22
	s_wait_loadcnt 0x0
	v_lshrrev_b32_e32 v19, 16, v26
	v_fma_mix_f32 v8, v16, v26, v8 op_sel_hi:[1,1,0]
	v_fma_mix_f32 v9, v18, v26, v9 op_sel_hi:[1,1,0]
	v_cvt_f32_f16_e32 v32, v32
	v_cvt_f32_f16_e32 v33, v33
	v_fma_mix_f32 v6, v20, v26, v6 op_sel_hi:[1,1,0]
	v_fma_mix_f32 v7, v22, v26, v7 op_sel_hi:[1,1,0]
	v_lshrrev_b32_e32 v22, 16, v27
	v_cvt_f32_f16_e32 v18, v19
	v_cvt_f32_f16_e32 v29, v23
	;; [unrolled: 1-line block ×3, first 2 shown]
	v_dual_lshrrev_b32 v23, 16, v23 :: v_dual_lshrrev_b32 v21, 16, v21
	v_cvt_f32_f16_e32 v20, v27
	v_pk_fma_f32 v[8:9], v[30:31], v[18:19], v[8:9] op_sel_hi:[1,0,1]
	v_pk_fma_f32 v[6:7], v[32:33], v[18:19], v[6:7] op_sel_hi:[1,0,1]
	v_cvt_f32_f16_e32 v16, v34
	v_cvt_f32_f16_e32 v19, v23
	;; [unrolled: 1-line block ×4, first 2 shown]
	v_pk_fma_f32 v[8:9], v[24:25], v[20:21], v[8:9] op_sel_hi:[1,0,1]
	v_pk_fma_f32 v[6:7], v[28:29], v[20:21], v[6:7] op_sel_hi:[1,0,1]
	s_delay_alu instid0(VALU_DEP_2) | instskip(NEXT) | instid1(VALU_DEP_2)
	v_pk_fma_f32 v[8:9], v[16:17], v[22:23], v[8:9] op_sel_hi:[1,0,1]
	v_pk_fma_f32 v[6:7], v[18:19], v[22:23], v[6:7] op_sel_hi:[1,0,1]
	s_and_not1_b32 exec_lo, exec_lo, s7
	s_cbranch_execnz .LBB93_17
; %bb.18:
	s_or_b32 exec_lo, exec_lo, s7
.LBB93_19:
	s_delay_alu instid0(SALU_CYCLE_1) | instskip(NEXT) | instid1(SALU_CYCLE_1)
	s_or_b32 exec_lo, exec_lo, s6
	s_mov_b32 s6, exec_lo
	v_cmpx_lt_u32_e32 0x5f, v14
	s_cbranch_execz .LBB93_23
; %bb.20:
	s_mov_b32 s7, 0
.LBB93_21:                              ; =>This Inner Loop Header: Depth=1
	s_clause 0x3
	global_load_b32 v46, v13, s[8:9] scale_offset
	global_load_b32 v47, v13, s[8:9] offset:128 scale_offset
	global_load_b32 v48, v13, s[8:9] offset:256 scale_offset
	;; [unrolled: 1-line block ×3, first 2 shown]
	s_clause 0x7
	global_load_b128 v[14:17], v[10:11], off
	global_load_b128 v[18:21], v[10:11], off offset:16
	global_load_b128 v[22:25], v[10:11], off offset:1024
	;; [unrolled: 1-line block ×7, first 2 shown]
	s_wait_xcnt 0x8
	v_add_nc_u32_e32 v13, 0x80, v13
	s_wait_xcnt 0x0
	v_add_nc_u64_e32 v[10:11], 0x1000, v[10:11]
	s_delay_alu instid0(VALU_DEP_2)
	v_cmp_ge_i32_e32 vcc_lo, v13, v1
	s_or_b32 s7, vcc_lo, s7
	s_wait_loadcnt 0xb
	v_subrev_nc_u32_e32 v46, s16, v46
	s_wait_loadcnt 0xa
	v_subrev_nc_u32_e32 v47, s16, v47
	s_wait_loadcnt 0x9
	v_subrev_nc_u32_e32 v50, s16, v48
	s_wait_loadcnt 0x8
	v_subrev_nc_u32_e32 v56, s16, v49
	s_wait_loadcnt 0x7
	v_dual_lshrrev_b32 v58, 16, v14 :: v_dual_lshrrev_b32 v59, 16, v16
	v_dual_lshlrev_b32 v46, 2, v46 :: v_dual_lshlrev_b32 v48, 2, v47
	v_lshlrev_b32_e32 v50, 2, v50
	s_wait_loadcnt 0x6
	v_dual_lshrrev_b32 v62, 16, v18 :: v_dual_lshrrev_b32 v63, 16, v20
	s_delay_alu instid0(VALU_DEP_3) | instskip(SKIP_3) | instid1(VALU_DEP_3)
	v_dual_ashrrev_i32 v47, 31, v46 :: v_dual_ashrrev_i32 v49, 31, v48
	v_dual_lshrrev_b32 v60, 16, v17 :: v_dual_lshrrev_b32 v61, 16, v15
	v_cvt_f32_f16_e32 v57, v21
	s_wait_kmcnt 0x0
	v_lshl_add_u64 v[46:47], v[46:47], 1, s[4:5]
	v_lshl_add_u64 v[48:49], v[48:49], 1, s[4:5]
	v_dual_lshrrev_b32 v64, 16, v21 :: v_dual_lshrrev_b32 v65, 16, v19
	s_clause 0x1
	global_load_b64 v[52:53], v[46:47], off
	global_load_b64 v[54:55], v[48:49], off
	s_wait_xcnt 0x0
	v_dual_lshlrev_b32 v48, 2, v56 :: v_dual_ashrrev_i32 v51, 31, v50
	v_cvt_f32_f16_e32 v21, v60
	s_wait_loadcnt 0x7
	v_dual_lshrrev_b32 v66, 16, v22 :: v_dual_lshrrev_b32 v67, 16, v24
	s_delay_alu instid0(VALU_DEP_3)
	v_ashrrev_i32_e32 v49, 31, v48
	v_lshl_add_u64 v[46:47], v[50:51], 1, s[4:5]
	v_cvt_f32_f16_e32 v51, v17
	v_cvt_f32_f16_e32 v17, v59
	;; [unrolled: 1-line block ×3, first 2 shown]
	v_lshl_add_u64 v[48:49], v[48:49], 1, s[4:5]
	global_load_b64 v[46:47], v[46:47], off
	v_dual_lshrrev_b32 v68, 16, v25 :: v_dual_lshrrev_b32 v69, 16, v23
	v_cvt_f32_f16_e32 v56, v19
	global_load_b64 v[48:49], v[48:49], off
	v_cvt_f32_f16_e32 v15, v25
	v_cvt_f32_f16_e32 v25, v67
	s_wait_loadcnt 0x5
	v_dual_lshrrev_b32 v59, 16, v38 :: v_dual_lshrrev_b32 v60, 16, v40
	s_wait_loadcnt 0x3
	v_fma_mix_f32 v6, v18, v52, v6 op_sel_hi:[1,1,0]
	v_lshrrev_b32_e32 v18, 16, v52
	v_fma_mix_f32 v8, v14, v52, v8 op_sel_hi:[1,1,0]
	v_fma_mix_f32 v9, v16, v52, v9 op_sel_hi:[1,1,0]
	v_cvt_f32_f16_e32 v16, v58
	v_fma_mix_f32 v7, v20, v52, v7 op_sel_hi:[1,1,0]
	v_cvt_f32_f16_e32 v18, v18
	v_lshrrev_b32_e32 v52, 16, v28
	v_cvt_f32_f16_e32 v20, v61
	v_cvt_f32_f16_e32 v14, v23
	;; [unrolled: 1-line block ×3, first 2 shown]
	v_pk_fma_f32 v[8:9], v[16:17], v[18:19], v[8:9] op_sel_hi:[1,0,1]
	v_cvt_f32_f16_e32 v16, v53
	v_lshrrev_b32_e32 v61, 16, v44
	v_lshrrev_b32_e32 v58, 16, v32
	s_delay_alu instid0(VALU_DEP_3) | instskip(SKIP_2) | instid1(VALU_DEP_2)
	v_pk_fma_f32 v[8:9], v[50:51], v[16:17], v[8:9] op_sel_hi:[1,0,1]
	v_dual_lshrrev_b32 v17, 16, v53 :: v_dual_lshrrev_b32 v51, 16, v26
	v_lshrrev_b32_e32 v53, 16, v30
	v_cvt_f32_f16_e32 v50, v17
	s_delay_alu instid0(VALU_DEP_1)
	v_pk_fma_f32 v[8:9], v[20:21], v[50:51], v[8:9] op_sel_hi:[1,0,1]
	v_cvt_f32_f16_e32 v21, v29
	v_cvt_f32_f16_e32 v20, v27
	v_dual_lshrrev_b32 v29, 16, v29 :: v_dual_lshrrev_b32 v27, 16, v27
	s_wait_loadcnt 0x2
	v_fma_mix_f32 v8, v22, v54, v8 op_sel_hi:[1,1,0]
	v_cvt_f32_f16_e32 v22, v62
	v_fma_mix_f32 v9, v24, v54, v9 op_sel_hi:[1,1,0]
	v_cvt_f32_f16_e32 v24, v66
	s_delay_alu instid0(VALU_DEP_3)
	v_pk_fma_f32 v[6:7], v[22:23], v[18:19], v[6:7] op_sel_hi:[1,0,1]
	v_cvt_f32_f16_e32 v19, v33
	v_lshrrev_b32_e32 v33, 16, v33
	v_cvt_f32_f16_e32 v18, v31
	v_lshrrev_b32_e32 v31, 16, v31
	v_pk_fma_f32 v[6:7], v[56:57], v[16:17], v[6:7] op_sel_hi:[1,0,1]
	v_cvt_f32_f16_e32 v17, v64
	v_cvt_f32_f16_e32 v16, v65
	;; [unrolled: 1-line block ×4, first 2 shown]
	v_dual_lshrrev_b32 v37, 16, v37 :: v_dual_lshrrev_b32 v35, 16, v35
	s_delay_alu instid0(VALU_DEP_4)
	v_pk_fma_f32 v[6:7], v[16:17], v[50:51], v[6:7] op_sel_hi:[1,0,1]
	v_cvt_f32_f16_e32 v17, v41
	v_lshrrev_b32_e32 v41, 16, v41
	v_cvt_f32_f16_e32 v16, v39
	v_lshrrev_b32_e32 v39, 16, v39
	v_fma_mix_f32 v6, v26, v54, v6 op_sel_hi:[1,1,0]
	v_lshrrev_b32_e32 v26, 16, v54
	v_fma_mix_f32 v7, v28, v54, v7 op_sel_hi:[1,1,0]
	v_lshrrev_b32_e32 v54, 16, v42
	v_dual_lshrrev_b32 v56, 16, v34 :: v_dual_lshrrev_b32 v57, 16, v36
	s_delay_alu instid0(VALU_DEP_4) | instskip(SKIP_2) | instid1(VALU_DEP_4)
	v_cvt_f32_f16_e32 v26, v26
	v_cvt_f32_f16_e32 v28, v31
	;; [unrolled: 1-line block ×5, first 2 shown]
	v_pk_fma_f32 v[8:9], v[24:25], v[26:27], v[8:9] op_sel_hi:[1,0,1]
	v_cvt_f32_f16_e32 v24, v51
	v_cvt_f32_f16_e32 v25, v52
	v_cvt_f32_f16_e32 v52, v35
	s_wait_loadcnt 0x1
	v_lshrrev_b32_e32 v35, 16, v46
	v_cvt_f32_f16_e32 v51, v57
	v_cvt_f32_f16_e32 v57, v60
	v_pk_fma_f32 v[6:7], v[24:25], v[26:27], v[6:7] op_sel_hi:[1,0,1]
	v_cvt_f32_f16_e32 v24, v55
	v_cvt_f32_f16_e32 v26, v53
	;; [unrolled: 1-line block ×3, first 2 shown]
	s_delay_alu instid0(VALU_DEP_3)
	v_pk_fma_f32 v[8:9], v[14:15], v[24:25], v[8:9] op_sel_hi:[1,0,1]
	v_pk_fma_f32 v[6:7], v[20:21], v[24:25], v[6:7] op_sel_hi:[1,0,1]
	v_cvt_f32_f16_e32 v25, v29
	v_cvt_f32_f16_e32 v29, v33
	v_lshrrev_b32_e32 v33, 16, v55
	v_cvt_f32_f16_e32 v21, v68
	v_cvt_f32_f16_e32 v20, v69
	;; [unrolled: 1-line block ×7, first 2 shown]
	v_lshrrev_b32_e32 v43, 16, v43
	v_cvt_f32_f16_e32 v15, v45
	v_lshrrev_b32_e32 v45, 16, v45
	v_pk_fma_f32 v[8:9], v[20:21], v[54:55], v[8:9] op_sel_hi:[1,0,1]
	v_pk_fma_f32 v[6:7], v[24:25], v[54:55], v[6:7] op_sel_hi:[1,0,1]
	v_lshrrev_b32_e32 v21, 16, v47
	v_cvt_f32_f16_e32 v20, v35
	v_cvt_f32_f16_e32 v24, v47
	v_fma_mix_f32 v8, v30, v46, v8 op_sel_hi:[1,1,0]
	v_fma_mix_f32 v9, v32, v46, v9 op_sel_hi:[1,1,0]
	;; [unrolled: 1-line block ×4, first 2 shown]
	v_cvt_f32_f16_e32 v59, v61
	v_cvt_f32_f16_e32 v30, v39
	v_pk_fma_f32 v[8:9], v[26:27], v[20:21], v[8:9] op_sel_hi:[1,0,1]
	s_delay_alu instid0(VALU_DEP_4) | instskip(SKIP_1) | instid1(VALU_DEP_3)
	v_pk_fma_f32 v[6:7], v[50:51], v[20:21], v[6:7] op_sel_hi:[1,0,1]
	v_cvt_f32_f16_e32 v20, v21
	v_pk_fma_f32 v[8:9], v[18:19], v[24:25], v[8:9] op_sel_hi:[1,0,1]
	s_wait_loadcnt 0x0
	v_lshrrev_b32_e32 v18, 16, v48
	v_pk_fma_f32 v[6:7], v[22:23], v[24:25], v[6:7] op_sel_hi:[1,0,1]
	s_delay_alu instid0(VALU_DEP_3) | instskip(NEXT) | instid1(VALU_DEP_3)
	v_pk_fma_f32 v[8:9], v[28:29], v[20:21], v[8:9] op_sel_hi:[1,0,1]
	v_cvt_f32_f16_e32 v18, v18
	s_delay_alu instid0(VALU_DEP_3)
	v_pk_fma_f32 v[6:7], v[52:53], v[20:21], v[6:7] op_sel_hi:[1,0,1]
	v_lshrrev_b32_e32 v21, 16, v49
	v_cvt_f32_f16_e32 v20, v49
	v_fma_mix_f32 v8, v38, v48, v8 op_sel_hi:[1,1,0]
	v_fma_mix_f32 v9, v40, v48, v9 op_sel_hi:[1,1,0]
	;; [unrolled: 1-line block ×4, first 2 shown]
	v_cvt_f32_f16_e32 v22, v21
	s_delay_alu instid0(VALU_DEP_4) | instskip(NEXT) | instid1(VALU_DEP_3)
	v_pk_fma_f32 v[8:9], v[56:57], v[18:19], v[8:9] op_sel_hi:[1,0,1]
	v_pk_fma_f32 v[6:7], v[58:59], v[18:19], v[6:7] op_sel_hi:[1,0,1]
	v_cvt_f32_f16_e32 v19, v45
	v_cvt_f32_f16_e32 v18, v43
	s_delay_alu instid0(VALU_DEP_4) | instskip(NEXT) | instid1(VALU_DEP_4)
	v_pk_fma_f32 v[8:9], v[16:17], v[20:21], v[8:9] op_sel_hi:[1,0,1]
	v_pk_fma_f32 v[6:7], v[14:15], v[20:21], v[6:7] op_sel_hi:[1,0,1]
	s_delay_alu instid0(VALU_DEP_2) | instskip(NEXT) | instid1(VALU_DEP_2)
	v_pk_fma_f32 v[8:9], v[30:31], v[22:23], v[8:9] op_sel_hi:[1,0,1]
	v_pk_fma_f32 v[6:7], v[18:19], v[22:23], v[6:7] op_sel_hi:[1,0,1]
	s_and_not1_b32 exec_lo, exec_lo, s7
	s_cbranch_execnz .LBB93_21
; %bb.22:
	s_or_b32 exec_lo, exec_lo, s7
.LBB93_23:
	s_delay_alu instid0(SALU_CYCLE_1)
	s_or_b32 exec_lo, exec_lo, s6
.LBB93_24:
	s_delay_alu instid0(SALU_CYCLE_1)
	s_or_b32 exec_lo, exec_lo, s3
	s_cbranch_execz .LBB93_26
	s_branch .LBB93_37
.LBB93_25:
                                        ; implicit-def: $vgpr7
                                        ; implicit-def: $vgpr9
.LBB93_26:
	v_dual_mov_b32 v7, 0 :: v_dual_mov_b32 v6, 0
	v_dual_mov_b32 v9, 0 :: v_dual_mov_b32 v8, 0
	s_and_saveexec_b32 s3, s2
	s_cbranch_execz .LBB93_36
; %bb.27:
	v_add_nc_u32_e32 v6, v12, v3
	v_not_b32_e32 v7, v12
	v_mov_b64_e32 v[8:9], 0
	s_mov_b32 s2, exec_lo
	s_delay_alu instid0(VALU_DEP_3) | instskip(NEXT) | instid1(VALU_DEP_1)
	v_subrev_nc_u32_e32 v6, s16, v6
	v_add_max_i32_e64 v6, v6, 32, v1
	s_delay_alu instid0(VALU_DEP_1) | instskip(NEXT) | instid1(VALU_DEP_1)
	v_add3_u32 v6, s16, v6, v7
	v_sub_nc_u32_e32 v10, v6, v3
	v_mov_b64_e32 v[6:7], 0
	s_delay_alu instid0(VALU_DEP_2) | instskip(NEXT) | instid1(VALU_DEP_1)
	v_and_b32_e32 v11, 0x60, v10
	v_cmpx_ne_u32_e32 0x60, v11
	s_cbranch_execz .LBB93_31
; %bb.28:
	v_lshrrev_b32_e32 v6, 5, v10
	s_mov_b32 s6, 0
	s_delay_alu instid0(VALU_DEP_1) | instskip(NEXT) | instid1(VALU_DEP_1)
	v_dual_mov_b32 v6, 0 :: v_dual_add_nc_u32 v7, 1, v6
	v_dual_mov_b32 v7, v6 :: v_dual_bitop2_b32 v9, 3, v7 bitop3:0x40
	s_delay_alu instid0(VALU_DEP_1)
	v_dual_mov_b32 v8, v6 :: v_dual_sub_nc_u32 v11, 0, v9
	v_mov_b32_e32 v9, v6
.LBB93_29:                              ; =>This Inner Loop Header: Depth=1
	global_load_b32 v16, v0, s[8:9] scale_offset
	global_load_b128 v[12:15], v[4:5], off
	s_wait_xcnt 0x1
	v_add_nc_u32_e32 v0, 32, v0
	v_add_co_u32 v11, s7, v11, 1
	s_or_b32 s6, s7, s6
	s_wait_loadcnt 0x1
	v_subrev_nc_u32_e32 v16, s16, v16
	s_wait_loadcnt 0x0
	v_cvt_f32_f16_e32 v24, v15
	v_dual_lshrrev_b32 v25, 16, v13 :: v_dual_lshrrev_b32 v27, 16, v14
	v_cvt_f32_f16_e32 v14, v14
	v_dual_lshlrev_b32 v16, 2, v16 :: v_dual_lshrrev_b32 v29, 16, v15
	s_delay_alu instid0(VALU_DEP_3) | instskip(NEXT) | instid1(VALU_DEP_2)
	v_cvt_f32_f16_e32 v15, v27
	v_ashrrev_i32_e32 v17, 31, v16
	s_wait_kmcnt 0x0
	s_delay_alu instid0(VALU_DEP_1)
	v_lshl_add_u64 v[20:21], v[16:17], 1, s[4:5]
	global_load_b64 v[22:23], v[20:21], off
	global_load_b128 v[16:19], v[4:5], off offset:16
	s_wait_xcnt 0x1
	v_lshrrev_b32_e32 v21, 16, v12
	v_cvt_f32_f16_e32 v12, v12
	v_cvt_f32_f16_e32 v20, v13
	s_wait_xcnt 0x0
	v_add_nc_u64_e32 v[4:5], 0x400, v[4:5]
	v_cvt_f32_f16_e32 v13, v21
	v_cvt_f32_f16_e32 v21, v25
	;; [unrolled: 1-line block ×3, first 2 shown]
	s_wait_loadcnt 0x1
	v_cvt_f32_f16_e32 v30, v22
	s_wait_loadcnt 0x0
	v_dual_lshrrev_b32 v31, 16, v16 :: v_dual_lshrrev_b32 v32, 16, v18
	v_dual_lshrrev_b32 v33, 16, v17 :: v_dual_lshrrev_b32 v34, 16, v19
	v_cvt_f32_f16_e32 v28, v19
	v_lshrrev_b32_e32 v19, 16, v22
	s_delay_alu instid0(VALU_DEP_4)
	v_pk_fma_f32 v[8:9], v[12:13], v[30:31], v[8:9] op_sel_hi:[1,0,1]
	v_pk_fma_f32 v[6:7], v[20:21], v[30:31], v[6:7] op_sel_hi:[1,0,1]
	v_lshrrev_b32_e32 v13, 16, v23
	v_cvt_f32_f16_e32 v16, v16
	v_cvt_f32_f16_e32 v12, v19
	;; [unrolled: 1-line block ×6, first 2 shown]
	v_pk_fma_f32 v[8:9], v[14:15], v[12:13], v[8:9] op_sel_hi:[1,0,1]
	v_pk_fma_f32 v[6:7], v[24:25], v[12:13], v[6:7] op_sel_hi:[1,0,1]
	v_cvt_f32_f16_e32 v18, v18
	v_cvt_f32_f16_e32 v19, v32
	;; [unrolled: 1-line block ×4, first 2 shown]
	v_pk_fma_f32 v[8:9], v[16:17], v[20:21], v[8:9] op_sel_hi:[1,0,1]
	v_pk_fma_f32 v[6:7], v[26:27], v[20:21], v[6:7] op_sel_hi:[1,0,1]
	s_delay_alu instid0(VALU_DEP_2) | instskip(NEXT) | instid1(VALU_DEP_2)
	v_pk_fma_f32 v[8:9], v[18:19], v[12:13], v[8:9] op_sel_hi:[1,0,1]
	v_pk_fma_f32 v[6:7], v[28:29], v[12:13], v[6:7] op_sel_hi:[1,0,1]
	s_and_not1_b32 exec_lo, exec_lo, s6
	s_cbranch_execnz .LBB93_29
; %bb.30:
	s_or_b32 exec_lo, exec_lo, s6
.LBB93_31:
	s_delay_alu instid0(SALU_CYCLE_1) | instskip(NEXT) | instid1(SALU_CYCLE_1)
	s_or_b32 exec_lo, exec_lo, s2
	s_mov_b32 s2, exec_lo
	v_cmpx_lt_u32_e32 0x5f, v10
	s_cbranch_execz .LBB93_35
; %bb.32:
	s_mov_b32 s6, 0
.LBB93_33:                              ; =>This Inner Loop Header: Depth=1
	s_clause 0x3
	global_load_b128 v[10:13], v[4:5], off
	global_load_b128 v[14:17], v[4:5], off offset:16
	global_load_b128 v[18:21], v[4:5], off offset:1024
	;; [unrolled: 1-line block ×3, first 2 shown]
	global_load_b32 v27, v0, s[8:9] scale_offset
	s_wait_loadcnt 0x4
	v_dual_lshrrev_b32 v33, 16, v12 :: v_dual_lshrrev_b32 v35, 16, v13
	v_cvt_f32_f16_e32 v28, v13
	s_wait_loadcnt 0x3
	v_dual_lshrrev_b32 v41, 16, v15 :: v_dual_lshrrev_b32 v58, 16, v17
	v_cvt_f32_f16_e32 v30, v15
	s_clause 0x1
	global_load_b32 v13, v0, s[8:9] offset:128 scale_offset
	global_load_b32 v15, v0, s[8:9] offset:256 scale_offset
	v_cvt_f32_f16_e32 v32, v17
	global_load_b32 v17, v0, s[8:9] offset:384 scale_offset
	s_wait_loadcnt 0x5
	v_dual_lshrrev_b32 v59, 16, v18 :: v_dual_lshrrev_b32 v60, 16, v19
	v_cvt_f32_f16_e32 v34, v19
	s_wait_loadcnt 0x3
	v_subrev_nc_u32_e32 v19, s16, v27
	v_dual_lshrrev_b32 v29, 16, v10 :: v_dual_lshrrev_b32 v31, 16, v11
	v_cvt_f32_f16_e32 v10, v10
	v_cvt_f32_f16_e32 v26, v11
	;; [unrolled: 1-line block ×3, first 2 shown]
	s_delay_alu instid0(VALU_DEP_4)
	v_cvt_f32_f16_e32 v11, v29
	v_cvt_f32_f16_e32 v27, v31
	v_dual_lshrrev_b32 v37, 16, v14 :: v_dual_lshrrev_b32 v39, 16, v16
	v_cvt_f32_f16_e32 v29, v35
	v_cvt_f32_f16_e32 v14, v14
	;; [unrolled: 1-line block ×6, first 2 shown]
	v_dual_lshrrev_b32 v61, 16, v20 :: v_dual_lshrrev_b32 v62, 16, v21
	v_cvt_f32_f16_e32 v20, v20
	v_cvt_f32_f16_e32 v36, v21
	v_dual_lshrrev_b32 v63, 16, v22 :: v_dual_lshrrev_b32 v64, 16, v24
	s_delay_alu instid0(VALU_DEP_4)
	v_cvt_f32_f16_e32 v21, v61
	v_cvt_f32_f16_e32 v22, v22
	v_dual_lshrrev_b32 v65, 16, v23 :: v_dual_lshrrev_b32 v66, 16, v25
	v_cvt_f32_f16_e32 v38, v23
	v_cvt_f32_f16_e32 v23, v63
	;; [unrolled: 1-line block ×6, first 2 shown]
	s_wait_xcnt 0x0
	v_add_nc_u32_e32 v0, 0x80, v0
	s_delay_alu instid0(VALU_DEP_1)
	v_cmp_ge_i32_e32 vcc_lo, v0, v1
	s_or_b32 s6, vcc_lo, s6
	s_wait_loadcnt 0x2
	v_subrev_nc_u32_e32 v13, s16, v13
	s_wait_loadcnt 0x1
	v_subrev_nc_u32_e32 v15, s16, v15
	v_lshlrev_b32_e32 v42, 2, v19
	s_wait_loadcnt 0x0
	v_subrev_nc_u32_e32 v17, s16, v17
	v_cvt_f32_f16_e32 v19, v59
	v_dual_lshlrev_b32 v44, 2, v13 :: v_dual_lshlrev_b32 v46, 2, v15
	s_delay_alu instid0(VALU_DEP_3) | instskip(SKIP_1) | instid1(VALU_DEP_3)
	v_dual_ashrrev_i32 v43, 31, v42 :: v_dual_lshlrev_b32 v48, 2, v17
	v_cvt_f32_f16_e32 v13, v33
	v_dual_ashrrev_i32 v45, 31, v44 :: v_dual_ashrrev_i32 v47, 31, v46
	s_wait_kmcnt 0x0
	s_delay_alu instid0(VALU_DEP_3)
	v_lshl_add_u64 v[42:43], v[42:43], 1, s[4:5]
	v_ashrrev_i32_e32 v49, 31, v48
	v_cvt_f32_f16_e32 v15, v37
	v_lshl_add_u64 v[44:45], v[44:45], 1, s[4:5]
	v_lshl_add_u64 v[46:47], v[46:47], 1, s[4:5]
	v_cvt_f32_f16_e32 v17, v39
	v_lshl_add_u64 v[48:49], v[48:49], 1, s[4:5]
	s_clause 0x3
	global_load_b64 v[50:51], v[42:43], off
	global_load_b64 v[52:53], v[44:45], off
	;; [unrolled: 1-line block ×4, first 2 shown]
	v_cvt_f32_f16_e32 v33, v58
	v_cvt_f32_f16_e32 v37, v62
	;; [unrolled: 1-line block ×3, first 2 shown]
	s_wait_loadcnt 0x3
	s_wait_xcnt 0x3
	v_cvt_f32_f16_e32 v42, v50
	s_delay_alu instid0(VALU_DEP_1) | instskip(SKIP_2) | instid1(VALU_DEP_1)
	v_pk_fma_f32 v[8:9], v[10:11], v[42:43], v[8:9] op_sel_hi:[1,0,1]
	v_pk_fma_f32 v[10:11], v[26:27], v[42:43], v[6:7] op_sel_hi:[1,0,1]
	v_lshrrev_b32_e32 v6, 16, v50
	v_cvt_f32_f16_e32 v26, v6
	s_delay_alu instid0(VALU_DEP_1) | instskip(SKIP_3) | instid1(VALU_DEP_1)
	v_pk_fma_f32 v[12:13], v[12:13], v[26:27], v[8:9] op_sel_hi:[1,0,1]
	global_load_b128 v[6:9], v[4:5], off offset:2048
	v_pk_fma_f32 v[26:27], v[28:29], v[26:27], v[10:11] op_sel_hi:[1,0,1]
	v_cvt_f32_f16_e32 v28, v51
	v_pk_fma_f32 v[14:15], v[14:15], v[28:29], v[12:13] op_sel_hi:[1,0,1]
	global_load_b128 v[10:13], v[4:5], off offset:2064
	s_wait_loadcnt 0x1
	v_dual_lshrrev_b32 v29, 16, v6 :: v_dual_lshrrev_b32 v43, 16, v8
	v_lshrrev_b32_e32 v45, 16, v9
	v_cvt_f32_f16_e32 v42, v8
	v_cvt_f32_f16_e32 v44, v9
	s_delay_alu instid0(VALU_DEP_4)
	v_pk_fma_f32 v[26:27], v[30:31], v[28:29], v[26:27] op_sel_hi:[1,0,1]
	v_cvt_f32_f16_e32 v28, v6
	v_lshrrev_b32_e32 v6, 16, v51
	v_lshrrev_b32_e32 v31, 16, v7
	v_cvt_f32_f16_e32 v30, v7
	v_cvt_f32_f16_e32 v29, v29
	;; [unrolled: 1-line block ×6, first 2 shown]
	s_delay_alu instid0(VALU_DEP_3)
	v_pk_fma_f32 v[8:9], v[16:17], v[6:7], v[14:15] op_sel_hi:[1,0,1]
	s_wait_loadcnt 0x0
	v_dual_lshrrev_b32 v15, 16, v10 :: v_dual_lshrrev_b32 v17, 16, v12
	v_pk_fma_f32 v[6:7], v[32:33], v[6:7], v[26:27] op_sel_hi:[1,0,1]
	v_cvt_f32_f16_e32 v14, v10
	v_cvt_f32_f16_e32 v10, v52
	v_dual_lshrrev_b32 v27, 16, v11 :: v_dual_lshrrev_b32 v33, 16, v13
	v_cvt_f32_f16_e32 v26, v11
	v_cvt_f32_f16_e32 v16, v12
	s_delay_alu instid0(VALU_DEP_4)
	v_pk_fma_f32 v[8:9], v[18:19], v[10:11], v[8:9] op_sel_hi:[1,0,1]
	v_pk_fma_f32 v[10:11], v[34:35], v[10:11], v[6:7] op_sel_hi:[1,0,1]
	v_lshrrev_b32_e32 v6, 16, v52
	v_cvt_f32_f16_e32 v32, v13
	v_cvt_f32_f16_e32 v34, v53
	;; [unrolled: 1-line block ×7, first 2 shown]
	s_delay_alu instid0(VALU_DEP_3)
	v_pk_fma_f32 v[18:19], v[20:21], v[12:13], v[8:9] op_sel_hi:[1,0,1]
	global_load_b128 v[6:9], v[4:5], off offset:3072
	v_pk_fma_f32 v[20:21], v[36:37], v[12:13], v[10:11] op_sel_hi:[1,0,1]
	global_load_b128 v[10:13], v[4:5], off offset:3088
	s_wait_xcnt 0x0
	v_add_nc_u64_e32 v[4:5], 0x1000, v[4:5]
	s_wait_loadcnt 0x1
	v_dual_lshrrev_b32 v35, 16, v6 :: v_dual_lshrrev_b32 v37, 16, v8
	s_wait_loadcnt 0x0
	v_dual_lshrrev_b32 v47, 16, v10 :: v_dual_lshrrev_b32 v50, 16, v13
	v_cvt_f32_f16_e32 v6, v6
	s_delay_alu instid0(VALU_DEP_3)
	v_pk_fma_f32 v[18:19], v[22:23], v[34:35], v[18:19] op_sel_hi:[1,0,1]
	v_lshrrev_b32_e32 v23, 16, v7
	v_cvt_f32_f16_e32 v22, v7
	v_lshrrev_b32_e32 v7, 16, v53
	v_pk_fma_f32 v[20:21], v[38:39], v[34:35], v[20:21] op_sel_hi:[1,0,1]
	v_lshrrev_b32_e32 v39, 16, v9
	v_cvt_f32_f16_e32 v34, v9
	v_lshrrev_b32_e32 v9, 16, v55
	v_cvt_f32_f16_e32 v46, v7
	;; [unrolled: 2-line block ×3, first 2 shown]
	v_cvt_f32_f16_e32 v23, v23
	v_lshrrev_b32_e32 v13, 16, v56
	v_pk_fma_f32 v[18:19], v[24:25], v[46:47], v[18:19] op_sel_hi:[1,0,1]
	v_pk_fma_f32 v[20:21], v[40:41], v[46:47], v[20:21] op_sel_hi:[1,0,1]
	v_cvt_f32_f16_e32 v24, v54
	v_cvt_f32_f16_e32 v40, v7
	;; [unrolled: 1-line block ×4, first 2 shown]
	v_dual_lshrrev_b32 v48, 16, v12 :: v_dual_lshrrev_b32 v49, 16, v11
	v_pk_fma_f32 v[18:19], v[28:29], v[24:25], v[18:19] op_sel_hi:[1,0,1]
	v_pk_fma_f32 v[20:21], v[30:31], v[24:25], v[20:21] op_sel_hi:[1,0,1]
	v_cvt_f32_f16_e32 v24, v55
	v_cvt_f32_f16_e32 v28, v9
	v_cvt_f32_f16_e32 v9, v37
	v_pk_fma_f32 v[18:19], v[42:43], v[40:41], v[18:19] op_sel_hi:[1,0,1]
	v_pk_fma_f32 v[20:21], v[44:45], v[40:41], v[20:21] op_sel_hi:[1,0,1]
	v_cvt_f32_f16_e32 v35, v39
	v_cvt_f32_f16_e32 v10, v10
	v_cvt_f32_f16_e32 v36, v11
	;; [unrolled: 5-line block ×3, first 2 shown]
	v_pk_fma_f32 v[14:15], v[16:17], v[28:29], v[14:15] op_sel_hi:[1,0,1]
	v_pk_fma_f32 v[16:17], v[32:33], v[28:29], v[18:19] op_sel_hi:[1,0,1]
	v_cvt_f32_f16_e32 v12, v12
	v_cvt_f32_f16_e32 v39, v50
	s_delay_alu instid0(VALU_DEP_4) | instskip(NEXT) | instid1(VALU_DEP_4)
	v_pk_fma_f32 v[6:7], v[6:7], v[20:21], v[14:15] op_sel_hi:[1,0,1]
	v_pk_fma_f32 v[14:15], v[22:23], v[20:21], v[16:17] op_sel_hi:[1,0,1]
	v_lshrrev_b32_e32 v17, 16, v57
	v_cvt_f32_f16_e32 v18, v13
	v_cvt_f32_f16_e32 v16, v57
	;; [unrolled: 1-line block ×3, first 2 shown]
	s_delay_alu instid0(VALU_DEP_3) | instskip(SKIP_2) | instid1(VALU_DEP_3)
	v_pk_fma_f32 v[6:7], v[8:9], v[18:19], v[6:7] op_sel_hi:[1,0,1]
	v_pk_fma_f32 v[8:9], v[34:35], v[18:19], v[14:15] op_sel_hi:[1,0,1]
	v_cvt_f32_f16_e32 v14, v17
	v_pk_fma_f32 v[6:7], v[10:11], v[16:17], v[6:7] op_sel_hi:[1,0,1]
	s_delay_alu instid0(VALU_DEP_3) | instskip(NEXT) | instid1(VALU_DEP_2)
	v_pk_fma_f32 v[10:11], v[36:37], v[16:17], v[8:9] op_sel_hi:[1,0,1]
	v_pk_fma_f32 v[8:9], v[12:13], v[14:15], v[6:7] op_sel_hi:[1,0,1]
	s_delay_alu instid0(VALU_DEP_2)
	v_pk_fma_f32 v[6:7], v[38:39], v[14:15], v[10:11] op_sel_hi:[1,0,1]
	s_and_not1_b32 exec_lo, exec_lo, s6
	s_cbranch_execnz .LBB93_33
; %bb.34:
	s_or_b32 exec_lo, exec_lo, s6
.LBB93_35:
	s_delay_alu instid0(SALU_CYCLE_1)
	s_or_b32 exec_lo, exec_lo, s2
.LBB93_36:
	s_delay_alu instid0(SALU_CYCLE_1)
	s_or_b32 exec_lo, exec_lo, s3
.LBB93_37:
	v_mbcnt_lo_u32_b32 v10, -1, 0
	s_mov_b32 s2, -1
	s_delay_alu instid0(VALU_DEP_1) | instskip(SKIP_1) | instid1(VALU_DEP_1)
	v_xor_b32_e32 v11, 8, v10
	v_xor_b32_e32 v0, 16, v10
	v_cmp_gt_i32_e32 vcc_lo, 32, v0
	v_cndmask_b32_e32 v0, v10, v0, vcc_lo
	s_delay_alu instid0(VALU_DEP_4) | instskip(SKIP_1) | instid1(VALU_DEP_1)
	v_cmp_gt_i32_e32 vcc_lo, 32, v11
	v_cndmask_b32_e32 v11, v10, v11, vcc_lo
	v_dual_lshlrev_b32 v11, 2, v11 :: v_dual_lshlrev_b32 v5, 2, v0
	ds_bpermute_b32 v0, v5, v8
	ds_bpermute_b32 v1, v5, v9
	;; [unrolled: 1-line block ×4, first 2 shown]
	s_wait_dscnt 0x2
	v_pk_add_f32 v[0:1], v[8:9], v[0:1]
	s_wait_dscnt 0x0
	v_pk_add_f32 v[4:5], v[6:7], v[4:5]
	ds_bpermute_b32 v6, v11, v0
	ds_bpermute_b32 v7, v11, v1
	;; [unrolled: 1-line block ×4, first 2 shown]
	v_xor_b32_e32 v11, 4, v10
	s_delay_alu instid0(VALU_DEP_1) | instskip(SKIP_1) | instid1(VALU_DEP_1)
	v_cmp_gt_i32_e32 vcc_lo, 32, v11
	v_cndmask_b32_e32 v11, v10, v11, vcc_lo
	v_lshlrev_b32_e32 v11, 2, v11
	s_wait_dscnt 0x2
	v_pk_add_f32 v[0:1], v[0:1], v[6:7]
	s_wait_dscnt 0x0
	v_pk_add_f32 v[4:5], v[4:5], v[8:9]
	ds_bpermute_b32 v6, v11, v0
	ds_bpermute_b32 v7, v11, v1
	;; [unrolled: 1-line block ×4, first 2 shown]
	v_xor_b32_e32 v11, 2, v10
	s_delay_alu instid0(VALU_DEP_1) | instskip(SKIP_1) | instid1(VALU_DEP_1)
	v_cmp_gt_i32_e32 vcc_lo, 32, v11
	v_cndmask_b32_e32 v11, v10, v11, vcc_lo
	v_lshlrev_b32_e32 v11, 2, v11
	s_wait_dscnt 0x2
	v_pk_add_f32 v[0:1], v[0:1], v[6:7]
	s_wait_dscnt 0x0
	v_pk_add_f32 v[4:5], v[4:5], v[8:9]
	ds_bpermute_b32 v6, v11, v0
	ds_bpermute_b32 v7, v11, v1
	;; [unrolled: 1-line block ×4, first 2 shown]
	v_xor_b32_e32 v11, 1, v10
	s_delay_alu instid0(VALU_DEP_1) | instskip(SKIP_2) | instid1(VALU_DEP_2)
	v_cmp_gt_i32_e32 vcc_lo, 32, v11
	v_cndmask_b32_e32 v10, v10, v11, vcc_lo
	v_cmp_eq_u32_e32 vcc_lo, 31, v3
	v_lshlrev_b32_e32 v10, 2, v10
	s_wait_dscnt 0x2
	v_pk_add_f32 v[0:1], v[0:1], v[6:7]
	s_wait_dscnt 0x0
	v_pk_add_f32 v[6:7], v[4:5], v[8:9]
	ds_bpermute_b32 v4, v10, v0
	ds_bpermute_b32 v5, v10, v1
	;; [unrolled: 1-line block ×4, first 2 shown]
	s_and_b32 exec_lo, exec_lo, vcc_lo
	s_cbranch_execz .LBB93_10
; %bb.38:
	s_load_b64 s[0:1], s[0:1], 0x50
	s_wait_dscnt 0x2
	v_pk_add_f32 v[4:5], v[0:1], v[4:5]
	s_wait_dscnt 0x0
	v_pk_add_f32 v[0:1], v[6:7], v[8:9]
	v_lshlrev_b32_e32 v2, 2, v2
	s_cmp_eq_f32 s14, 0
	s_cbranch_scc0 .LBB93_40
; %bb.39:
	s_delay_alu instid0(VALU_DEP_1)
	v_ashrrev_i32_e32 v3, 31, v2
	v_pk_mul_f32 v[6:7], s[12:13], v[4:5] op_sel_hi:[0,1]
	v_pk_mul_f32 v[8:9], s[12:13], v[0:1] op_sel_hi:[0,1]
	s_mov_b32 s2, 0
	s_wait_kmcnt 0x0
	v_lshl_add_u64 v[10:11], v[2:3], 2, s[0:1]
	global_store_b128 v[10:11], v[6:9], off
.LBB93_40:
	s_and_not1_b32 vcc_lo, exec_lo, s2
	s_cbranch_vccnz .LBB93_10
; %bb.41:
	v_ashrrev_i32_e32 v3, 31, v2
	s_wait_kmcnt 0x0
	s_delay_alu instid0(VALU_DEP_1)
	v_lshl_add_u64 v[10:11], v[2:3], 2, s[0:1]
	v_pk_mul_f32 v[2:3], s[12:13], v[4:5] op_sel_hi:[0,1]
	v_pk_mul_f32 v[4:5], s[12:13], v[0:1] op_sel_hi:[0,1]
	global_load_b128 v[6:9], v[10:11], off
	s_wait_loadcnt 0x0
	v_pk_fma_f32 v[0:1], s[14:15], v[6:7], v[2:3] op_sel_hi:[0,1,1]
	v_pk_fma_f32 v[2:3], s[14:15], v[8:9], v[4:5] op_sel_hi:[0,1,1]
	global_store_b128 v[10:11], v[0:3], off
	s_sendmsg sendmsg(MSG_DEALLOC_VGPRS)
	s_endpgm
	.section	.rodata,"a",@progbits
	.p2align	6, 0x0
	.amdhsa_kernel _ZN9rocsparseL18bsrxmvn_4x4_kernelILj128ELj32EfiiDF16_DF16_fEEvT3_20rocsparse_direction_NS_24const_host_device_scalarIT1_EES1_PKS1_PKT2_SA_S7_PKT4_PKT5_S5_PT6_21rocsparse_index_base_b
		.amdhsa_group_segment_fixed_size 0
		.amdhsa_private_segment_fixed_size 0
		.amdhsa_kernarg_size 96
		.amdhsa_user_sgpr_count 2
		.amdhsa_user_sgpr_dispatch_ptr 0
		.amdhsa_user_sgpr_queue_ptr 0
		.amdhsa_user_sgpr_kernarg_segment_ptr 1
		.amdhsa_user_sgpr_dispatch_id 0
		.amdhsa_user_sgpr_kernarg_preload_length 0
		.amdhsa_user_sgpr_kernarg_preload_offset 0
		.amdhsa_user_sgpr_private_segment_size 0
		.amdhsa_wavefront_size32 1
		.amdhsa_uses_dynamic_stack 0
		.amdhsa_enable_private_segment 0
		.amdhsa_system_sgpr_workgroup_id_x 1
		.amdhsa_system_sgpr_workgroup_id_y 0
		.amdhsa_system_sgpr_workgroup_id_z 0
		.amdhsa_system_sgpr_workgroup_info 0
		.amdhsa_system_vgpr_workitem_id 0
		.amdhsa_next_free_vgpr 70
		.amdhsa_next_free_sgpr 18
		.amdhsa_named_barrier_count 0
		.amdhsa_reserve_vcc 1
		.amdhsa_float_round_mode_32 0
		.amdhsa_float_round_mode_16_64 0
		.amdhsa_float_denorm_mode_32 3
		.amdhsa_float_denorm_mode_16_64 3
		.amdhsa_fp16_overflow 0
		.amdhsa_memory_ordered 1
		.amdhsa_forward_progress 1
		.amdhsa_inst_pref_size 37
		.amdhsa_round_robin_scheduling 0
		.amdhsa_exception_fp_ieee_invalid_op 0
		.amdhsa_exception_fp_denorm_src 0
		.amdhsa_exception_fp_ieee_div_zero 0
		.amdhsa_exception_fp_ieee_overflow 0
		.amdhsa_exception_fp_ieee_underflow 0
		.amdhsa_exception_fp_ieee_inexact 0
		.amdhsa_exception_int_div_zero 0
	.end_amdhsa_kernel
	.section	.text._ZN9rocsparseL18bsrxmvn_4x4_kernelILj128ELj32EfiiDF16_DF16_fEEvT3_20rocsparse_direction_NS_24const_host_device_scalarIT1_EES1_PKS1_PKT2_SA_S7_PKT4_PKT5_S5_PT6_21rocsparse_index_base_b,"axG",@progbits,_ZN9rocsparseL18bsrxmvn_4x4_kernelILj128ELj32EfiiDF16_DF16_fEEvT3_20rocsparse_direction_NS_24const_host_device_scalarIT1_EES1_PKS1_PKT2_SA_S7_PKT4_PKT5_S5_PT6_21rocsparse_index_base_b,comdat
.Lfunc_end93:
	.size	_ZN9rocsparseL18bsrxmvn_4x4_kernelILj128ELj32EfiiDF16_DF16_fEEvT3_20rocsparse_direction_NS_24const_host_device_scalarIT1_EES1_PKS1_PKT2_SA_S7_PKT4_PKT5_S5_PT6_21rocsparse_index_base_b, .Lfunc_end93-_ZN9rocsparseL18bsrxmvn_4x4_kernelILj128ELj32EfiiDF16_DF16_fEEvT3_20rocsparse_direction_NS_24const_host_device_scalarIT1_EES1_PKS1_PKT2_SA_S7_PKT4_PKT5_S5_PT6_21rocsparse_index_base_b
                                        ; -- End function
	.set _ZN9rocsparseL18bsrxmvn_4x4_kernelILj128ELj32EfiiDF16_DF16_fEEvT3_20rocsparse_direction_NS_24const_host_device_scalarIT1_EES1_PKS1_PKT2_SA_S7_PKT4_PKT5_S5_PT6_21rocsparse_index_base_b.num_vgpr, 70
	.set _ZN9rocsparseL18bsrxmvn_4x4_kernelILj128ELj32EfiiDF16_DF16_fEEvT3_20rocsparse_direction_NS_24const_host_device_scalarIT1_EES1_PKS1_PKT2_SA_S7_PKT4_PKT5_S5_PT6_21rocsparse_index_base_b.num_agpr, 0
	.set _ZN9rocsparseL18bsrxmvn_4x4_kernelILj128ELj32EfiiDF16_DF16_fEEvT3_20rocsparse_direction_NS_24const_host_device_scalarIT1_EES1_PKS1_PKT2_SA_S7_PKT4_PKT5_S5_PT6_21rocsparse_index_base_b.numbered_sgpr, 18
	.set _ZN9rocsparseL18bsrxmvn_4x4_kernelILj128ELj32EfiiDF16_DF16_fEEvT3_20rocsparse_direction_NS_24const_host_device_scalarIT1_EES1_PKS1_PKT2_SA_S7_PKT4_PKT5_S5_PT6_21rocsparse_index_base_b.num_named_barrier, 0
	.set _ZN9rocsparseL18bsrxmvn_4x4_kernelILj128ELj32EfiiDF16_DF16_fEEvT3_20rocsparse_direction_NS_24const_host_device_scalarIT1_EES1_PKS1_PKT2_SA_S7_PKT4_PKT5_S5_PT6_21rocsparse_index_base_b.private_seg_size, 0
	.set _ZN9rocsparseL18bsrxmvn_4x4_kernelILj128ELj32EfiiDF16_DF16_fEEvT3_20rocsparse_direction_NS_24const_host_device_scalarIT1_EES1_PKS1_PKT2_SA_S7_PKT4_PKT5_S5_PT6_21rocsparse_index_base_b.uses_vcc, 1
	.set _ZN9rocsparseL18bsrxmvn_4x4_kernelILj128ELj32EfiiDF16_DF16_fEEvT3_20rocsparse_direction_NS_24const_host_device_scalarIT1_EES1_PKS1_PKT2_SA_S7_PKT4_PKT5_S5_PT6_21rocsparse_index_base_b.uses_flat_scratch, 0
	.set _ZN9rocsparseL18bsrxmvn_4x4_kernelILj128ELj32EfiiDF16_DF16_fEEvT3_20rocsparse_direction_NS_24const_host_device_scalarIT1_EES1_PKS1_PKT2_SA_S7_PKT4_PKT5_S5_PT6_21rocsparse_index_base_b.has_dyn_sized_stack, 0
	.set _ZN9rocsparseL18bsrxmvn_4x4_kernelILj128ELj32EfiiDF16_DF16_fEEvT3_20rocsparse_direction_NS_24const_host_device_scalarIT1_EES1_PKS1_PKT2_SA_S7_PKT4_PKT5_S5_PT6_21rocsparse_index_base_b.has_recursion, 0
	.set _ZN9rocsparseL18bsrxmvn_4x4_kernelILj128ELj32EfiiDF16_DF16_fEEvT3_20rocsparse_direction_NS_24const_host_device_scalarIT1_EES1_PKS1_PKT2_SA_S7_PKT4_PKT5_S5_PT6_21rocsparse_index_base_b.has_indirect_call, 0
	.section	.AMDGPU.csdata,"",@progbits
; Kernel info:
; codeLenInByte = 4676
; TotalNumSgprs: 20
; NumVgprs: 70
; ScratchSize: 0
; MemoryBound: 0
; FloatMode: 240
; IeeeMode: 1
; LDSByteSize: 0 bytes/workgroup (compile time only)
; SGPRBlocks: 0
; VGPRBlocks: 4
; NumSGPRsForWavesPerEU: 20
; NumVGPRsForWavesPerEU: 70
; NamedBarCnt: 0
; Occupancy: 12
; WaveLimiterHint : 1
; COMPUTE_PGM_RSRC2:SCRATCH_EN: 0
; COMPUTE_PGM_RSRC2:USER_SGPR: 2
; COMPUTE_PGM_RSRC2:TRAP_HANDLER: 0
; COMPUTE_PGM_RSRC2:TGID_X_EN: 1
; COMPUTE_PGM_RSRC2:TGID_Y_EN: 0
; COMPUTE_PGM_RSRC2:TGID_Z_EN: 0
; COMPUTE_PGM_RSRC2:TIDIG_COMP_CNT: 0
	.section	.text._ZN9rocsparseL18bsrxmvn_4x4_kernelILj128ELj64EfiiDF16_DF16_fEEvT3_20rocsparse_direction_NS_24const_host_device_scalarIT1_EES1_PKS1_PKT2_SA_S7_PKT4_PKT5_S5_PT6_21rocsparse_index_base_b,"axG",@progbits,_ZN9rocsparseL18bsrxmvn_4x4_kernelILj128ELj64EfiiDF16_DF16_fEEvT3_20rocsparse_direction_NS_24const_host_device_scalarIT1_EES1_PKS1_PKT2_SA_S7_PKT4_PKT5_S5_PT6_21rocsparse_index_base_b,comdat
	.globl	_ZN9rocsparseL18bsrxmvn_4x4_kernelILj128ELj64EfiiDF16_DF16_fEEvT3_20rocsparse_direction_NS_24const_host_device_scalarIT1_EES1_PKS1_PKT2_SA_S7_PKT4_PKT5_S5_PT6_21rocsparse_index_base_b ; -- Begin function _ZN9rocsparseL18bsrxmvn_4x4_kernelILj128ELj64EfiiDF16_DF16_fEEvT3_20rocsparse_direction_NS_24const_host_device_scalarIT1_EES1_PKS1_PKT2_SA_S7_PKT4_PKT5_S5_PT6_21rocsparse_index_base_b
	.p2align	8
	.type	_ZN9rocsparseL18bsrxmvn_4x4_kernelILj128ELj64EfiiDF16_DF16_fEEvT3_20rocsparse_direction_NS_24const_host_device_scalarIT1_EES1_PKS1_PKT2_SA_S7_PKT4_PKT5_S5_PT6_21rocsparse_index_base_b,@function
_ZN9rocsparseL18bsrxmvn_4x4_kernelILj128ELj64EfiiDF16_DF16_fEEvT3_20rocsparse_direction_NS_24const_host_device_scalarIT1_EES1_PKS1_PKT2_SA_S7_PKT4_PKT5_S5_PT6_21rocsparse_index_base_b: ; @_ZN9rocsparseL18bsrxmvn_4x4_kernelILj128ELj64EfiiDF16_DF16_fEEvT3_20rocsparse_direction_NS_24const_host_device_scalarIT1_EES1_PKS1_PKT2_SA_S7_PKT4_PKT5_S5_PT6_21rocsparse_index_base_b
; %bb.0:
	s_clause 0x2
	s_load_b64 s[16:17], s[0:1], 0x58
	s_load_b64 s[12:13], s[0:1], 0x8
	;; [unrolled: 1-line block ×3, first 2 shown]
	s_wait_kmcnt 0x0
	s_bitcmp1_b32 s17, 0
	s_cselect_b32 s2, -1, 0
	s_delay_alu instid0(SALU_CYCLE_1)
	s_and_b32 vcc_lo, exec_lo, s2
	s_xor_b32 s2, s2, -1
	s_cbranch_vccnz .LBB94_2
; %bb.1:
	s_load_b32 s12, s[12:13], 0x0
.LBB94_2:
	s_and_not1_b32 vcc_lo, exec_lo, s2
	s_cbranch_vccnz .LBB94_4
; %bb.3:
	s_load_b32 s14, s[14:15], 0x0
.LBB94_4:
	s_wait_kmcnt 0x0
	s_cmp_neq_f32 s12, 0
	s_mov_b32 s6, 0
	s_cselect_b32 s2, -1, 0
	s_cmp_neq_f32 s14, 1.0
	s_cselect_b32 s3, -1, 0
	s_delay_alu instid0(SALU_CYCLE_1) | instskip(NEXT) | instid1(SALU_CYCLE_1)
	s_or_b32 s2, s2, s3
	s_and_not1_b32 vcc_lo, exec_lo, s2
	s_cbranch_vccnz .LBB94_10
; %bb.5:
	s_clause 0x1
	s_load_b64 s[4:5], s[0:1], 0x18
	s_load_b64 s[2:3], s[0:1], 0x0
	s_bfe_u32 s7, ttmp6, 0x4000c
	s_and_b32 s8, ttmp6, 15
	s_add_co_i32 s7, s7, 1
	s_getreg_b32 s9, hwreg(HW_REG_IB_STS2, 6, 4)
	s_mul_i32 s7, ttmp9, s7
	v_lshrrev_b32_e32 v1, 6, v0
	s_add_co_i32 s8, s8, s7
	s_cmp_eq_u32 s9, 0
	s_cselect_b32 s7, ttmp9, s8
	s_delay_alu instid0(VALU_DEP_1) | instid1(SALU_CYCLE_1)
	v_lshl_or_b32 v2, s7, 1, v1
	s_wait_kmcnt 0x0
	s_cmp_lg_u64 s[4:5], 0
	s_cbranch_scc0 .LBB94_11
; %bb.6:
	s_load_b32 s6, s[0:1], 0x10
	s_mov_b32 s7, 0
                                        ; implicit-def: $vgpr1
	s_wait_kmcnt 0x0
	v_cmp_gt_i32_e32 vcc_lo, s6, v2
	s_mov_b32 s6, 0
	s_and_saveexec_b32 s8, vcc_lo
	s_delay_alu instid0(SALU_CYCLE_1)
	s_xor_b32 s8, exec_lo, s8
	s_cbranch_execz .LBB94_8
; %bb.7:
	global_load_b32 v1, v2, s[4:5] scale_offset
	s_mov_b32 s6, exec_lo
	s_wait_loadcnt 0x0
	v_subrev_nc_u32_e32 v1, s16, v1
.LBB94_8:
	s_or_b32 exec_lo, exec_lo, s8
	s_delay_alu instid0(SALU_CYCLE_1)
	s_and_b32 vcc_lo, exec_lo, s7
	s_cbranch_vccz .LBB94_12
.LBB94_9:
	v_cmp_gt_i32_e32 vcc_lo, s2, v2
	s_and_not1_b32 s2, s6, exec_lo
	s_and_b32 s4, vcc_lo, exec_lo
	s_delay_alu instid0(SALU_CYCLE_1) | instskip(NEXT) | instid1(SALU_CYCLE_1)
	s_or_b32 s6, s2, s4
	s_and_saveexec_b32 s2, s6
	s_cbranch_execnz .LBB94_13
.LBB94_10:
	s_sendmsg sendmsg(MSG_DEALLOC_VGPRS)
	s_endpgm
.LBB94_11:
                                        ; implicit-def: $vgpr1
	s_cbranch_execnz .LBB94_9
.LBB94_12:
	s_delay_alu instid0(VALU_DEP_1)
	v_mov_b32_e32 v2, v1
	s_and_saveexec_b32 s2, s6
	s_cbranch_execz .LBB94_10
.LBB94_13:
	s_load_b256 s[4:11], s[0:1], 0x20
	s_wait_kmcnt 0x0
	s_cmp_eq_u64 s[6:7], 0
	global_load_b32 v12, v2, s[4:5] scale_offset
	s_cselect_b32 vcc_lo, -1, 0
	v_ashrrev_i32_e32 v3, 31, v2
	s_cmp_eq_u32 s3, 1
	s_delay_alu instid0(VALU_DEP_1) | instskip(SKIP_1) | instid1(VALU_DEP_2)
	v_lshlrev_b64_e32 v[4:5], 2, v[2:3]
	v_and_b32_e32 v3, 63, v0
	v_add_nc_u64_e32 v[6:7], s[4:5], v[4:5]
	v_add_nc_u64_e32 v[4:5], s[6:7], v[4:5]
	s_wait_xcnt 0x0
	s_load_b64 s[4:5], s[0:1], 0x40
	s_delay_alu instid0(VALU_DEP_2) | instskip(NEXT) | instid1(VALU_DEP_1)
	v_add_nc_u64_e32 v[6:7], 4, v[6:7]
	v_dual_cndmask_b32 v5, v5, v7 :: v_dual_cndmask_b32 v4, v4, v6
	global_load_b32 v6, v[4:5], off
	s_wait_loadcnt 0x1
	v_subrev_nc_u32_e32 v0, s16, v12
	s_delay_alu instid0(VALU_DEP_1) | instskip(NEXT) | instid1(VALU_DEP_1)
	v_add_nc_u32_e32 v0, v0, v3
	v_ashrrev_i32_e32 v1, 31, v0
	s_wait_xcnt 0x0
	s_delay_alu instid0(VALU_DEP_1) | instskip(NEXT) | instid1(VALU_DEP_1)
	v_lshlrev_b64_e32 v[4:5], 5, v[0:1]
	v_add_nc_u64_e32 v[4:5], s[10:11], v[4:5]
	s_wait_loadcnt 0x0
	v_subrev_nc_u32_e32 v1, s16, v6
	s_delay_alu instid0(VALU_DEP_1)
	v_cmp_lt_i32_e64 s2, v0, v1
	s_cbranch_scc1 .LBB94_25
; %bb.14:
	v_dual_mov_b32 v7, 0 :: v_dual_mov_b32 v6, 0
	v_dual_mov_b32 v9, 0 :: v_dual_mov_b32 v8, 0
	s_and_saveexec_b32 s3, s2
	s_cbranch_execz .LBB94_24
; %bb.15:
	v_add_nc_u32_e32 v6, v12, v3
	v_not_b32_e32 v7, v12
	v_mov_b64_e32 v[8:9], 0
	v_mov_b32_e32 v13, v0
	s_delay_alu instid0(VALU_DEP_4) | instskip(NEXT) | instid1(VALU_DEP_1)
	v_subrev_nc_u32_e32 v6, s16, v6
	v_add_max_i32_e64 v6, v6, 64, v1
	s_delay_alu instid0(VALU_DEP_1) | instskip(NEXT) | instid1(VALU_DEP_1)
	v_add3_u32 v6, s16, v6, v7
	v_sub_nc_u32_e32 v14, v6, v3
	v_mov_b64_e32 v[6:7], 0
	s_delay_alu instid0(VALU_DEP_2) | instskip(NEXT) | instid1(VALU_DEP_1)
	v_and_b32_e32 v10, 0xc0, v14
	v_cmp_ne_u32_e32 vcc_lo, 0xc0, v10
	v_mov_b64_e32 v[10:11], v[4:5]
	s_and_saveexec_b32 s6, vcc_lo
	s_cbranch_execz .LBB94_19
; %bb.16:
	v_lshrrev_b32_e32 v6, 6, v14
	v_mov_b64_e32 v[10:11], v[4:5]
	s_mov_b32 s7, 0
	s_delay_alu instid0(VALU_DEP_2) | instskip(NEXT) | instid1(VALU_DEP_1)
	v_dual_mov_b32 v6, 0 :: v_dual_add_nc_u32 v7, 1, v6
	v_dual_mov_b32 v13, v0 :: v_dual_bitop2_b32 v9, 3, v7 bitop3:0x40
	s_delay_alu instid0(VALU_DEP_2) | instskip(NEXT) | instid1(VALU_DEP_2)
	v_dual_mov_b32 v7, v6 :: v_dual_mov_b32 v8, v6
	v_dual_sub_nc_u32 v15, 0, v9 :: v_dual_mov_b32 v9, v6
.LBB94_17:                              ; =>This Inner Loop Header: Depth=1
	global_load_b32 v20, v13, s[8:9] scale_offset
	global_load_b128 v[16:19], v[10:11], off
	s_wait_xcnt 0x1
	v_add_nc_u32_e32 v13, 64, v13
	v_add_co_u32 v15, s10, v15, 1
	s_or_b32 s7, s10, s7
	s_wait_loadcnt 0x1
	v_subrev_nc_u32_e32 v20, s16, v20
	s_wait_loadcnt 0x0
	v_dual_lshrrev_b32 v31, 16, v18 :: v_dual_lshrrev_b32 v33, 16, v16
	v_cvt_f32_f16_e32 v29, v18
	v_cvt_f32_f16_e32 v28, v16
	v_dual_lshlrev_b32 v20, 2, v20 :: v_dual_lshrrev_b32 v32, 16, v17
	s_delay_alu instid0(VALU_DEP_1) | instskip(SKIP_1) | instid1(VALU_DEP_1)
	v_dual_lshrrev_b32 v30, 16, v19 :: v_dual_ashrrev_i32 v21, 31, v20
	s_wait_kmcnt 0x0
	v_lshl_add_u64 v[24:25], v[20:21], 1, s[4:5]
	global_load_b128 v[20:23], v[10:11], off offset:16
	global_load_b64 v[26:27], v[24:25], off
	s_wait_xcnt 0x0
	v_cvt_f32_f16_e32 v24, v17
	v_cvt_f32_f16_e32 v25, v19
	v_add_nc_u64_e32 v[10:11], 0x800, v[10:11]
	s_wait_loadcnt 0x1
	v_dual_lshrrev_b32 v34, 16, v21 :: v_dual_lshrrev_b32 v35, 16, v23
	v_cvt_f32_f16_e32 v19, v22
	v_cvt_f32_f16_e32 v18, v20
	v_dual_lshrrev_b32 v36, 16, v22 :: v_dual_lshrrev_b32 v37, 16, v20
	v_cvt_f32_f16_e32 v17, v23
	v_cvt_f32_f16_e32 v20, v33
	;; [unrolled: 1-line block ×3, first 2 shown]
	s_wait_loadcnt 0x0
	v_lshrrev_b32_e32 v33, 16, v26
	v_cvt_f32_f16_e32 v22, v26
	v_cvt_f32_f16_e32 v16, v21
	;; [unrolled: 1-line block ×5, first 2 shown]
	v_pk_fma_f32 v[8:9], v[28:29], v[22:23], v[8:9] op_sel_hi:[1,0,1]
	v_pk_fma_f32 v[6:7], v[18:19], v[22:23], v[6:7] op_sel_hi:[1,0,1]
	v_lshrrev_b32_e32 v19, 16, v27
	v_cvt_f32_f16_e32 v26, v33
	v_cvt_f32_f16_e32 v18, v27
	;; [unrolled: 1-line block ×3, first 2 shown]
	s_delay_alu instid0(VALU_DEP_3)
	v_pk_fma_f32 v[8:9], v[20:21], v[26:27], v[8:9] op_sel_hi:[1,0,1]
	v_pk_fma_f32 v[6:7], v[30:31], v[26:27], v[6:7] op_sel_hi:[1,0,1]
	v_cvt_f32_f16_e32 v21, v35
	v_cvt_f32_f16_e32 v20, v34
	;; [unrolled: 1-line block ×3, first 2 shown]
	v_pk_fma_f32 v[8:9], v[24:25], v[18:19], v[8:9] op_sel_hi:[1,0,1]
	v_pk_fma_f32 v[6:7], v[16:17], v[18:19], v[6:7] op_sel_hi:[1,0,1]
	s_delay_alu instid0(VALU_DEP_2) | instskip(NEXT) | instid1(VALU_DEP_2)
	v_pk_fma_f32 v[8:9], v[22:23], v[26:27], v[8:9] op_sel_hi:[1,0,1]
	v_pk_fma_f32 v[6:7], v[20:21], v[26:27], v[6:7] op_sel_hi:[1,0,1]
	s_and_not1_b32 exec_lo, exec_lo, s7
	s_cbranch_execnz .LBB94_17
; %bb.18:
	s_or_b32 exec_lo, exec_lo, s7
.LBB94_19:
	s_delay_alu instid0(SALU_CYCLE_1) | instskip(NEXT) | instid1(SALU_CYCLE_1)
	s_or_b32 exec_lo, exec_lo, s6
	s_mov_b32 s6, exec_lo
	v_cmpx_lt_u32_e32 0xbf, v14
	s_cbranch_execz .LBB94_23
; %bb.20:
	v_add_nc_u64_e32 v[10:11], 0x181e, v[10:11]
	s_mov_b32 s7, 0
.LBB94_21:                              ; =>This Inner Loop Header: Depth=1
	global_load_b32 v38, v13, s[8:9] scale_offset
	s_clause 0x4
	global_load_b128 v[14:17], v[10:11], off offset:-6174
	global_load_b128 v[18:21], v[10:11], off offset:-6158
	;; [unrolled: 1-line block ×5, first 2 shown]
	s_clause 0x2
	global_load_b32 v42, v13, s[8:9] offset:256 scale_offset
	global_load_b32 v43, v13, s[8:9] offset:512 scale_offset
	;; [unrolled: 1-line block ×3, first 2 shown]
	global_load_b128 v[34:37], v[10:11], off offset:-2062
	s_wait_xcnt 0x1
	v_add_nc_u32_e32 v13, 0x100, v13
	s_delay_alu instid0(VALU_DEP_1)
	v_cmp_ge_i32_e32 vcc_lo, v13, v1
	s_or_b32 s7, vcc_lo, s7
	s_wait_loadcnt 0x9
	v_subrev_nc_u32_e32 v45, s16, v38
	s_wait_loadcnt 0x8
	v_dual_lshrrev_b32 v54, 16, v15 :: v_dual_lshrrev_b32 v55, 16, v17
	v_cvt_f32_f16_e32 v38, v15
	s_wait_loadcnt 0x7
	v_dual_lshrrev_b32 v58, 16, v19 :: v_dual_lshrrev_b32 v59, 16, v21
	v_cvt_f32_f16_e32 v15, v21
	s_wait_loadcnt 0x6
	v_cvt_f32_f16_e32 v21, v24
	v_dual_lshrrev_b32 v64, 16, v24 :: v_dual_lshrrev_b32 v65, 16, v22
	s_wait_loadcnt 0x5
	v_cvt_f32_f16_e32 v24, v26
	v_dual_lshrrev_b32 v68, 16, v28 :: v_dual_lshrrev_b32 v69, 16, v26
	s_wait_loadcnt 0x4
	v_dual_lshrrev_b32 v70, 16, v31 :: v_dual_lshrrev_b32 v71, 16, v33
	v_cvt_f32_f16_e32 v26, v31
	s_wait_loadcnt 0x3
	v_subrev_nc_u32_e32 v31, s16, v42
	v_cvt_f32_f16_e32 v39, v17
	v_cvt_f32_f16_e32 v17, v20
	v_dual_lshrrev_b32 v60, 16, v20 :: v_dual_lshrrev_b32 v61, 16, v18
	v_cvt_f32_f16_e32 v20, v22
	v_dual_lshrrev_b32 v66, 16, v27 :: v_dual_lshrrev_b32 v67, 16, v29
	v_cvt_f32_f16_e32 v22, v27
	v_cvt_f32_f16_e32 v27, v33
	s_wait_loadcnt 0x2
	v_subrev_nc_u32_e32 v33, s16, v43
	s_wait_loadcnt 0x1
	v_subrev_nc_u32_e32 v43, s16, v44
	v_cvt_f32_f16_e32 v40, v14
	v_dual_lshrrev_b32 v56, 16, v16 :: v_dual_lshrrev_b32 v57, 16, v14
	v_cvt_f32_f16_e32 v14, v19
	v_dual_lshrrev_b32 v62, 16, v23 :: v_dual_lshrrev_b32 v63, 16, v25
	v_cvt_f32_f16_e32 v19, v25
	v_cvt_f32_f16_e32 v25, v28
	;; [unrolled: 1-line block ×3, first 2 shown]
	v_dual_lshrrev_b32 v72, 16, v32 :: v_dual_lshrrev_b32 v73, 16, v30
	v_lshlrev_b32_e32 v30, 2, v45
	v_cvt_f32_f16_e32 v41, v16
	v_cvt_f32_f16_e32 v16, v18
	;; [unrolled: 1-line block ×5, first 2 shown]
	v_dual_lshlrev_b32 v32, 2, v31 :: v_dual_lshlrev_b32 v42, 2, v33
	v_dual_lshlrev_b32 v44, 2, v43 :: v_dual_ashrrev_i32 v31, 31, v30
	s_wait_loadcnt 0x0
	v_dual_lshrrev_b32 v75, 16, v36 :: v_dual_lshrrev_b32 v76, 16, v34
	s_delay_alu instid0(VALU_DEP_3) | instskip(NEXT) | instid1(VALU_DEP_3)
	v_dual_ashrrev_i32 v33, 31, v32 :: v_dual_ashrrev_i32 v43, 31, v42
	v_ashrrev_i32_e32 v45, 31, v44
	s_wait_kmcnt 0x0
	v_lshl_add_u64 v[30:31], v[30:31], 1, s[4:5]
	v_lshrrev_b32_e32 v74, 16, v37
	v_lshl_add_u64 v[32:33], v[32:33], 1, s[4:5]
	v_lshl_add_u64 v[42:43], v[42:43], 1, s[4:5]
	;; [unrolled: 1-line block ×3, first 2 shown]
	s_clause 0x3
	global_load_b64 v[46:47], v[30:31], off
	global_load_b64 v[48:49], v[32:33], off
	;; [unrolled: 1-line block ×4, first 2 shown]
	s_wait_xcnt 0x2
	v_cvt_f32_f16_e32 v32, v34
	s_wait_xcnt 0x0
	v_lshrrev_b32_e32 v45, 16, v35
	v_cvt_f32_f16_e32 v33, v36
	v_cvt_f32_f16_e32 v36, v54
	;; [unrolled: 1-line block ×4, first 2 shown]
	s_wait_loadcnt 0x3
	v_cvt_f32_f16_e32 v30, v46
	s_wait_loadcnt 0x2
	v_dual_lshrrev_b32 v34, 16, v46 :: v_dual_lshrrev_b32 v44, 16, v48
	s_delay_alu instid0(VALU_DEP_2)
	v_pk_fma_f32 v[8:9], v[40:41], v[30:31], v[8:9] op_sel_hi:[1,0,1]
	v_pk_fma_f32 v[6:7], v[16:17], v[30:31], v[6:7] op_sel_hi:[1,0,1]
	v_cvt_f32_f16_e32 v17, v56
	v_cvt_f32_f16_e32 v16, v57
	v_lshrrev_b32_e32 v40, 16, v47
	v_cvt_f32_f16_e32 v34, v34
	v_cvt_f32_f16_e32 v30, v35
	;; [unrolled: 1-line block ×5, first 2 shown]
	v_pk_fma_f32 v[8:9], v[16:17], v[34:35], v[8:9] op_sel_hi:[1,0,1]
	v_cvt_f32_f16_e32 v17, v60
	v_cvt_f32_f16_e32 v16, v61
	;; [unrolled: 1-line block ×3, first 2 shown]
	s_delay_alu instid0(VALU_DEP_2) | instskip(SKIP_1) | instid1(VALU_DEP_1)
	v_pk_fma_f32 v[16:17], v[16:17], v[34:35], v[6:7] op_sel_hi:[1,0,1]
	v_cvt_f32_f16_e32 v34, v47
	v_pk_fma_f32 v[38:39], v[38:39], v[34:35], v[8:9] op_sel_hi:[1,0,1]
	global_load_b128 v[6:9], v[10:11], off offset:-30
	v_pk_fma_f32 v[34:35], v[14:15], v[34:35], v[16:17] op_sel_hi:[1,0,1]
	global_load_b128 v[14:17], v[10:11], off offset:-14
	s_wait_xcnt 0x0
	v_add_nc_u64_e32 v[10:11], 0x2000, v[10:11]
	v_pk_fma_f32 v[36:37], v[36:37], v[40:41], v[38:39] op_sel_hi:[1,0,1]
	v_cvt_f32_f16_e32 v39, v59
	v_cvt_f32_f16_e32 v38, v58
	s_delay_alu instid0(VALU_DEP_1)
	v_pk_fma_f32 v[34:35], v[38:39], v[40:41], v[34:35] op_sel_hi:[1,0,1]
	s_wait_loadcnt 0x1
	v_cvt_f32_f16_e32 v40, v6
	v_dual_lshrrev_b32 v54, 16, v8 :: v_dual_lshrrev_b32 v55, 16, v6
	v_cvt_f32_f16_e32 v6, v48
	v_dual_lshrrev_b32 v46, 16, v7 :: v_dual_lshrrev_b32 v47, 16, v9
	v_cvt_f32_f16_e32 v38, v7
	v_cvt_f32_f16_e32 v41, v8
	v_cvt_f32_f16_e32 v39, v9
	v_pk_fma_f32 v[8:9], v[20:21], v[6:7], v[36:37] op_sel_hi:[1,0,1]
	s_wait_loadcnt 0x0
	v_dual_lshrrev_b32 v56, 16, v15 :: v_dual_lshrrev_b32 v57, 16, v17
	v_pk_fma_f32 v[6:7], v[24:25], v[6:7], v[34:35] op_sel_hi:[1,0,1]
	v_cvt_f32_f16_e32 v20, v15
	v_cvt_f32_f16_e32 v25, v16
	v_cvt_f32_f16_e32 v24, v14
	v_cvt_f32_f16_e32 v21, v17
	v_dual_lshrrev_b32 v58, 16, v16 :: v_dual_lshrrev_b32 v59, 16, v14
	v_cvt_f32_f16_e32 v15, v64
	v_cvt_f32_f16_e32 v14, v65
	;; [unrolled: 1-line block ×6, first 2 shown]
	v_pk_fma_f32 v[8:9], v[14:15], v[44:45], v[8:9] op_sel_hi:[1,0,1]
	v_lshrrev_b32_e32 v15, 16, v49
	v_cvt_f32_f16_e32 v14, v49
	v_pk_fma_f32 v[6:7], v[16:17], v[44:45], v[6:7] op_sel_hi:[1,0,1]
	v_cvt_f32_f16_e32 v37, v67
	v_cvt_f32_f16_e32 v36, v66
	;; [unrolled: 1-line block ×3, first 2 shown]
	v_pk_fma_f32 v[8:9], v[18:19], v[14:15], v[8:9] op_sel_hi:[1,0,1]
	v_pk_fma_f32 v[6:7], v[22:23], v[14:15], v[6:7] op_sel_hi:[1,0,1]
	v_dual_lshrrev_b32 v22, 16, v50 :: v_dual_lshrrev_b32 v23, 16, v51
	v_cvt_f32_f16_e32 v18, v50
	s_delay_alu instid0(VALU_DEP_4) | instskip(NEXT) | instid1(VALU_DEP_4)
	v_pk_fma_f32 v[8:9], v[34:35], v[44:45], v[8:9] op_sel_hi:[1,0,1]
	v_pk_fma_f32 v[6:7], v[36:37], v[44:45], v[6:7] op_sel_hi:[1,0,1]
	v_cvt_f32_f16_e32 v19, v74
	v_cvt_f32_f16_e32 v15, v75
	;; [unrolled: 1-line block ×5, first 2 shown]
	v_pk_fma_f32 v[8:9], v[28:29], v[18:19], v[8:9] op_sel_hi:[1,0,1]
	v_pk_fma_f32 v[6:7], v[32:33], v[18:19], v[6:7] op_sel_hi:[1,0,1]
	v_cvt_f32_f16_e32 v28, v51
	v_cvt_f32_f16_e32 v16, v70
	;; [unrolled: 1-line block ×3, first 2 shown]
	v_pk_fma_f32 v[8:9], v[42:43], v[22:23], v[8:9] op_sel_hi:[1,0,1]
	v_pk_fma_f32 v[6:7], v[14:15], v[22:23], v[6:7] op_sel_hi:[1,0,1]
	v_cvt_f32_f16_e32 v22, v23
	v_cvt_f32_f16_e32 v23, v47
	;; [unrolled: 1-line block ×3, first 2 shown]
	v_pk_fma_f32 v[8:9], v[26:27], v[28:29], v[8:9] op_sel_hi:[1,0,1]
	v_pk_fma_f32 v[6:7], v[30:31], v[28:29], v[6:7] op_sel_hi:[1,0,1]
	v_lshrrev_b32_e32 v27, 16, v52
	v_cvt_f32_f16_e32 v26, v52
	v_cvt_f32_f16_e32 v14, v55
	v_pk_fma_f32 v[8:9], v[16:17], v[22:23], v[8:9] op_sel_hi:[1,0,1]
	v_pk_fma_f32 v[6:7], v[18:19], v[22:23], v[6:7] op_sel_hi:[1,0,1]
	v_cvt_f32_f16_e32 v17, v58
	v_cvt_f32_f16_e32 v16, v59
	v_lshrrev_b32_e32 v19, 16, v53
	v_cvt_f32_f16_e32 v18, v27
	v_pk_fma_f32 v[8:9], v[40:41], v[26:27], v[8:9] op_sel_hi:[1,0,1]
	v_pk_fma_f32 v[6:7], v[24:25], v[26:27], v[6:7] op_sel_hi:[1,0,1]
	v_cvt_f32_f16_e32 v24, v53
	v_cvt_f32_f16_e32 v22, v46
	s_delay_alu instid0(VALU_DEP_4) | instskip(NEXT) | instid1(VALU_DEP_4)
	v_pk_fma_f32 v[8:9], v[14:15], v[18:19], v[8:9] op_sel_hi:[1,0,1]
	v_pk_fma_f32 v[6:7], v[16:17], v[18:19], v[6:7] op_sel_hi:[1,0,1]
	v_cvt_f32_f16_e32 v15, v57
	v_cvt_f32_f16_e32 v14, v56
	;; [unrolled: 1-line block ×3, first 2 shown]
	v_pk_fma_f32 v[8:9], v[38:39], v[24:25], v[8:9] op_sel_hi:[1,0,1]
	v_pk_fma_f32 v[6:7], v[20:21], v[24:25], v[6:7] op_sel_hi:[1,0,1]
	s_delay_alu instid0(VALU_DEP_2) | instskip(NEXT) | instid1(VALU_DEP_2)
	v_pk_fma_f32 v[8:9], v[22:23], v[16:17], v[8:9] op_sel_hi:[1,0,1]
	v_pk_fma_f32 v[6:7], v[14:15], v[16:17], v[6:7] op_sel_hi:[1,0,1]
	s_and_not1_b32 exec_lo, exec_lo, s7
	s_cbranch_execnz .LBB94_21
; %bb.22:
	s_or_b32 exec_lo, exec_lo, s7
.LBB94_23:
	s_delay_alu instid0(SALU_CYCLE_1)
	s_or_b32 exec_lo, exec_lo, s6
.LBB94_24:
	s_delay_alu instid0(SALU_CYCLE_1)
	s_or_b32 exec_lo, exec_lo, s3
	s_cbranch_execz .LBB94_26
	s_branch .LBB94_37
.LBB94_25:
                                        ; implicit-def: $vgpr7
                                        ; implicit-def: $vgpr9
.LBB94_26:
	v_dual_mov_b32 v7, 0 :: v_dual_mov_b32 v6, 0
	v_dual_mov_b32 v9, 0 :: v_dual_mov_b32 v8, 0
	s_and_saveexec_b32 s3, s2
	s_cbranch_execz .LBB94_36
; %bb.27:
	v_add_nc_u32_e32 v6, v12, v3
	v_not_b32_e32 v7, v12
	v_mov_b64_e32 v[8:9], 0
	s_mov_b32 s2, exec_lo
	s_delay_alu instid0(VALU_DEP_3) | instskip(NEXT) | instid1(VALU_DEP_1)
	v_subrev_nc_u32_e32 v6, s16, v6
	v_add_max_i32_e64 v6, v6, 64, v1
	s_delay_alu instid0(VALU_DEP_1) | instskip(NEXT) | instid1(VALU_DEP_1)
	v_add3_u32 v6, s16, v6, v7
	v_sub_nc_u32_e32 v10, v6, v3
	v_mov_b64_e32 v[6:7], 0
	s_delay_alu instid0(VALU_DEP_2) | instskip(NEXT) | instid1(VALU_DEP_1)
	v_and_b32_e32 v11, 0xc0, v10
	v_cmpx_ne_u32_e32 0xc0, v11
	s_cbranch_execz .LBB94_31
; %bb.28:
	v_lshrrev_b32_e32 v6, 6, v10
	s_mov_b32 s6, 0
	s_delay_alu instid0(VALU_DEP_1) | instskip(NEXT) | instid1(VALU_DEP_1)
	v_dual_mov_b32 v6, 0 :: v_dual_add_nc_u32 v7, 1, v6
	v_dual_mov_b32 v7, v6 :: v_dual_bitop2_b32 v9, 3, v7 bitop3:0x40
	s_delay_alu instid0(VALU_DEP_1)
	v_dual_mov_b32 v8, v6 :: v_dual_sub_nc_u32 v11, 0, v9
	v_mov_b32_e32 v9, v6
.LBB94_29:                              ; =>This Inner Loop Header: Depth=1
	global_load_b32 v16, v0, s[8:9] scale_offset
	global_load_b128 v[12:15], v[4:5], off
	s_wait_xcnt 0x1
	v_add_nc_u32_e32 v0, 64, v0
	v_add_co_u32 v11, s7, v11, 1
	s_or_b32 s6, s7, s6
	s_wait_loadcnt 0x1
	v_subrev_nc_u32_e32 v16, s16, v16
	s_wait_loadcnt 0x0
	v_cvt_f32_f16_e32 v24, v15
	v_lshrrev_b32_e32 v25, 16, v14
	v_cvt_f32_f16_e32 v14, v14
	v_dual_lshrrev_b32 v27, 16, v13 :: v_dual_lshlrev_b32 v16, 2, v16
	v_lshrrev_b32_e32 v29, 16, v15
	s_delay_alu instid0(VALU_DEP_4) | instskip(NEXT) | instid1(VALU_DEP_3)
	v_cvt_f32_f16_e32 v15, v25
	v_ashrrev_i32_e32 v17, 31, v16
	s_delay_alu instid0(VALU_DEP_3) | instskip(SKIP_1) | instid1(VALU_DEP_2)
	v_cvt_f32_f16_e32 v25, v29
	s_wait_kmcnt 0x0
	v_lshl_add_u64 v[20:21], v[16:17], 1, s[4:5]
	global_load_b64 v[22:23], v[20:21], off
	global_load_b128 v[16:19], v[4:5], off offset:16
	s_wait_xcnt 0x1
	v_lshrrev_b32_e32 v21, 16, v12
	v_cvt_f32_f16_e32 v12, v12
	v_cvt_f32_f16_e32 v20, v13
	s_wait_xcnt 0x0
	v_add_nc_u64_e32 v[4:5], 0x800, v[4:5]
	v_cvt_f32_f16_e32 v13, v21
	v_cvt_f32_f16_e32 v21, v27
	s_wait_loadcnt 0x0
	v_dual_lshrrev_b32 v30, 16, v16 :: v_dual_lshrrev_b32 v31, 16, v17
	v_dual_lshrrev_b32 v32, 16, v18 :: v_dual_lshrrev_b32 v33, 16, v19
	v_cvt_f32_f16_e32 v28, v19
	v_lshrrev_b32_e32 v19, 16, v22
	v_cvt_f32_f16_e32 v22, v22
	v_cvt_f32_f16_e32 v26, v17
	;; [unrolled: 1-line block ×5, first 2 shown]
	v_pk_fma_f32 v[8:9], v[12:13], v[22:23], v[8:9] op_sel_hi:[1,0,1]
	v_pk_fma_f32 v[6:7], v[20:21], v[22:23], v[6:7] op_sel_hi:[1,0,1]
	v_lshrrev_b32_e32 v13, 16, v23
	v_cvt_f32_f16_e32 v30, v19
	v_cvt_f32_f16_e32 v12, v23
	;; [unrolled: 1-line block ×5, first 2 shown]
	v_pk_fma_f32 v[8:9], v[14:15], v[30:31], v[8:9] op_sel_hi:[1,0,1]
	v_pk_fma_f32 v[6:7], v[24:25], v[30:31], v[6:7] op_sel_hi:[1,0,1]
	v_cvt_f32_f16_e32 v14, v13
	s_delay_alu instid0(VALU_DEP_3) | instskip(NEXT) | instid1(VALU_DEP_3)
	v_pk_fma_f32 v[8:9], v[16:17], v[12:13], v[8:9] op_sel_hi:[1,0,1]
	v_pk_fma_f32 v[6:7], v[26:27], v[12:13], v[6:7] op_sel_hi:[1,0,1]
	s_delay_alu instid0(VALU_DEP_2) | instskip(NEXT) | instid1(VALU_DEP_2)
	v_pk_fma_f32 v[8:9], v[18:19], v[14:15], v[8:9] op_sel_hi:[1,0,1]
	v_pk_fma_f32 v[6:7], v[28:29], v[14:15], v[6:7] op_sel_hi:[1,0,1]
	s_and_not1_b32 exec_lo, exec_lo, s6
	s_cbranch_execnz .LBB94_29
; %bb.30:
	s_or_b32 exec_lo, exec_lo, s6
.LBB94_31:
	s_delay_alu instid0(SALU_CYCLE_1) | instskip(NEXT) | instid1(SALU_CYCLE_1)
	s_or_b32 exec_lo, exec_lo, s2
	s_mov_b32 s2, exec_lo
	v_cmpx_lt_u32_e32 0xbf, v10
	s_cbranch_execz .LBB94_35
; %bb.32:
	s_mov_b32 s6, 0
.LBB94_33:                              ; =>This Inner Loop Header: Depth=1
	s_clause 0x3
	global_load_b128 v[10:13], v[4:5], off
	global_load_b128 v[14:17], v[4:5], off offset:16
	global_load_b128 v[18:21], v[4:5], off offset:2048
	global_load_b128 v[22:25], v[4:5], off offset:2064
	global_load_b32 v27, v0, s[8:9] scale_offset
	s_wait_loadcnt 0x4
	v_dual_lshrrev_b32 v33, 16, v11 :: v_dual_lshrrev_b32 v35, 16, v13
	v_cvt_f32_f16_e32 v28, v13
	s_wait_loadcnt 0x3
	v_dual_lshrrev_b32 v37, 16, v14 :: v_dual_lshrrev_b32 v39, 16, v15
	v_cvt_f32_f16_e32 v30, v15
	s_clause 0x1
	global_load_b32 v13, v0, s[8:9] offset:256 scale_offset
	global_load_b32 v15, v0, s[8:9] offset:512 scale_offset
	v_dual_lshrrev_b32 v41, 16, v16 :: v_dual_lshrrev_b32 v58, 16, v17
	v_cvt_f32_f16_e32 v32, v17
	global_load_b32 v17, v0, s[8:9] offset:768 scale_offset
	s_wait_loadcnt 0x5
	v_dual_lshrrev_b32 v61, 16, v19 :: v_dual_lshrrev_b32 v62, 16, v21
	v_cvt_f32_f16_e32 v34, v19
	s_wait_loadcnt 0x3
	v_subrev_nc_u32_e32 v19, s16, v27
	v_dual_lshrrev_b32 v29, 16, v10 :: v_dual_lshrrev_b32 v31, 16, v12
	v_cvt_f32_f16_e32 v10, v10
	v_cvt_f32_f16_e32 v26, v11
	;; [unrolled: 1-line block ×3, first 2 shown]
	s_delay_alu instid0(VALU_DEP_4)
	v_cvt_f32_f16_e32 v11, v29
	v_cvt_f32_f16_e32 v12, v12
	;; [unrolled: 1-line block ×5, first 2 shown]
	v_dual_lshrrev_b32 v59, 16, v18 :: v_dual_lshrrev_b32 v60, 16, v20
	v_cvt_f32_f16_e32 v33, v58
	v_cvt_f32_f16_e32 v18, v18
	;; [unrolled: 1-line block ×6, first 2 shown]
	v_dual_lshrrev_b32 v63, 16, v22 :: v_dual_lshrrev_b32 v64, 16, v23
	v_cvt_f32_f16_e32 v22, v22
	v_cvt_f32_f16_e32 v38, v23
	v_dual_lshrrev_b32 v65, 16, v24 :: v_dual_lshrrev_b32 v66, 16, v25
	s_delay_alu instid0(VALU_DEP_4) | instskip(SKIP_2) | instid1(VALU_DEP_4)
	v_cvt_f32_f16_e32 v23, v63
	v_cvt_f32_f16_e32 v24, v24
	;; [unrolled: 1-line block ×4, first 2 shown]
	s_wait_xcnt 0x0
	v_add_nc_u32_e32 v0, 0x100, v0
	s_delay_alu instid0(VALU_DEP_1)
	v_cmp_ge_i32_e32 vcc_lo, v0, v1
	s_or_b32 s6, vcc_lo, s6
	s_wait_loadcnt 0x2
	v_subrev_nc_u32_e32 v13, s16, v13
	s_wait_loadcnt 0x1
	v_subrev_nc_u32_e32 v15, s16, v15
	v_lshlrev_b32_e32 v42, 2, v19
	v_cvt_f32_f16_e32 v19, v59
	s_wait_loadcnt 0x0
	v_subrev_nc_u32_e32 v17, s16, v17
	v_dual_lshlrev_b32 v44, 2, v13 :: v_dual_lshlrev_b32 v46, 2, v15
	v_ashrrev_i32_e32 v43, 31, v42
	v_cvt_f32_f16_e32 v13, v31
	s_delay_alu instid0(VALU_DEP_3) | instskip(NEXT) | instid1(VALU_DEP_4)
	v_dual_lshlrev_b32 v48, 2, v17 :: v_dual_ashrrev_i32 v45, 31, v44
	v_ashrrev_i32_e32 v47, 31, v46
	s_wait_kmcnt 0x0
	v_lshl_add_u64 v[42:43], v[42:43], 1, s[4:5]
	v_cvt_f32_f16_e32 v15, v37
	v_ashrrev_i32_e32 v49, 31, v48
	v_lshl_add_u64 v[44:45], v[44:45], 1, s[4:5]
	v_lshl_add_u64 v[46:47], v[46:47], 1, s[4:5]
	v_cvt_f32_f16_e32 v31, v39
	v_cvt_f32_f16_e32 v17, v41
	v_lshl_add_u64 v[48:49], v[48:49], 1, s[4:5]
	s_clause 0x3
	global_load_b64 v[50:51], v[42:43], off
	global_load_b64 v[52:53], v[44:45], off
	global_load_b64 v[54:55], v[46:47], off
	global_load_b64 v[56:57], v[48:49], off
	v_cvt_f32_f16_e32 v37, v62
	v_cvt_f32_f16_e32 v39, v64
	;; [unrolled: 1-line block ×3, first 2 shown]
	s_wait_loadcnt 0x3
	s_wait_xcnt 0x3
	v_cvt_f32_f16_e32 v42, v50
	s_delay_alu instid0(VALU_DEP_1) | instskip(SKIP_2) | instid1(VALU_DEP_1)
	v_pk_fma_f32 v[8:9], v[10:11], v[42:43], v[8:9] op_sel_hi:[1,0,1]
	v_pk_fma_f32 v[10:11], v[26:27], v[42:43], v[6:7] op_sel_hi:[1,0,1]
	v_lshrrev_b32_e32 v6, 16, v50
	v_cvt_f32_f16_e32 v26, v6
	s_delay_alu instid0(VALU_DEP_1) | instskip(SKIP_3) | instid1(VALU_DEP_1)
	v_pk_fma_f32 v[12:13], v[12:13], v[26:27], v[8:9] op_sel_hi:[1,0,1]
	global_load_b128 v[6:9], v[4:5], off offset:4096
	v_pk_fma_f32 v[26:27], v[28:29], v[26:27], v[10:11] op_sel_hi:[1,0,1]
	v_cvt_f32_f16_e32 v28, v51
	v_pk_fma_f32 v[14:15], v[14:15], v[28:29], v[12:13] op_sel_hi:[1,0,1]
	global_load_b128 v[10:13], v[4:5], off offset:4112
	s_wait_loadcnt 0x1
	v_dual_lshrrev_b32 v29, 16, v6 :: v_dual_lshrrev_b32 v43, 16, v7
	v_lshrrev_b32_e32 v45, 16, v9
	v_cvt_f32_f16_e32 v42, v7
	v_cvt_f32_f16_e32 v44, v9
	s_delay_alu instid0(VALU_DEP_4)
	v_pk_fma_f32 v[26:27], v[30:31], v[28:29], v[26:27] op_sel_hi:[1,0,1]
	v_cvt_f32_f16_e32 v28, v6
	v_dual_lshrrev_b32 v6, 16, v51 :: v_dual_lshrrev_b32 v31, 16, v8
	v_cvt_f32_f16_e32 v30, v8
	v_cvt_f32_f16_e32 v29, v29
	;; [unrolled: 1-line block ×3, first 2 shown]
	s_delay_alu instid0(VALU_DEP_4) | instskip(SKIP_2) | instid1(VALU_DEP_3)
	v_cvt_f32_f16_e32 v6, v6
	v_cvt_f32_f16_e32 v31, v31
	v_cvt_f32_f16_e32 v45, v45
	v_pk_fma_f32 v[8:9], v[16:17], v[6:7], v[14:15] op_sel_hi:[1,0,1]
	s_wait_loadcnt 0x0
	v_dual_lshrrev_b32 v15, 16, v10 :: v_dual_lshrrev_b32 v17, 16, v11
	v_pk_fma_f32 v[6:7], v[32:33], v[6:7], v[26:27] op_sel_hi:[1,0,1]
	v_cvt_f32_f16_e32 v14, v10
	v_cvt_f32_f16_e32 v10, v52
	;; [unrolled: 1-line block ×3, first 2 shown]
	v_dual_lshrrev_b32 v27, 16, v12 :: v_dual_lshrrev_b32 v33, 16, v13
	v_cvt_f32_f16_e32 v26, v12
	s_delay_alu instid0(VALU_DEP_4)
	v_pk_fma_f32 v[8:9], v[18:19], v[10:11], v[8:9] op_sel_hi:[1,0,1]
	v_pk_fma_f32 v[10:11], v[34:35], v[10:11], v[6:7] op_sel_hi:[1,0,1]
	v_lshrrev_b32_e32 v6, 16, v52
	v_cvt_f32_f16_e32 v32, v13
	v_cvt_f32_f16_e32 v34, v53
	;; [unrolled: 1-line block ×7, first 2 shown]
	s_delay_alu instid0(VALU_DEP_3)
	v_pk_fma_f32 v[18:19], v[20:21], v[12:13], v[8:9] op_sel_hi:[1,0,1]
	global_load_b128 v[6:9], v[4:5], off offset:6144
	v_pk_fma_f32 v[20:21], v[36:37], v[12:13], v[10:11] op_sel_hi:[1,0,1]
	global_load_b128 v[10:13], v[4:5], off offset:6160
	s_wait_xcnt 0x0
	v_add_nc_u64_e32 v[4:5], 0x2000, v[4:5]
	s_wait_loadcnt 0x1
	v_dual_lshrrev_b32 v35, 16, v6 :: v_dual_lshrrev_b32 v37, 16, v7
	s_wait_loadcnt 0x0
	v_dual_lshrrev_b32 v47, 16, v10 :: v_dual_lshrrev_b32 v48, 16, v11
	v_lshrrev_b32_e32 v49, 16, v12
	s_delay_alu instid0(VALU_DEP_3)
	v_pk_fma_f32 v[18:19], v[22:23], v[34:35], v[18:19] op_sel_hi:[1,0,1]
	v_cvt_f32_f16_e32 v22, v7
	v_dual_lshrrev_b32 v7, 16, v53 :: v_dual_lshrrev_b32 v23, 16, v8
	v_pk_fma_f32 v[20:21], v[38:39], v[34:35], v[20:21] op_sel_hi:[1,0,1]
	v_lshrrev_b32_e32 v39, 16, v9
	v_cvt_f32_f16_e32 v36, v11
	v_lshrrev_b32_e32 v11, 16, v55
	v_cvt_f32_f16_e32 v46, v7
	v_dual_lshrrev_b32 v50, 16, v13 :: v_dual_lshrrev_b32 v7, 16, v54
	v_cvt_f32_f16_e32 v6, v6
	v_cvt_f32_f16_e32 v34, v9
	s_delay_alu instid0(VALU_DEP_4)
	v_pk_fma_f32 v[18:19], v[24:25], v[46:47], v[18:19] op_sel_hi:[1,0,1]
	v_pk_fma_f32 v[20:21], v[40:41], v[46:47], v[20:21] op_sel_hi:[1,0,1]
	v_cvt_f32_f16_e32 v24, v54
	v_cvt_f32_f16_e32 v40, v7
	;; [unrolled: 1-line block ×5, first 2 shown]
	v_pk_fma_f32 v[18:19], v[28:29], v[24:25], v[18:19] op_sel_hi:[1,0,1]
	v_pk_fma_f32 v[20:21], v[42:43], v[24:25], v[20:21] op_sel_hi:[1,0,1]
	v_cvt_f32_f16_e32 v24, v55
	v_cvt_f32_f16_e32 v28, v11
	;; [unrolled: 1-line block ×3, first 2 shown]
	v_pk_fma_f32 v[18:19], v[30:31], v[40:41], v[18:19] op_sel_hi:[1,0,1]
	v_pk_fma_f32 v[20:21], v[44:45], v[40:41], v[20:21] op_sel_hi:[1,0,1]
	v_lshrrev_b32_e32 v13, 16, v56
	v_cvt_f32_f16_e32 v8, v8
	v_cvt_f32_f16_e32 v35, v39
	v_pk_fma_f32 v[14:15], v[14:15], v[24:25], v[18:19] op_sel_hi:[1,0,1]
	v_pk_fma_f32 v[16:17], v[16:17], v[24:25], v[20:21] op_sel_hi:[1,0,1]
	v_cvt_f32_f16_e32 v18, v56
	v_cvt_f32_f16_e32 v10, v10
	;; [unrolled: 1-line block ×3, first 2 shown]
	v_pk_fma_f32 v[14:15], v[26:27], v[28:29], v[14:15] op_sel_hi:[1,0,1]
	v_pk_fma_f32 v[16:17], v[32:33], v[28:29], v[16:17] op_sel_hi:[1,0,1]
	v_cvt_f32_f16_e32 v37, v48
	v_cvt_f32_f16_e32 v12, v12
	;; [unrolled: 1-line block ×3, first 2 shown]
	v_pk_fma_f32 v[6:7], v[6:7], v[18:19], v[14:15] op_sel_hi:[1,0,1]
	v_pk_fma_f32 v[14:15], v[22:23], v[18:19], v[16:17] op_sel_hi:[1,0,1]
	v_lshrrev_b32_e32 v17, 16, v57
	v_cvt_f32_f16_e32 v20, v13
	v_cvt_f32_f16_e32 v16, v57
	;; [unrolled: 1-line block ×3, first 2 shown]
	s_delay_alu instid0(VALU_DEP_3) | instskip(SKIP_2) | instid1(VALU_DEP_3)
	v_pk_fma_f32 v[6:7], v[8:9], v[20:21], v[6:7] op_sel_hi:[1,0,1]
	v_pk_fma_f32 v[8:9], v[34:35], v[20:21], v[14:15] op_sel_hi:[1,0,1]
	v_cvt_f32_f16_e32 v14, v17
	v_pk_fma_f32 v[6:7], v[10:11], v[16:17], v[6:7] op_sel_hi:[1,0,1]
	s_delay_alu instid0(VALU_DEP_3) | instskip(NEXT) | instid1(VALU_DEP_2)
	v_pk_fma_f32 v[10:11], v[36:37], v[16:17], v[8:9] op_sel_hi:[1,0,1]
	v_pk_fma_f32 v[8:9], v[12:13], v[14:15], v[6:7] op_sel_hi:[1,0,1]
	s_delay_alu instid0(VALU_DEP_2)
	v_pk_fma_f32 v[6:7], v[38:39], v[14:15], v[10:11] op_sel_hi:[1,0,1]
	s_and_not1_b32 exec_lo, exec_lo, s6
	s_cbranch_execnz .LBB94_33
; %bb.34:
	s_or_b32 exec_lo, exec_lo, s6
.LBB94_35:
	s_delay_alu instid0(SALU_CYCLE_1)
	s_or_b32 exec_lo, exec_lo, s2
.LBB94_36:
	s_delay_alu instid0(SALU_CYCLE_1)
	s_or_b32 exec_lo, exec_lo, s3
.LBB94_37:
	v_mbcnt_lo_u32_b32 v10, -1, 0
	s_mov_b32 s2, -1
	s_delay_alu instid0(VALU_DEP_1) | instskip(SKIP_1) | instid1(VALU_DEP_1)
	v_xor_b32_e32 v11, 16, v10
	v_or_b32_e32 v0, 32, v10
	v_cmp_gt_i32_e32 vcc_lo, 32, v0
	v_cndmask_b32_e32 v0, v10, v0, vcc_lo
	s_delay_alu instid0(VALU_DEP_4) | instskip(SKIP_1) | instid1(VALU_DEP_1)
	v_cmp_gt_i32_e32 vcc_lo, 32, v11
	v_cndmask_b32_e32 v11, v10, v11, vcc_lo
	v_dual_lshlrev_b32 v11, 2, v11 :: v_dual_lshlrev_b32 v5, 2, v0
	ds_bpermute_b32 v0, v5, v8
	ds_bpermute_b32 v1, v5, v9
	;; [unrolled: 1-line block ×4, first 2 shown]
	s_wait_dscnt 0x2
	v_pk_add_f32 v[0:1], v[8:9], v[0:1]
	s_wait_dscnt 0x0
	v_pk_add_f32 v[4:5], v[6:7], v[4:5]
	ds_bpermute_b32 v6, v11, v0
	ds_bpermute_b32 v7, v11, v1
	ds_bpermute_b32 v8, v11, v4
	ds_bpermute_b32 v9, v11, v5
	v_xor_b32_e32 v11, 8, v10
	s_delay_alu instid0(VALU_DEP_1) | instskip(SKIP_1) | instid1(VALU_DEP_1)
	v_cmp_gt_i32_e32 vcc_lo, 32, v11
	v_cndmask_b32_e32 v11, v10, v11, vcc_lo
	v_lshlrev_b32_e32 v11, 2, v11
	s_wait_dscnt 0x2
	v_pk_add_f32 v[0:1], v[0:1], v[6:7]
	s_wait_dscnt 0x0
	v_pk_add_f32 v[4:5], v[4:5], v[8:9]
	ds_bpermute_b32 v6, v11, v0
	ds_bpermute_b32 v7, v11, v1
	ds_bpermute_b32 v8, v11, v4
	ds_bpermute_b32 v9, v11, v5
	v_xor_b32_e32 v11, 4, v10
	s_delay_alu instid0(VALU_DEP_1) | instskip(SKIP_1) | instid1(VALU_DEP_1)
	v_cmp_gt_i32_e32 vcc_lo, 32, v11
	v_cndmask_b32_e32 v11, v10, v11, vcc_lo
	v_lshlrev_b32_e32 v11, 2, v11
	;; [unrolled: 13-line block ×3, first 2 shown]
	s_wait_dscnt 0x2
	v_pk_add_f32 v[0:1], v[0:1], v[6:7]
	s_wait_dscnt 0x0
	v_pk_add_f32 v[4:5], v[4:5], v[8:9]
	ds_bpermute_b32 v6, v11, v0
	ds_bpermute_b32 v7, v11, v1
	;; [unrolled: 1-line block ×4, first 2 shown]
	v_xor_b32_e32 v11, 1, v10
	s_delay_alu instid0(VALU_DEP_1) | instskip(SKIP_2) | instid1(VALU_DEP_2)
	v_cmp_gt_i32_e32 vcc_lo, 32, v11
	v_cndmask_b32_e32 v10, v10, v11, vcc_lo
	v_cmp_eq_u32_e32 vcc_lo, 63, v3
	v_lshlrev_b32_e32 v10, 2, v10
	s_wait_dscnt 0x2
	v_pk_add_f32 v[0:1], v[0:1], v[6:7]
	s_wait_dscnt 0x0
	v_pk_add_f32 v[6:7], v[4:5], v[8:9]
	ds_bpermute_b32 v4, v10, v0
	ds_bpermute_b32 v5, v10, v1
	;; [unrolled: 1-line block ×4, first 2 shown]
	s_and_b32 exec_lo, exec_lo, vcc_lo
	s_cbranch_execz .LBB94_10
; %bb.38:
	s_load_b64 s[0:1], s[0:1], 0x50
	s_wait_dscnt 0x2
	v_pk_add_f32 v[4:5], v[0:1], v[4:5]
	s_wait_dscnt 0x0
	v_pk_add_f32 v[0:1], v[6:7], v[8:9]
	v_lshlrev_b32_e32 v2, 2, v2
	s_cmp_eq_f32 s14, 0
	s_cbranch_scc0 .LBB94_40
; %bb.39:
	s_delay_alu instid0(VALU_DEP_1)
	v_ashrrev_i32_e32 v3, 31, v2
	v_pk_mul_f32 v[6:7], s[12:13], v[4:5] op_sel_hi:[0,1]
	v_pk_mul_f32 v[8:9], s[12:13], v[0:1] op_sel_hi:[0,1]
	s_mov_b32 s2, 0
	s_wait_kmcnt 0x0
	v_lshl_add_u64 v[10:11], v[2:3], 2, s[0:1]
	global_store_b128 v[10:11], v[6:9], off
.LBB94_40:
	s_and_not1_b32 vcc_lo, exec_lo, s2
	s_cbranch_vccnz .LBB94_10
; %bb.41:
	v_ashrrev_i32_e32 v3, 31, v2
	s_wait_kmcnt 0x0
	s_delay_alu instid0(VALU_DEP_1)
	v_lshl_add_u64 v[10:11], v[2:3], 2, s[0:1]
	v_pk_mul_f32 v[2:3], s[12:13], v[4:5] op_sel_hi:[0,1]
	v_pk_mul_f32 v[4:5], s[12:13], v[0:1] op_sel_hi:[0,1]
	global_load_b128 v[6:9], v[10:11], off
	s_wait_loadcnt 0x0
	v_pk_fma_f32 v[0:1], s[14:15], v[6:7], v[2:3] op_sel_hi:[0,1,1]
	v_pk_fma_f32 v[2:3], s[14:15], v[8:9], v[4:5] op_sel_hi:[0,1,1]
	global_store_b128 v[10:11], v[0:3], off
	s_sendmsg sendmsg(MSG_DEALLOC_VGPRS)
	s_endpgm
	.section	.rodata,"a",@progbits
	.p2align	6, 0x0
	.amdhsa_kernel _ZN9rocsparseL18bsrxmvn_4x4_kernelILj128ELj64EfiiDF16_DF16_fEEvT3_20rocsparse_direction_NS_24const_host_device_scalarIT1_EES1_PKS1_PKT2_SA_S7_PKT4_PKT5_S5_PT6_21rocsparse_index_base_b
		.amdhsa_group_segment_fixed_size 0
		.amdhsa_private_segment_fixed_size 0
		.amdhsa_kernarg_size 96
		.amdhsa_user_sgpr_count 2
		.amdhsa_user_sgpr_dispatch_ptr 0
		.amdhsa_user_sgpr_queue_ptr 0
		.amdhsa_user_sgpr_kernarg_segment_ptr 1
		.amdhsa_user_sgpr_dispatch_id 0
		.amdhsa_user_sgpr_kernarg_preload_length 0
		.amdhsa_user_sgpr_kernarg_preload_offset 0
		.amdhsa_user_sgpr_private_segment_size 0
		.amdhsa_wavefront_size32 1
		.amdhsa_uses_dynamic_stack 0
		.amdhsa_enable_private_segment 0
		.amdhsa_system_sgpr_workgroup_id_x 1
		.amdhsa_system_sgpr_workgroup_id_y 0
		.amdhsa_system_sgpr_workgroup_id_z 0
		.amdhsa_system_sgpr_workgroup_info 0
		.amdhsa_system_vgpr_workitem_id 0
		.amdhsa_next_free_vgpr 77
		.amdhsa_next_free_sgpr 18
		.amdhsa_named_barrier_count 0
		.amdhsa_reserve_vcc 1
		.amdhsa_float_round_mode_32 0
		.amdhsa_float_round_mode_16_64 0
		.amdhsa_float_denorm_mode_32 3
		.amdhsa_float_denorm_mode_16_64 3
		.amdhsa_fp16_overflow 0
		.amdhsa_memory_ordered 1
		.amdhsa_forward_progress 1
		.amdhsa_inst_pref_size 38
		.amdhsa_round_robin_scheduling 0
		.amdhsa_exception_fp_ieee_invalid_op 0
		.amdhsa_exception_fp_denorm_src 0
		.amdhsa_exception_fp_ieee_div_zero 0
		.amdhsa_exception_fp_ieee_overflow 0
		.amdhsa_exception_fp_ieee_underflow 0
		.amdhsa_exception_fp_ieee_inexact 0
		.amdhsa_exception_int_div_zero 0
	.end_amdhsa_kernel
	.section	.text._ZN9rocsparseL18bsrxmvn_4x4_kernelILj128ELj64EfiiDF16_DF16_fEEvT3_20rocsparse_direction_NS_24const_host_device_scalarIT1_EES1_PKS1_PKT2_SA_S7_PKT4_PKT5_S5_PT6_21rocsparse_index_base_b,"axG",@progbits,_ZN9rocsparseL18bsrxmvn_4x4_kernelILj128ELj64EfiiDF16_DF16_fEEvT3_20rocsparse_direction_NS_24const_host_device_scalarIT1_EES1_PKS1_PKT2_SA_S7_PKT4_PKT5_S5_PT6_21rocsparse_index_base_b,comdat
.Lfunc_end94:
	.size	_ZN9rocsparseL18bsrxmvn_4x4_kernelILj128ELj64EfiiDF16_DF16_fEEvT3_20rocsparse_direction_NS_24const_host_device_scalarIT1_EES1_PKS1_PKT2_SA_S7_PKT4_PKT5_S5_PT6_21rocsparse_index_base_b, .Lfunc_end94-_ZN9rocsparseL18bsrxmvn_4x4_kernelILj128ELj64EfiiDF16_DF16_fEEvT3_20rocsparse_direction_NS_24const_host_device_scalarIT1_EES1_PKS1_PKT2_SA_S7_PKT4_PKT5_S5_PT6_21rocsparse_index_base_b
                                        ; -- End function
	.set _ZN9rocsparseL18bsrxmvn_4x4_kernelILj128ELj64EfiiDF16_DF16_fEEvT3_20rocsparse_direction_NS_24const_host_device_scalarIT1_EES1_PKS1_PKT2_SA_S7_PKT4_PKT5_S5_PT6_21rocsparse_index_base_b.num_vgpr, 77
	.set _ZN9rocsparseL18bsrxmvn_4x4_kernelILj128ELj64EfiiDF16_DF16_fEEvT3_20rocsparse_direction_NS_24const_host_device_scalarIT1_EES1_PKS1_PKT2_SA_S7_PKT4_PKT5_S5_PT6_21rocsparse_index_base_b.num_agpr, 0
	.set _ZN9rocsparseL18bsrxmvn_4x4_kernelILj128ELj64EfiiDF16_DF16_fEEvT3_20rocsparse_direction_NS_24const_host_device_scalarIT1_EES1_PKS1_PKT2_SA_S7_PKT4_PKT5_S5_PT6_21rocsparse_index_base_b.numbered_sgpr, 18
	.set _ZN9rocsparseL18bsrxmvn_4x4_kernelILj128ELj64EfiiDF16_DF16_fEEvT3_20rocsparse_direction_NS_24const_host_device_scalarIT1_EES1_PKS1_PKT2_SA_S7_PKT4_PKT5_S5_PT6_21rocsparse_index_base_b.num_named_barrier, 0
	.set _ZN9rocsparseL18bsrxmvn_4x4_kernelILj128ELj64EfiiDF16_DF16_fEEvT3_20rocsparse_direction_NS_24const_host_device_scalarIT1_EES1_PKS1_PKT2_SA_S7_PKT4_PKT5_S5_PT6_21rocsparse_index_base_b.private_seg_size, 0
	.set _ZN9rocsparseL18bsrxmvn_4x4_kernelILj128ELj64EfiiDF16_DF16_fEEvT3_20rocsparse_direction_NS_24const_host_device_scalarIT1_EES1_PKS1_PKT2_SA_S7_PKT4_PKT5_S5_PT6_21rocsparse_index_base_b.uses_vcc, 1
	.set _ZN9rocsparseL18bsrxmvn_4x4_kernelILj128ELj64EfiiDF16_DF16_fEEvT3_20rocsparse_direction_NS_24const_host_device_scalarIT1_EES1_PKS1_PKT2_SA_S7_PKT4_PKT5_S5_PT6_21rocsparse_index_base_b.uses_flat_scratch, 0
	.set _ZN9rocsparseL18bsrxmvn_4x4_kernelILj128ELj64EfiiDF16_DF16_fEEvT3_20rocsparse_direction_NS_24const_host_device_scalarIT1_EES1_PKS1_PKT2_SA_S7_PKT4_PKT5_S5_PT6_21rocsparse_index_base_b.has_dyn_sized_stack, 0
	.set _ZN9rocsparseL18bsrxmvn_4x4_kernelILj128ELj64EfiiDF16_DF16_fEEvT3_20rocsparse_direction_NS_24const_host_device_scalarIT1_EES1_PKS1_PKT2_SA_S7_PKT4_PKT5_S5_PT6_21rocsparse_index_base_b.has_recursion, 0
	.set _ZN9rocsparseL18bsrxmvn_4x4_kernelILj128ELj64EfiiDF16_DF16_fEEvT3_20rocsparse_direction_NS_24const_host_device_scalarIT1_EES1_PKS1_PKT2_SA_S7_PKT4_PKT5_S5_PT6_21rocsparse_index_base_b.has_indirect_call, 0
	.section	.AMDGPU.csdata,"",@progbits
; Kernel info:
; codeLenInByte = 4760
; TotalNumSgprs: 20
; NumVgprs: 77
; ScratchSize: 0
; MemoryBound: 0
; FloatMode: 240
; IeeeMode: 1
; LDSByteSize: 0 bytes/workgroup (compile time only)
; SGPRBlocks: 0
; VGPRBlocks: 4
; NumSGPRsForWavesPerEU: 20
; NumVGPRsForWavesPerEU: 77
; NamedBarCnt: 0
; Occupancy: 12
; WaveLimiterHint : 1
; COMPUTE_PGM_RSRC2:SCRATCH_EN: 0
; COMPUTE_PGM_RSRC2:USER_SGPR: 2
; COMPUTE_PGM_RSRC2:TRAP_HANDLER: 0
; COMPUTE_PGM_RSRC2:TGID_X_EN: 1
; COMPUTE_PGM_RSRC2:TGID_Y_EN: 0
; COMPUTE_PGM_RSRC2:TGID_Z_EN: 0
; COMPUTE_PGM_RSRC2:TIDIG_COMP_CNT: 0
	.section	.text._ZN9rocsparseL18bsrxmvn_4x4_kernelILj128ELj4EfliDF16_DF16_fEEvT3_20rocsparse_direction_NS_24const_host_device_scalarIT1_EES1_PKS1_PKT2_SA_S7_PKT4_PKT5_S5_PT6_21rocsparse_index_base_b,"axG",@progbits,_ZN9rocsparseL18bsrxmvn_4x4_kernelILj128ELj4EfliDF16_DF16_fEEvT3_20rocsparse_direction_NS_24const_host_device_scalarIT1_EES1_PKS1_PKT2_SA_S7_PKT4_PKT5_S5_PT6_21rocsparse_index_base_b,comdat
	.globl	_ZN9rocsparseL18bsrxmvn_4x4_kernelILj128ELj4EfliDF16_DF16_fEEvT3_20rocsparse_direction_NS_24const_host_device_scalarIT1_EES1_PKS1_PKT2_SA_S7_PKT4_PKT5_S5_PT6_21rocsparse_index_base_b ; -- Begin function _ZN9rocsparseL18bsrxmvn_4x4_kernelILj128ELj4EfliDF16_DF16_fEEvT3_20rocsparse_direction_NS_24const_host_device_scalarIT1_EES1_PKS1_PKT2_SA_S7_PKT4_PKT5_S5_PT6_21rocsparse_index_base_b
	.p2align	8
	.type	_ZN9rocsparseL18bsrxmvn_4x4_kernelILj128ELj4EfliDF16_DF16_fEEvT3_20rocsparse_direction_NS_24const_host_device_scalarIT1_EES1_PKS1_PKT2_SA_S7_PKT4_PKT5_S5_PT6_21rocsparse_index_base_b,@function
_ZN9rocsparseL18bsrxmvn_4x4_kernelILj128ELj4EfliDF16_DF16_fEEvT3_20rocsparse_direction_NS_24const_host_device_scalarIT1_EES1_PKS1_PKT2_SA_S7_PKT4_PKT5_S5_PT6_21rocsparse_index_base_b: ; @_ZN9rocsparseL18bsrxmvn_4x4_kernelILj128ELj4EfliDF16_DF16_fEEvT3_20rocsparse_direction_NS_24const_host_device_scalarIT1_EES1_PKS1_PKT2_SA_S7_PKT4_PKT5_S5_PT6_21rocsparse_index_base_b
; %bb.0:
	s_clause 0x2
	s_load_b64 s[16:17], s[0:1], 0x58
	s_load_b64 s[12:13], s[0:1], 0x8
	s_load_b64 s[14:15], s[0:1], 0x48
	s_wait_kmcnt 0x0
	s_bitcmp1_b32 s17, 0
	s_cselect_b32 s2, -1, 0
	s_delay_alu instid0(SALU_CYCLE_1)
	s_and_b32 vcc_lo, exec_lo, s2
	s_xor_b32 s2, s2, -1
	s_cbranch_vccnz .LBB95_2
; %bb.1:
	s_load_b32 s12, s[12:13], 0x0
.LBB95_2:
	s_and_not1_b32 vcc_lo, exec_lo, s2
	s_cbranch_vccnz .LBB95_4
; %bb.3:
	s_load_b32 s14, s[14:15], 0x0
.LBB95_4:
	s_wait_kmcnt 0x0
	s_cmp_neq_f32 s12, 0
	s_mov_b32 s6, 0
	s_cselect_b32 s2, -1, 0
	s_cmp_neq_f32 s14, 1.0
	s_cselect_b32 s3, -1, 0
	s_delay_alu instid0(SALU_CYCLE_1) | instskip(NEXT) | instid1(SALU_CYCLE_1)
	s_or_b32 s2, s2, s3
	s_and_not1_b32 vcc_lo, exec_lo, s2
	s_cbranch_vccnz .LBB95_10
; %bb.5:
	s_clause 0x1
	s_load_b64 s[4:5], s[0:1], 0x18
	s_load_b64 s[2:3], s[0:1], 0x0
	s_bfe_u32 s7, ttmp6, 0x4000c
	s_and_b32 s8, ttmp6, 15
	s_add_co_i32 s7, s7, 1
	s_getreg_b32 s9, hwreg(HW_REG_IB_STS2, 6, 4)
	s_mul_i32 s7, ttmp9, s7
	v_lshrrev_b32_e32 v1, 2, v0
	s_add_co_i32 s8, s8, s7
	s_cmp_eq_u32 s9, 0
	s_cselect_b32 s7, ttmp9, s8
	s_delay_alu instid0(VALU_DEP_1) | instid1(SALU_CYCLE_1)
	v_lshl_or_b32 v2, s7, 5, v1
	s_wait_kmcnt 0x0
	s_cmp_lg_u64 s[4:5], 0
	s_cbranch_scc0 .LBB95_11
; %bb.6:
	s_load_b32 s6, s[0:1], 0x10
	s_mov_b32 s7, 0
                                        ; implicit-def: $vgpr1
	s_wait_kmcnt 0x0
	v_cmp_gt_i32_e32 vcc_lo, s6, v2
	s_mov_b32 s6, 0
	s_and_saveexec_b32 s8, vcc_lo
	s_delay_alu instid0(SALU_CYCLE_1)
	s_xor_b32 s8, exec_lo, s8
	s_cbranch_execz .LBB95_8
; %bb.7:
	global_load_b32 v1, v2, s[4:5] scale_offset
	s_mov_b32 s6, exec_lo
	s_wait_loadcnt 0x0
	v_subrev_nc_u32_e32 v1, s16, v1
.LBB95_8:
	s_or_b32 exec_lo, exec_lo, s8
	s_delay_alu instid0(SALU_CYCLE_1)
	s_and_b32 vcc_lo, exec_lo, s7
	s_cbranch_vccz .LBB95_12
.LBB95_9:
	v_cmp_gt_i32_e32 vcc_lo, s2, v2
	s_and_not1_b32 s2, s6, exec_lo
	s_and_b32 s4, vcc_lo, exec_lo
	s_delay_alu instid0(SALU_CYCLE_1) | instskip(NEXT) | instid1(SALU_CYCLE_1)
	s_or_b32 s6, s2, s4
	s_and_saveexec_b32 s2, s6
	s_cbranch_execnz .LBB95_13
.LBB95_10:
	s_sendmsg sendmsg(MSG_DEALLOC_VGPRS)
	s_endpgm
.LBB95_11:
                                        ; implicit-def: $vgpr1
	s_cbranch_execnz .LBB95_9
.LBB95_12:
	s_delay_alu instid0(VALU_DEP_1)
	v_mov_b32_e32 v2, v1
	s_and_saveexec_b32 s2, s6
	s_cbranch_execz .LBB95_10
.LBB95_13:
	s_load_b256 s[4:11], s[0:1], 0x20
	s_mov_b32 s17, 0
	v_dual_mov_b32 v1, 0 :: v_dual_bitop2_b32 v0, 3, v0 bitop3:0x40
	s_wait_kmcnt 0x0
	s_cmp_eq_u64 s[6:7], 0
	global_load_b64 v[14:15], v2, s[4:5] scale_offset
	s_cselect_b32 vcc_lo, -1, 0
	v_ashrrev_i32_e32 v3, 31, v2
	s_cmp_eq_u32 s3, 1
	s_delay_alu instid0(VALU_DEP_1) | instskip(NEXT) | instid1(VALU_DEP_1)
	v_lshlrev_b64_e32 v[4:5], 3, v[2:3]
	v_add_nc_u64_e32 v[6:7], s[4:5], v[4:5]
	v_add_nc_u64_e32 v[4:5], s[6:7], v[4:5]
	s_wait_xcnt 0x0
	s_load_b64 s[4:5], s[0:1], 0x40
	s_delay_alu instid0(VALU_DEP_2) | instskip(NEXT) | instid1(VALU_DEP_1)
	v_add_nc_u64_e32 v[6:7], 8, v[6:7]
	v_dual_cndmask_b32 v5, v5, v7 :: v_dual_cndmask_b32 v4, v4, v6
	global_load_b64 v[6:7], v[4:5], off
	s_wait_loadcnt 0x1
	s_wait_xcnt 0x0
	v_sub_nc_u64_e64 v[4:5], v[14:15], s[16:17]
	s_delay_alu instid0(VALU_DEP_1) | instskip(NEXT) | instid1(VALU_DEP_1)
	v_add_nc_u64_e32 v[4:5], v[4:5], v[0:1]
	v_lshlrev_b64_e32 v[8:9], 5, v[4:5]
	s_delay_alu instid0(VALU_DEP_1) | instskip(SKIP_2) | instid1(VALU_DEP_1)
	v_add_nc_u64_e32 v[8:9], s[10:11], v[8:9]
	s_wait_loadcnt 0x0
	v_sub_nc_u64_e64 v[6:7], v[6:7], s[16:17]
	v_cmp_lt_i64_e64 s2, v[4:5], v[6:7]
	s_cbranch_scc1 .LBB95_25
; %bb.14:
	v_dual_mov_b32 v13, v1 :: v_dual_mov_b32 v12, v1
	v_dual_mov_b32 v11, v1 :: v_dual_mov_b32 v10, v1
	s_and_saveexec_b32 s3, s2
	s_cbranch_execz .LBB95_24
; %bb.15:
	v_dual_mov_b32 v11, v1 :: v_dual_bitop2_b32 v10, 4, v0 bitop3:0x54
	v_sub_nc_u64_e32 v[12:13], s[16:17], v[0:1]
	v_not_b32_e32 v17, v15
	v_not_b32_e32 v16, v14
	v_mov_b64_e32 v[18:19], v[8:9]
	v_sub_nc_u64_e64 v[10:11], v[10:11], s[16:17]
	s_delay_alu instid0(VALU_DEP_3) | instskip(SKIP_1) | instid1(VALU_DEP_3)
	v_add_nc_u64_e32 v[12:13], v[12:13], v[16:17]
	v_mov_b64_e32 v[16:17], v[4:5]
	v_add_nc_u64_e32 v[10:11], v[10:11], v[14:15]
	s_delay_alu instid0(VALU_DEP_1) | instskip(NEXT) | instid1(VALU_DEP_1)
	v_max_i64 v[10:11], v[10:11], v[6:7]
	v_add_nc_u64_e32 v[20:21], v[12:13], v[10:11]
	s_delay_alu instid0(VALU_DEP_1) | instskip(NEXT) | instid1(VALU_DEP_1)
	v_dual_mov_b32 v11, 0 :: v_dual_bitop2_b32 v10, 12, v20 bitop3:0x40
	v_dual_mov_b32 v12, v11 :: v_dual_mov_b32 v13, v11
	s_delay_alu instid0(VALU_DEP_2)
	v_cmp_ne_u64_e32 vcc_lo, 12, v[10:11]
	v_mov_b32_e32 v10, v11
	s_and_saveexec_b32 s6, vcc_lo
	s_cbranch_execz .LBB95_19
; %bb.16:
	v_dual_lshrrev_b32 v3, 2, v20 :: v_dual_mov_b32 v11, 0
	v_mov_b64_e32 v[18:19], v[8:9]
	v_mov_b64_e32 v[16:17], v[4:5]
	v_lshl_add_u64 v[22:23], v[4:5], 2, s[8:9]
	s_delay_alu instid0(VALU_DEP_4) | instskip(SKIP_1) | instid1(VALU_DEP_1)
	v_dual_add_nc_u32 v3, 1, v3 :: v_dual_mov_b32 v13, v11
	s_mov_b32 s7, 0
	v_dual_mov_b32 v12, v11 :: v_dual_bitop2_b32 v10, 3, v3 bitop3:0x40
	s_delay_alu instid0(VALU_DEP_1)
	v_sub_nc_u64_e32 v[24:25], 0, v[10:11]
	v_mov_b32_e32 v10, v11
.LBB95_17:                              ; =>This Inner Loop Header: Depth=1
	global_load_b32 v3, v[22:23], off
	global_load_b128 v[26:29], v[18:19], off
	v_add_nc_u64_e32 v[24:25], 1, v[24:25]
	v_add_nc_u64_e32 v[16:17], 4, v[16:17]
	s_wait_xcnt 0x1
	v_add_nc_u64_e32 v[22:23], 16, v[22:23]
	s_delay_alu instid0(VALU_DEP_3)
	v_cmp_eq_u64_e32 vcc_lo, 0, v[24:25]
	s_or_b32 s7, vcc_lo, s7
	s_wait_loadcnt 0x1
	v_subrev_nc_u32_e32 v3, s16, v3
	s_wait_loadcnt 0x0
	v_dual_lshrrev_b32 v42, 16, v27 :: v_dual_lshrrev_b32 v41, 16, v29
	v_cvt_f32_f16_e32 v39, v29
	v_cvt_f32_f16_e32 v38, v27
	v_dual_lshlrev_b32 v30, 2, v3 :: v_dual_lshrrev_b32 v3, 16, v26
	s_delay_alu instid0(VALU_DEP_1) | instskip(SKIP_1) | instid1(VALU_DEP_1)
	v_dual_lshrrev_b32 v40, 16, v28 :: v_dual_ashrrev_i32 v31, 31, v30
	s_wait_kmcnt 0x0
	v_lshl_add_u64 v[34:35], v[30:31], 1, s[4:5]
	global_load_b128 v[30:33], v[18:19], off offset:16
	global_load_b64 v[36:37], v[34:35], off
	s_wait_xcnt 0x0
	v_cvt_f32_f16_e32 v35, v28
	v_cvt_f32_f16_e32 v34, v26
	v_add_nc_u64_e32 v[18:19], 0x80, v[18:19]
	s_wait_loadcnt 0x1
	v_cvt_f32_f16_e32 v27, v32
	v_cvt_f32_f16_e32 v26, v30
	v_dual_lshrrev_b32 v43, 16, v30 :: v_dual_lshrrev_b32 v44, 16, v32
	v_cvt_f32_f16_e32 v29, v33
	v_dual_lshrrev_b32 v45, 16, v31 :: v_dual_lshrrev_b32 v46, 16, v33
	v_cvt_f32_f16_e32 v30, v3
	v_cvt_f32_f16_e32 v33, v41
	s_wait_loadcnt 0x0
	v_lshrrev_b32_e32 v3, 16, v36
	v_cvt_f32_f16_e32 v32, v36
	v_cvt_f32_f16_e32 v28, v31
	;; [unrolled: 1-line block ×6, first 2 shown]
	v_pk_fma_f32 v[10:11], v[34:35], v[32:33], v[10:11] op_sel_hi:[1,0,1]
	v_pk_fma_f32 v[12:13], v[26:27], v[32:33], v[12:13] op_sel_hi:[1,0,1]
	v_lshrrev_b32_e32 v3, 16, v37
	v_cvt_f32_f16_e32 v26, v37
	v_cvt_f32_f16_e32 v32, v42
	v_pk_fma_f32 v[10:11], v[30:31], v[36:37], v[10:11] op_sel_hi:[1,0,1]
	v_pk_fma_f32 v[12:13], v[40:41], v[36:37], v[12:13] op_sel_hi:[1,0,1]
	v_cvt_f32_f16_e32 v31, v46
	v_cvt_f32_f16_e32 v30, v45
	;; [unrolled: 1-line block ×3, first 2 shown]
	v_pk_fma_f32 v[10:11], v[38:39], v[26:27], v[10:11] op_sel_hi:[1,0,1]
	v_pk_fma_f32 v[12:13], v[28:29], v[26:27], v[12:13] op_sel_hi:[1,0,1]
	s_delay_alu instid0(VALU_DEP_2) | instskip(NEXT) | instid1(VALU_DEP_2)
	v_pk_fma_f32 v[10:11], v[32:33], v[34:35], v[10:11] op_sel_hi:[1,0,1]
	v_pk_fma_f32 v[12:13], v[30:31], v[34:35], v[12:13] op_sel_hi:[1,0,1]
	s_and_not1_b32 exec_lo, exec_lo, s7
	s_cbranch_execnz .LBB95_17
; %bb.18:
	s_or_b32 exec_lo, exec_lo, s7
.LBB95_19:
	s_delay_alu instid0(SALU_CYCLE_1) | instskip(NEXT) | instid1(SALU_CYCLE_1)
	s_or_b32 exec_lo, exec_lo, s6
	s_mov_b32 s6, exec_lo
	v_cmpx_lt_u64_e32 11, v[20:21]
	s_cbranch_execz .LBB95_23
; %bb.20:
	v_lshl_add_u64 v[20:21], v[16:17], 2, s[8:9]
	s_mov_b32 s7, 0
	s_delay_alu instid0(VALU_DEP_1)
	v_add_nc_u64_e32 v[20:21], 32, v[20:21]
.LBB95_21:                              ; =>This Inner Loop Header: Depth=1
	global_load_b32 v3, v[20:21], off offset:-32
	s_clause 0x3
	global_load_b128 v[22:25], v[18:19], off offset:256
	global_load_b128 v[26:29], v[18:19], off
	global_load_b128 v[30:33], v[18:19], off offset:128
	global_load_b128 v[34:37], v[18:19], off offset:16
	s_clause 0x2
	global_load_b32 v52, v[20:21], off offset:-16
	global_load_b32 v53, v[20:21], off
	global_load_b32 v54, v[20:21], off offset:16
	s_clause 0x1
	global_load_b128 v[38:41], v[18:19], off offset:144
	global_load_b128 v[42:45], v[18:19], off offset:272
	v_add_nc_u64_e32 v[16:17], 16, v[16:17]
	s_wait_xcnt 0x2
	v_add_nc_u64_e32 v[20:21], 64, v[20:21]
	s_delay_alu instid0(VALU_DEP_2)
	v_cmp_ge_i64_e32 vcc_lo, v[16:17], v[6:7]
	s_or_b32 s7, vcc_lo, s7
	s_wait_loadcnt 0x9
	v_subrev_nc_u32_e32 v3, s16, v3
	s_wait_loadcnt 0x8
	v_dual_lshrrev_b32 v72, 16, v24 :: v_dual_lshrrev_b32 v73, 16, v22
	s_wait_loadcnt 0x7
	v_cvt_f32_f16_e32 v51, v29
	v_dual_lshrrev_b32 v66, 16, v27 :: v_dual_lshrrev_b32 v67, 16, v29
	s_wait_loadcnt 0x6
	v_cvt_f32_f16_e32 v29, v33
	v_dual_lshrrev_b32 v70, 16, v31 :: v_dual_lshrrev_b32 v71, 16, v33
	s_wait_loadcnt 0x4
	v_subrev_nc_u32_e32 v33, s16, v52
	v_cvt_f32_f16_e32 v49, v28
	v_dual_lshrrev_b32 v64, 16, v26 :: v_dual_lshrrev_b32 v65, 16, v28
	v_cvt_f32_f16_e32 v28, v31
	v_cvt_f32_f16_e32 v31, v24
	;; [unrolled: 1-line block ×3, first 2 shown]
	v_dual_lshrrev_b32 v76, 16, v35 :: v_dual_lshrrev_b32 v77, 16, v37
	s_wait_loadcnt 0x3
	v_subrev_nc_u32_e32 v35, s16, v53
	v_dual_lshrrev_b32 v62, 16, v23 :: v_dual_lshrrev_b32 v63, 16, v25
	v_cvt_f32_f16_e32 v47, v25
	v_cvt_f32_f16_e32 v25, v37
	s_wait_loadcnt 0x2
	v_subrev_nc_u32_e32 v37, s16, v54
	v_cvt_f32_f16_e32 v50, v27
	v_cvt_f32_f16_e32 v27, v32
	v_dual_lshrrev_b32 v68, 16, v30 :: v_dual_lshrrev_b32 v69, 16, v32
	v_lshlrev_b32_e32 v32, 2, v3
	v_cvt_f32_f16_e32 v48, v26
	v_cvt_f32_f16_e32 v26, v30
	;; [unrolled: 1-line block ×4, first 2 shown]
	v_dual_lshrrev_b32 v74, 16, v34 :: v_dual_lshrrev_b32 v75, 16, v36
	v_lshlrev_b32_e32 v34, 2, v33
	v_cvt_f32_f16_e32 v46, v23
	v_cvt_f32_f16_e32 v23, v36
	v_dual_lshlrev_b32 v36, 2, v35 :: v_dual_lshlrev_b32 v52, 2, v37
	s_delay_alu instid0(VALU_DEP_4) | instskip(SKIP_1) | instid1(VALU_DEP_2)
	v_dual_ashrrev_i32 v33, 31, v32 :: v_dual_ashrrev_i32 v35, 31, v34
	s_wait_loadcnt 0x1
	v_dual_lshrrev_b32 v3, 16, v38 :: v_dual_ashrrev_i32 v37, 31, v36
	s_delay_alu instid0(VALU_DEP_3)
	v_ashrrev_i32_e32 v53, 31, v52
	s_wait_kmcnt 0x0
	v_lshl_add_u64 v[32:33], v[32:33], 1, s[4:5]
	v_lshl_add_u64 v[34:35], v[34:35], 1, s[4:5]
	;; [unrolled: 1-line block ×4, first 2 shown]
	s_clause 0x3
	global_load_b64 v[54:55], v[32:33], off
	global_load_b64 v[56:57], v[34:35], off
	;; [unrolled: 1-line block ×4, first 2 shown]
	s_wait_xcnt 0x2
	v_cvt_f32_f16_e32 v35, v41
	v_cvt_f32_f16_e32 v34, v39
	s_wait_loadcnt 0x4
	s_wait_xcnt 0x0
	v_dual_lshrrev_b32 v53, 16, v43 :: v_dual_lshrrev_b32 v52, 16, v41
	s_wait_loadcnt 0x3
	v_cvt_f32_f16_e32 v32, v54
	v_dual_lshrrev_b32 v36, 16, v54 :: v_dual_lshrrev_b32 v54, 16, v45
	s_delay_alu instid0(VALU_DEP_2)
	v_pk_fma_f32 v[10:11], v[48:49], v[32:33], v[10:11] op_sel_hi:[1,0,1]
	v_pk_fma_f32 v[12:13], v[22:23], v[32:33], v[12:13] op_sel_hi:[1,0,1]
	v_cvt_f32_f16_e32 v23, v65
	v_cvt_f32_f16_e32 v22, v64
	;; [unrolled: 1-line block ×4, first 2 shown]
	v_dual_lshrrev_b32 v48, 16, v40 :: v_dual_lshrrev_b32 v65, 16, v42
	v_cvt_f32_f16_e32 v32, v38
	s_delay_alu instid0(VALU_DEP_4)
	v_pk_fma_f32 v[10:11], v[22:23], v[36:37], v[10:11] op_sel_hi:[1,0,1]
	v_cvt_f32_f16_e32 v23, v75
	v_cvt_f32_f16_e32 v22, v74
	v_lshrrev_b32_e32 v49, 16, v39
	v_cvt_f32_f16_e32 v39, v44
	v_cvt_f32_f16_e32 v38, v42
	v_lshrrev_b32_e32 v64, 16, v44
	v_pk_fma_f32 v[12:13], v[22:23], v[36:37], v[12:13] op_sel_hi:[1,0,1]
	v_cvt_f32_f16_e32 v22, v55
	v_cvt_f32_f16_e32 v36, v43
	;; [unrolled: 1-line block ×5, first 2 shown]
	v_pk_fma_f32 v[40:41], v[50:51], v[22:23], v[10:11] op_sel_hi:[1,0,1]
	v_pk_fma_f32 v[22:23], v[24:25], v[22:23], v[12:13] op_sel_hi:[1,0,1]
	v_lshrrev_b32_e32 v24, 16, v55
	v_cvt_f32_f16_e32 v45, v77
	v_cvt_f32_f16_e32 v44, v76
	global_load_b128 v[10:13], v[18:19], off offset:384
	v_cvt_f32_f16_e32 v51, v64
	v_cvt_f32_f16_e32 v24, v24
	;; [unrolled: 1-line block ×3, first 2 shown]
	s_delay_alu instid0(VALU_DEP_2)
	v_pk_fma_f32 v[40:41], v[42:43], v[24:25], v[40:41] op_sel_hi:[1,0,1]
	v_pk_fma_f32 v[42:43], v[44:45], v[24:25], v[22:23] op_sel_hi:[1,0,1]
	global_load_b128 v[22:25], v[18:19], off offset:400
	s_wait_loadcnt 0x4
	v_cvt_f32_f16_e32 v44, v56
	s_wait_xcnt 0x0
	v_add_nc_u64_e32 v[18:19], 0x200, v[18:19]
	s_delay_alu instid0(VALU_DEP_2)
	v_pk_fma_f32 v[26:27], v[26:27], v[44:45], v[40:41] op_sel_hi:[1,0,1]
	v_pk_fma_f32 v[32:33], v[32:33], v[44:45], v[42:43] op_sel_hi:[1,0,1]
	s_wait_loadcnt 0x1
	v_cvt_f32_f16_e32 v41, v12
	v_dual_lshrrev_b32 v55, 16, v10 :: v_dual_lshrrev_b32 v66, 16, v12
	v_cvt_f32_f16_e32 v12, v3
	v_lshrrev_b32_e32 v3, 16, v56
	v_cvt_f32_f16_e32 v40, v10
	v_cvt_f32_f16_e32 v43, v13
	;; [unrolled: 1-line block ×3, first 2 shown]
	v_dual_lshrrev_b32 v67, 16, v11 :: v_dual_lshrrev_b32 v74, 16, v13
	v_cvt_f32_f16_e32 v11, v69
	v_cvt_f32_f16_e32 v10, v68
	v_cvt_f32_f16_e32 v13, v48
	s_wait_loadcnt 0x0
	v_lshrrev_b32_e32 v68, 16, v23
	v_cvt_f32_f16_e32 v44, v3
	v_dual_lshrrev_b32 v3, 16, v22 :: v_dual_lshrrev_b32 v56, 16, v24
	v_cvt_f32_f16_e32 v48, v57
	v_lshrrev_b32_e32 v69, 16, v25
	s_delay_alu instid0(VALU_DEP_4)
	v_pk_fma_f32 v[10:11], v[10:11], v[44:45], v[26:27] op_sel_hi:[1,0,1]
	v_cvt_f32_f16_e32 v27, v24
	v_pk_fma_f32 v[12:13], v[12:13], v[44:45], v[32:33] op_sel_hi:[1,0,1]
	v_cvt_f32_f16_e32 v24, v49
	v_lshrrev_b32_e32 v49, 16, v57
	v_cvt_f32_f16_e32 v26, v22
	v_cvt_f32_f16_e32 v33, v25
	;; [unrolled: 1-line block ×7, first 2 shown]
	v_pk_fma_f32 v[10:11], v[28:29], v[48:49], v[10:11] op_sel_hi:[1,0,1]
	v_pk_fma_f32 v[12:13], v[34:35], v[48:49], v[12:13] op_sel_hi:[1,0,1]
	v_lshrrev_b32_e32 v35, 16, v58
	v_cvt_f32_f16_e32 v34, v58
	v_cvt_f32_f16_e32 v45, v72
	v_pk_fma_f32 v[10:11], v[22:23], v[52:53], v[10:11] op_sel_hi:[1,0,1]
	v_pk_fma_f32 v[12:13], v[24:25], v[52:53], v[12:13] op_sel_hi:[1,0,1]
	v_cvt_f32_f16_e32 v44, v73
	v_cvt_f32_f16_e32 v24, v35
	;; [unrolled: 1-line block ×3, first 2 shown]
	v_pk_fma_f32 v[10:11], v[30:31], v[34:35], v[10:11] op_sel_hi:[1,0,1]
	v_pk_fma_f32 v[12:13], v[38:39], v[34:35], v[12:13] op_sel_hi:[1,0,1]
	v_lshrrev_b32_e32 v31, 16, v59
	v_cvt_f32_f16_e32 v30, v59
	v_cvt_f32_f16_e32 v28, v62
	v_pk_fma_f32 v[10:11], v[44:45], v[24:25], v[10:11] op_sel_hi:[1,0,1]
	v_pk_fma_f32 v[12:13], v[50:51], v[24:25], v[12:13] op_sel_hi:[1,0,1]
	v_cvt_f32_f16_e32 v25, v54
	v_cvt_f32_f16_e32 v24, v53
	v_cvt_f32_f16_e32 v34, v31
	v_pk_fma_f32 v[10:11], v[46:47], v[30:31], v[10:11] op_sel_hi:[1,0,1]
	v_pk_fma_f32 v[12:13], v[36:37], v[30:31], v[12:13] op_sel_hi:[1,0,1]
	v_lshrrev_b32_e32 v35, 16, v60
	v_cvt_f32_f16_e32 v31, v74
	v_cvt_f32_f16_e32 v30, v60
	;; [unrolled: 1-line block ×4, first 2 shown]
	v_pk_fma_f32 v[12:13], v[24:25], v[34:35], v[12:13] op_sel_hi:[1,0,1]
	v_cvt_f32_f16_e32 v24, v3
	v_lshrrev_b32_e32 v3, 16, v61
	v_pk_fma_f32 v[10:11], v[28:29], v[34:35], v[10:11] op_sel_hi:[1,0,1]
	v_cvt_f32_f16_e32 v25, v56
	v_cvt_f32_f16_e32 v28, v35
	v_pk_fma_f32 v[12:13], v[26:27], v[30:31], v[12:13] op_sel_hi:[1,0,1]
	v_cvt_f32_f16_e32 v26, v61
	v_pk_fma_f32 v[10:11], v[40:41], v[30:31], v[10:11] op_sel_hi:[1,0,1]
	v_cvt_f32_f16_e32 v30, v67
	s_delay_alu instid0(VALU_DEP_4) | instskip(SKIP_1) | instid1(VALU_DEP_4)
	v_pk_fma_f32 v[12:13], v[24:25], v[28:29], v[12:13] op_sel_hi:[1,0,1]
	v_cvt_f32_f16_e32 v24, v3
	v_pk_fma_f32 v[10:11], v[22:23], v[28:29], v[10:11] op_sel_hi:[1,0,1]
	v_cvt_f32_f16_e32 v23, v69
	v_cvt_f32_f16_e32 v22, v68
	v_pk_fma_f32 v[12:13], v[32:33], v[26:27], v[12:13] op_sel_hi:[1,0,1]
	s_delay_alu instid0(VALU_DEP_4) | instskip(NEXT) | instid1(VALU_DEP_2)
	v_pk_fma_f32 v[10:11], v[42:43], v[26:27], v[10:11] op_sel_hi:[1,0,1]
	v_pk_fma_f32 v[12:13], v[22:23], v[24:25], v[12:13] op_sel_hi:[1,0,1]
	s_delay_alu instid0(VALU_DEP_2)
	v_pk_fma_f32 v[10:11], v[30:31], v[24:25], v[10:11] op_sel_hi:[1,0,1]
	s_and_not1_b32 exec_lo, exec_lo, s7
	s_cbranch_execnz .LBB95_21
; %bb.22:
	s_or_b32 exec_lo, exec_lo, s7
.LBB95_23:
	s_delay_alu instid0(SALU_CYCLE_1)
	s_or_b32 exec_lo, exec_lo, s6
.LBB95_24:
	s_delay_alu instid0(SALU_CYCLE_1)
	s_or_b32 exec_lo, exec_lo, s3
	s_cbranch_execz .LBB95_26
	s_branch .LBB95_37
.LBB95_25:
                                        ; implicit-def: $vgpr13
                                        ; implicit-def: $vgpr11
.LBB95_26:
	v_dual_mov_b32 v13, 0 :: v_dual_mov_b32 v12, 0
	v_dual_mov_b32 v11, 0 :: v_dual_mov_b32 v10, 0
	s_and_saveexec_b32 s3, s2
	s_cbranch_execz .LBB95_36
; %bb.27:
	v_dual_mov_b32 v11, v1 :: v_dual_bitop2_b32 v10, 4, v0 bitop3:0x54
	v_sub_nc_u64_e32 v[12:13], s[16:17], v[0:1]
	s_delay_alu instid0(VALU_DEP_2) | instskip(NEXT) | instid1(VALU_DEP_1)
	v_sub_nc_u64_e64 v[10:11], v[10:11], s[16:17]
	v_add_nc_u64_e32 v[10:11], v[10:11], v[14:15]
	v_not_b32_e32 v15, v15
	v_not_b32_e32 v14, v14
	s_delay_alu instid0(VALU_DEP_1) | instskip(NEXT) | instid1(VALU_DEP_4)
	v_add_nc_u64_e32 v[12:13], v[12:13], v[14:15]
	v_max_i64 v[10:11], v[10:11], v[6:7]
	s_delay_alu instid0(VALU_DEP_1) | instskip(NEXT) | instid1(VALU_DEP_1)
	v_add_nc_u64_e32 v[14:15], v[12:13], v[10:11]
	v_dual_mov_b32 v11, 0 :: v_dual_bitop2_b32 v10, 12, v14 bitop3:0x40
	s_delay_alu instid0(VALU_DEP_1) | instskip(NEXT) | instid1(VALU_DEP_2)
	v_dual_mov_b32 v13, v11 :: v_dual_mov_b32 v12, v11
	v_cmp_ne_u64_e32 vcc_lo, 12, v[10:11]
	v_mov_b32_e32 v10, v11
	s_and_saveexec_b32 s2, vcc_lo
	s_cbranch_execz .LBB95_31
; %bb.28:
	v_dual_lshrrev_b32 v1, 2, v14 :: v_dual_mov_b32 v11, 0
	v_lshl_add_u64 v[16:17], v[4:5], 2, s[8:9]
	s_mov_b32 s6, 0
	s_delay_alu instid0(VALU_DEP_2) | instskip(NEXT) | instid1(VALU_DEP_1)
	v_dual_add_nc_u32 v1, 1, v1 :: v_dual_mov_b32 v13, v11
	v_dual_mov_b32 v12, v11 :: v_dual_bitop2_b32 v10, 3, v1 bitop3:0x40
	s_delay_alu instid0(VALU_DEP_1)
	v_sub_nc_u64_e32 v[18:19], 0, v[10:11]
	v_mov_b32_e32 v10, v11
.LBB95_29:                              ; =>This Inner Loop Header: Depth=1
	global_load_b32 v1, v[16:17], off
	global_load_b128 v[20:23], v[8:9], off
	v_add_nc_u64_e32 v[18:19], 1, v[18:19]
	v_add_nc_u64_e32 v[4:5], 4, v[4:5]
	s_wait_xcnt 0x1
	v_add_nc_u64_e32 v[16:17], 16, v[16:17]
	s_delay_alu instid0(VALU_DEP_3)
	v_cmp_eq_u64_e32 vcc_lo, 0, v[18:19]
	s_or_b32 s6, vcc_lo, s6
	s_wait_loadcnt 0x1
	v_subrev_nc_u32_e32 v1, s16, v1
	s_wait_loadcnt 0x0
	v_cvt_f32_f16_e32 v32, v23
	v_lshrrev_b32_e32 v3, 16, v22
	v_cvt_f32_f16_e32 v22, v22
	v_dual_lshrrev_b32 v35, 16, v23 :: v_dual_lshlrev_b32 v24, 2, v1
	v_lshrrev_b32_e32 v1, 16, v20
	v_cvt_f32_f16_e32 v20, v20
	v_cvt_f32_f16_e32 v23, v3
	s_delay_alu instid0(VALU_DEP_4) | instskip(SKIP_1) | instid1(VALU_DEP_1)
	v_ashrrev_i32_e32 v25, 31, v24
	s_wait_kmcnt 0x0
	v_lshl_add_u64 v[28:29], v[24:25], 1, s[4:5]
	global_load_b64 v[30:31], v[28:29], off
	global_load_b128 v[24:27], v[8:9], off offset:16
	s_wait_xcnt 0x1
	v_lshrrev_b32_e32 v29, 16, v21
	v_cvt_f32_f16_e32 v28, v21
	v_cvt_f32_f16_e32 v21, v1
	s_wait_xcnt 0x0
	v_add_nc_u64_e32 v[8:9], 0x80, v[8:9]
	v_cvt_f32_f16_e32 v29, v29
	s_wait_loadcnt 0x0
	v_dual_lshrrev_b32 v1, 16, v30 :: v_dual_lshrrev_b32 v33, 16, v24
	v_lshrrev_b32_e32 v37, 16, v26
	v_cvt_f32_f16_e32 v30, v30
	v_dual_lshrrev_b32 v39, 16, v25 :: v_dual_lshrrev_b32 v40, 16, v27
	v_cvt_f32_f16_e32 v34, v25
	v_cvt_f32_f16_e32 v25, v33
	;; [unrolled: 1-line block ×4, first 2 shown]
	v_pk_fma_f32 v[10:11], v[20:21], v[30:31], v[10:11] op_sel_hi:[1,0,1]
	v_pk_fma_f32 v[12:13], v[28:29], v[30:31], v[12:13] op_sel_hi:[1,0,1]
	v_cvt_f32_f16_e32 v24, v24
	v_cvt_f32_f16_e32 v35, v39
	v_lshrrev_b32_e32 v1, 16, v31
	v_cvt_f32_f16_e32 v20, v31
	v_pk_fma_f32 v[10:11], v[22:23], v[38:39], v[10:11] op_sel_hi:[1,0,1]
	v_pk_fma_f32 v[12:13], v[32:33], v[38:39], v[12:13] op_sel_hi:[1,0,1]
	v_cvt_f32_f16_e32 v26, v26
	v_cvt_f32_f16_e32 v36, v27
	;; [unrolled: 1-line block ×5, first 2 shown]
	v_pk_fma_f32 v[10:11], v[24:25], v[20:21], v[10:11] op_sel_hi:[1,0,1]
	v_pk_fma_f32 v[12:13], v[34:35], v[20:21], v[12:13] op_sel_hi:[1,0,1]
	s_delay_alu instid0(VALU_DEP_2) | instskip(NEXT) | instid1(VALU_DEP_2)
	v_pk_fma_f32 v[10:11], v[26:27], v[22:23], v[10:11] op_sel_hi:[1,0,1]
	v_pk_fma_f32 v[12:13], v[36:37], v[22:23], v[12:13] op_sel_hi:[1,0,1]
	s_and_not1_b32 exec_lo, exec_lo, s6
	s_cbranch_execnz .LBB95_29
; %bb.30:
	s_or_b32 exec_lo, exec_lo, s6
.LBB95_31:
	s_delay_alu instid0(SALU_CYCLE_1) | instskip(NEXT) | instid1(SALU_CYCLE_1)
	s_or_b32 exec_lo, exec_lo, s2
	s_mov_b32 s2, exec_lo
	v_cmpx_lt_u64_e32 11, v[14:15]
	s_cbranch_execz .LBB95_35
; %bb.32:
	v_lshl_add_u64 v[14:15], v[4:5], 2, s[8:9]
	s_mov_b32 s6, 0
	s_delay_alu instid0(VALU_DEP_1)
	v_add_nc_u64_e32 v[14:15], 32, v[14:15]
.LBB95_33:                              ; =>This Inner Loop Header: Depth=1
	s_clause 0x2
	global_load_b32 v1, v[14:15], off offset:-32
	global_load_b32 v3, v[14:15], off offset:-16
	global_load_b32 v40, v[14:15], off
	s_clause 0x2
	global_load_b128 v[16:19], v[8:9], off
	global_load_b128 v[20:23], v[8:9], off offset:16
	global_load_b128 v[24:27], v[8:9], off offset:128
	global_load_b32 v41, v[14:15], off offset:16
	s_clause 0x2
	global_load_b128 v[28:31], v[8:9], off offset:144
	global_load_b128 v[32:35], v[8:9], off offset:256
	;; [unrolled: 1-line block ×3, first 2 shown]
	v_add_nc_u64_e32 v[4:5], 16, v[4:5]
	s_wait_xcnt 0x3
	v_add_nc_u64_e32 v[14:15], 64, v[14:15]
	s_delay_alu instid0(VALU_DEP_2)
	v_cmp_ge_i64_e32 vcc_lo, v[4:5], v[6:7]
	s_or_b32 s6, vcc_lo, s6
	s_wait_loadcnt 0x9
	v_subrev_nc_u32_e32 v1, s16, v1
	s_wait_loadcnt 0x8
	v_subrev_nc_u32_e32 v3, s16, v3
	;; [unrolled: 2-line block ×3, first 2 shown]
	s_wait_loadcnt 0x6
	v_dual_lshrrev_b32 v45, 16, v16 :: v_dual_lshrrev_b32 v60, 16, v18
	v_dual_lshrrev_b32 v65, 16, v19 :: v_dual_lshlrev_b32 v44, 2, v1
	v_cvt_f32_f16_e32 v42, v19
	s_wait_loadcnt 0x3
	v_subrev_nc_u32_e32 v19, s16, v41
	v_dual_lshlrev_b32 v46, 2, v3 :: v_dual_lshrrev_b32 v63, 16, v24
	v_lshrrev_b32_e32 v64, 16, v17
	v_cvt_f32_f16_e32 v40, v17
	v_cvt_f32_f16_e32 v17, v45
	v_dual_ashrrev_i32 v45, 31, v44 :: v_dual_lshlrev_b32 v48, 2, v43
	v_dual_ashrrev_i32 v47, 31, v46 :: v_dual_lshlrev_b32 v50, 2, v19
	v_lshrrev_b32_e32 v3, 16, v21
	s_wait_kmcnt 0x0
	s_delay_alu instid0(VALU_DEP_3)
	v_lshl_add_u64 v[44:45], v[44:45], 1, s[4:5]
	v_ashrrev_i32_e32 v49, 31, v48
	v_lshl_add_u64 v[46:47], v[46:47], 1, s[4:5]
	v_ashrrev_i32_e32 v51, 31, v50
	v_cvt_f32_f16_e32 v16, v16
	v_cvt_f32_f16_e32 v41, v64
	v_lshl_add_u64 v[48:49], v[48:49], 1, s[4:5]
	v_cvt_f32_f16_e32 v18, v18
	v_lshl_add_u64 v[50:51], v[50:51], 1, s[4:5]
	s_clause 0x3
	global_load_b64 v[52:53], v[44:45], off
	global_load_b64 v[54:55], v[46:47], off
	;; [unrolled: 1-line block ×4, first 2 shown]
	v_cvt_f32_f16_e32 v19, v60
	v_dual_lshrrev_b32 v61, 16, v20 :: v_dual_lshrrev_b32 v62, 16, v22
	v_cvt_f32_f16_e32 v43, v65
	v_cvt_f32_f16_e32 v20, v20
	v_lshrrev_b32_e32 v1, 16, v26
	v_cvt_f32_f16_e32 v22, v22
	s_wait_loadcnt 0x6
	s_wait_xcnt 0x0
	v_dual_lshrrev_b32 v49, 16, v30 :: v_dual_lshrrev_b32 v50, 16, v31
	s_wait_loadcnt 0x5
	v_lshrrev_b32_e32 v51, 16, v32
	v_cvt_f32_f16_e32 v32, v32
	v_cvt_f32_f16_e32 v46, v35
	v_lshrrev_b32_e32 v47, 16, v25
	v_lshrrev_b32_e32 v60, 16, v33
	s_wait_loadcnt 0x3
	v_cvt_f32_f16_e32 v44, v52
	s_delay_alu instid0(VALU_DEP_1)
	v_pk_fma_f32 v[10:11], v[16:17], v[44:45], v[10:11] op_sel_hi:[1,0,1]
	v_cvt_f32_f16_e32 v16, v24
	v_cvt_f32_f16_e32 v24, v21
	v_lshrrev_b32_e32 v21, 16, v52
	v_pk_fma_f32 v[12:13], v[40:41], v[44:45], v[12:13] op_sel_hi:[1,0,1]
	v_lshrrev_b32_e32 v17, 16, v23
	v_cvt_f32_f16_e32 v40, v23
	v_cvt_f32_f16_e32 v23, v62
	;; [unrolled: 1-line block ×4, first 2 shown]
	v_lshrrev_b32_e32 v61, 16, v35
	v_cvt_f32_f16_e32 v41, v17
	v_cvt_f32_f16_e32 v17, v63
	v_pk_fma_f32 v[10:11], v[18:19], v[44:45], v[10:11] op_sel_hi:[1,0,1]
	v_lshrrev_b32_e32 v45, 16, v28
	v_cvt_f32_f16_e32 v18, v26
	v_cvt_f32_f16_e32 v26, v25
	;; [unrolled: 1-line block ×3, first 2 shown]
	v_lshrrev_b32_e32 v19, 16, v53
	v_pk_fma_f32 v[12:13], v[42:43], v[44:45], v[12:13] op_sel_hi:[1,0,1]
	v_cvt_f32_f16_e32 v44, v53
	v_dual_lshrrev_b32 v43, 16, v27 :: v_dual_lshrrev_b32 v3, 16, v29
	s_delay_alu instid0(VALU_DEP_4) | instskip(SKIP_1) | instid1(VALU_DEP_4)
	v_cvt_f32_f16_e32 v48, v19
	v_cvt_f32_f16_e32 v42, v27
	v_pk_fma_f32 v[10:11], v[20:21], v[44:45], v[10:11] op_sel_hi:[1,0,1]
	v_pk_fma_f32 v[12:13], v[24:25], v[44:45], v[12:13] op_sel_hi:[1,0,1]
	v_cvt_f32_f16_e32 v19, v1
	v_cvt_f32_f16_e32 v27, v47
	s_wait_loadcnt 0x2
	v_lshrrev_b32_e32 v1, 16, v54
	v_pk_fma_f32 v[10:11], v[22:23], v[48:49], v[10:11] op_sel_hi:[1,0,1]
	v_pk_fma_f32 v[22:23], v[40:41], v[48:49], v[12:13] op_sel_hi:[1,0,1]
	v_cvt_f32_f16_e32 v40, v54
	v_cvt_f32_f16_e32 v43, v43
	;; [unrolled: 1-line block ×5, first 2 shown]
	v_pk_fma_f32 v[16:17], v[16:17], v[40:41], v[10:11] op_sel_hi:[1,0,1]
	global_load_b128 v[10:13], v[8:9], off offset:384
	v_pk_fma_f32 v[22:23], v[26:27], v[40:41], v[22:23] op_sel_hi:[1,0,1]
	v_cvt_f32_f16_e32 v26, v1
	v_lshrrev_b32_e32 v1, 16, v36
	v_cvt_f32_f16_e32 v25, v3
	v_cvt_f32_f16_e32 v20, v30
	;; [unrolled: 1-line block ×3, first 2 shown]
	v_pk_fma_f32 v[40:41], v[18:19], v[26:27], v[16:17] op_sel_hi:[1,0,1]
	global_load_b128 v[16:19], v[8:9], off offset:400
	v_pk_fma_f32 v[22:23], v[42:43], v[26:27], v[22:23] op_sel_hi:[1,0,1]
	v_cvt_f32_f16_e32 v26, v36
	v_cvt_f32_f16_e32 v36, v55
	v_dual_lshrrev_b32 v43, 16, v37 :: v_dual_lshrrev_b32 v52, 16, v34
	v_cvt_f32_f16_e32 v21, v49
	v_cvt_f32_f16_e32 v31, v50
	s_delay_alu instid0(VALU_DEP_4)
	v_pk_fma_f32 v[28:29], v[28:29], v[36:37], v[40:41] op_sel_hi:[1,0,1]
	v_cvt_f32_f16_e32 v40, v37
	v_lshrrev_b32_e32 v37, 16, v38
	v_cvt_f32_f16_e32 v44, v33
	v_cvt_f32_f16_e32 v33, v51
	;; [unrolled: 1-line block ×4, first 2 shown]
	v_pk_fma_f32 v[22:23], v[24:25], v[36:37], v[22:23] op_sel_hi:[1,0,1]
	v_cvt_f32_f16_e32 v36, v39
	v_cvt_f32_f16_e32 v24, v38
	s_wait_loadcnt 0x3
	v_lshrrev_b32_e32 v1, 16, v56
	v_cvt_f32_f16_e32 v48, v56
	v_cvt_f32_f16_e32 v34, v34
	;; [unrolled: 1-line block ×5, first 2 shown]
	s_wait_xcnt 0x0
	v_add_nc_u64_e32 v[8:9], 0x200, v[8:9]
	v_lshrrev_b32_e32 v53, 16, v39
	v_lshrrev_b32_e32 v25, 16, v55
	s_delay_alu instid0(VALU_DEP_1) | instskip(SKIP_1) | instid1(VALU_DEP_4)
	v_cvt_f32_f16_e32 v38, v25
	v_cvt_f32_f16_e32 v25, v37
	v_cvt_f32_f16_e32 v37, v53
	s_wait_loadcnt 0x1
	v_dual_lshrrev_b32 v3, 16, v10 :: v_dual_lshrrev_b32 v39, 16, v12
	v_cvt_f32_f16_e32 v10, v10
	v_cvt_f32_f16_e32 v12, v12
	s_delay_alu instid0(VALU_DEP_3)
	v_pk_fma_f32 v[20:21], v[20:21], v[38:39], v[28:29] op_sel_hi:[1,0,1]
	v_pk_fma_f32 v[22:23], v[30:31], v[38:39], v[22:23] op_sel_hi:[1,0,1]
	s_wait_loadcnt 0x0
	v_dual_lshrrev_b32 v49, 16, v16 :: v_dual_lshrrev_b32 v50, 16, v18
	v_dual_lshrrev_b32 v29, 16, v11 :: v_dual_lshrrev_b32 v31, 16, v13
	v_cvt_f32_f16_e32 v28, v11
	s_delay_alu instid0(VALU_DEP_3)
	v_pk_fma_f32 v[20:21], v[32:33], v[48:49], v[20:21] op_sel_hi:[1,0,1]
	v_cvt_f32_f16_e32 v32, v1
	v_pk_fma_f32 v[22:23], v[44:45], v[48:49], v[22:23] op_sel_hi:[1,0,1]
	v_lshrrev_b32_e32 v1, 16, v57
	v_cvt_f32_f16_e32 v44, v57
	v_cvt_f32_f16_e32 v11, v3
	v_pk_fma_f32 v[20:21], v[34:35], v[32:33], v[20:21] op_sel_hi:[1,0,1]
	v_pk_fma_f32 v[22:23], v[46:47], v[32:33], v[22:23] op_sel_hi:[1,0,1]
	v_cvt_f32_f16_e32 v32, v1
	v_cvt_f32_f16_e32 v29, v29
	v_lshrrev_b32_e32 v1, 16, v58
	v_pk_fma_f32 v[20:21], v[26:27], v[44:45], v[20:21] op_sel_hi:[1,0,1]
	v_pk_fma_f32 v[22:23], v[40:41], v[44:45], v[22:23] op_sel_hi:[1,0,1]
	v_cvt_f32_f16_e32 v26, v58
	v_cvt_f32_f16_e32 v30, v13
	v_dual_lshrrev_b32 v54, 16, v17 :: v_dual_lshrrev_b32 v55, 16, v19
	v_pk_fma_f32 v[20:21], v[24:25], v[32:33], v[20:21] op_sel_hi:[1,0,1]
	v_pk_fma_f32 v[22:23], v[36:37], v[32:33], v[22:23] op_sel_hi:[1,0,1]
	v_cvt_f32_f16_e32 v13, v39
	v_cvt_f32_f16_e32 v31, v31
	;; [unrolled: 1-line block ×3, first 2 shown]
	v_pk_fma_f32 v[10:11], v[10:11], v[26:27], v[20:21] op_sel_hi:[1,0,1]
	v_pk_fma_f32 v[20:21], v[28:29], v[26:27], v[22:23] op_sel_hi:[1,0,1]
	v_cvt_f32_f16_e32 v16, v16
	v_cvt_f32_f16_e32 v38, v17
	;; [unrolled: 1-line block ×4, first 2 shown]
	v_lshrrev_b32_e32 v1, 16, v59
	v_cvt_f32_f16_e32 v22, v59
	v_pk_fma_f32 v[10:11], v[12:13], v[24:25], v[10:11] op_sel_hi:[1,0,1]
	v_pk_fma_f32 v[12:13], v[30:31], v[24:25], v[20:21] op_sel_hi:[1,0,1]
	v_cvt_f32_f16_e32 v18, v18
	v_cvt_f32_f16_e32 v42, v19
	v_cvt_f32_f16_e32 v19, v50
	v_cvt_f32_f16_e32 v43, v55
	v_cvt_f32_f16_e32 v20, v1
	v_pk_fma_f32 v[10:11], v[16:17], v[22:23], v[10:11] op_sel_hi:[1,0,1]
	v_pk_fma_f32 v[12:13], v[38:39], v[22:23], v[12:13] op_sel_hi:[1,0,1]
	s_delay_alu instid0(VALU_DEP_2) | instskip(NEXT) | instid1(VALU_DEP_2)
	v_pk_fma_f32 v[10:11], v[18:19], v[20:21], v[10:11] op_sel_hi:[1,0,1]
	v_pk_fma_f32 v[12:13], v[42:43], v[20:21], v[12:13] op_sel_hi:[1,0,1]
	s_and_not1_b32 exec_lo, exec_lo, s6
	s_cbranch_execnz .LBB95_33
; %bb.34:
	s_or_b32 exec_lo, exec_lo, s6
.LBB95_35:
	s_delay_alu instid0(SALU_CYCLE_1)
	s_or_b32 exec_lo, exec_lo, s2
.LBB95_36:
	s_delay_alu instid0(SALU_CYCLE_1)
	s_or_b32 exec_lo, exec_lo, s3
.LBB95_37:
	v_mbcnt_lo_u32_b32 v1, -1, 0
	s_mov_b32 s2, -1
	s_delay_alu instid0(VALU_DEP_1) | instskip(NEXT) | instid1(VALU_DEP_1)
	v_xor_b32_e32 v3, 2, v1
	v_cmp_gt_i32_e32 vcc_lo, 32, v3
	v_cndmask_b32_e32 v3, v1, v3, vcc_lo
	s_delay_alu instid0(VALU_DEP_1)
	v_lshlrev_b32_e32 v3, 2, v3
	ds_bpermute_b32 v4, v3, v10
	ds_bpermute_b32 v5, v3, v11
	;; [unrolled: 1-line block ×4, first 2 shown]
	v_xor_b32_e32 v3, 1, v1
	s_delay_alu instid0(VALU_DEP_1) | instskip(SKIP_2) | instid1(VALU_DEP_2)
	v_cmp_gt_i32_e32 vcc_lo, 32, v3
	v_cndmask_b32_e32 v1, v1, v3, vcc_lo
	v_cmp_eq_u32_e32 vcc_lo, 3, v0
	v_lshlrev_b32_e32 v1, 2, v1
	s_wait_dscnt 0x2
	v_pk_add_f32 v[4:5], v[10:11], v[4:5]
	s_wait_dscnt 0x0
	v_pk_add_f32 v[6:7], v[12:13], v[6:7]
	ds_bpermute_b32 v10, v1, v4
	ds_bpermute_b32 v11, v1, v5
	;; [unrolled: 1-line block ×4, first 2 shown]
	s_and_b32 exec_lo, exec_lo, vcc_lo
	s_cbranch_execz .LBB95_10
; %bb.38:
	s_load_b64 s[0:1], s[0:1], 0x50
	s_wait_dscnt 0x2
	v_pk_add_f32 v[4:5], v[4:5], v[10:11]
	s_wait_dscnt 0x0
	v_pk_add_f32 v[0:1], v[6:7], v[8:9]
	v_lshlrev_b32_e32 v2, 2, v2
	s_cmp_eq_f32 s14, 0
	s_cbranch_scc0 .LBB95_40
; %bb.39:
	s_delay_alu instid0(VALU_DEP_1)
	v_ashrrev_i32_e32 v3, 31, v2
	v_pk_mul_f32 v[6:7], s[12:13], v[4:5] op_sel_hi:[0,1]
	v_pk_mul_f32 v[8:9], s[12:13], v[0:1] op_sel_hi:[0,1]
	s_mov_b32 s2, 0
	s_wait_kmcnt 0x0
	v_lshl_add_u64 v[10:11], v[2:3], 2, s[0:1]
	global_store_b128 v[10:11], v[6:9], off
.LBB95_40:
	s_and_not1_b32 vcc_lo, exec_lo, s2
	s_cbranch_vccnz .LBB95_10
; %bb.41:
	v_ashrrev_i32_e32 v3, 31, v2
	s_wait_kmcnt 0x0
	s_delay_alu instid0(VALU_DEP_1)
	v_lshl_add_u64 v[10:11], v[2:3], 2, s[0:1]
	v_pk_mul_f32 v[2:3], s[12:13], v[4:5] op_sel_hi:[0,1]
	v_pk_mul_f32 v[4:5], s[12:13], v[0:1] op_sel_hi:[0,1]
	global_load_b128 v[6:9], v[10:11], off
	s_wait_loadcnt 0x0
	v_pk_fma_f32 v[0:1], s[14:15], v[6:7], v[2:3] op_sel_hi:[0,1,1]
	v_pk_fma_f32 v[2:3], s[14:15], v[8:9], v[4:5] op_sel_hi:[0,1,1]
	global_store_b128 v[10:11], v[0:3], off
	s_sendmsg sendmsg(MSG_DEALLOC_VGPRS)
	s_endpgm
	.section	.rodata,"a",@progbits
	.p2align	6, 0x0
	.amdhsa_kernel _ZN9rocsparseL18bsrxmvn_4x4_kernelILj128ELj4EfliDF16_DF16_fEEvT3_20rocsparse_direction_NS_24const_host_device_scalarIT1_EES1_PKS1_PKT2_SA_S7_PKT4_PKT5_S5_PT6_21rocsparse_index_base_b
		.amdhsa_group_segment_fixed_size 0
		.amdhsa_private_segment_fixed_size 0
		.amdhsa_kernarg_size 96
		.amdhsa_user_sgpr_count 2
		.amdhsa_user_sgpr_dispatch_ptr 0
		.amdhsa_user_sgpr_queue_ptr 0
		.amdhsa_user_sgpr_kernarg_segment_ptr 1
		.amdhsa_user_sgpr_dispatch_id 0
		.amdhsa_user_sgpr_kernarg_preload_length 0
		.amdhsa_user_sgpr_kernarg_preload_offset 0
		.amdhsa_user_sgpr_private_segment_size 0
		.amdhsa_wavefront_size32 1
		.amdhsa_uses_dynamic_stack 0
		.amdhsa_enable_private_segment 0
		.amdhsa_system_sgpr_workgroup_id_x 1
		.amdhsa_system_sgpr_workgroup_id_y 0
		.amdhsa_system_sgpr_workgroup_id_z 0
		.amdhsa_system_sgpr_workgroup_info 0
		.amdhsa_system_vgpr_workitem_id 0
		.amdhsa_next_free_vgpr 78
		.amdhsa_next_free_sgpr 18
		.amdhsa_named_barrier_count 0
		.amdhsa_reserve_vcc 1
		.amdhsa_float_round_mode_32 0
		.amdhsa_float_round_mode_16_64 0
		.amdhsa_float_denorm_mode_32 3
		.amdhsa_float_denorm_mode_16_64 3
		.amdhsa_fp16_overflow 0
		.amdhsa_memory_ordered 1
		.amdhsa_forward_progress 1
		.amdhsa_inst_pref_size 36
		.amdhsa_round_robin_scheduling 0
		.amdhsa_exception_fp_ieee_invalid_op 0
		.amdhsa_exception_fp_denorm_src 0
		.amdhsa_exception_fp_ieee_div_zero 0
		.amdhsa_exception_fp_ieee_overflow 0
		.amdhsa_exception_fp_ieee_underflow 0
		.amdhsa_exception_fp_ieee_inexact 0
		.amdhsa_exception_int_div_zero 0
	.end_amdhsa_kernel
	.section	.text._ZN9rocsparseL18bsrxmvn_4x4_kernelILj128ELj4EfliDF16_DF16_fEEvT3_20rocsparse_direction_NS_24const_host_device_scalarIT1_EES1_PKS1_PKT2_SA_S7_PKT4_PKT5_S5_PT6_21rocsparse_index_base_b,"axG",@progbits,_ZN9rocsparseL18bsrxmvn_4x4_kernelILj128ELj4EfliDF16_DF16_fEEvT3_20rocsparse_direction_NS_24const_host_device_scalarIT1_EES1_PKS1_PKT2_SA_S7_PKT4_PKT5_S5_PT6_21rocsparse_index_base_b,comdat
.Lfunc_end95:
	.size	_ZN9rocsparseL18bsrxmvn_4x4_kernelILj128ELj4EfliDF16_DF16_fEEvT3_20rocsparse_direction_NS_24const_host_device_scalarIT1_EES1_PKS1_PKT2_SA_S7_PKT4_PKT5_S5_PT6_21rocsparse_index_base_b, .Lfunc_end95-_ZN9rocsparseL18bsrxmvn_4x4_kernelILj128ELj4EfliDF16_DF16_fEEvT3_20rocsparse_direction_NS_24const_host_device_scalarIT1_EES1_PKS1_PKT2_SA_S7_PKT4_PKT5_S5_PT6_21rocsparse_index_base_b
                                        ; -- End function
	.set _ZN9rocsparseL18bsrxmvn_4x4_kernelILj128ELj4EfliDF16_DF16_fEEvT3_20rocsparse_direction_NS_24const_host_device_scalarIT1_EES1_PKS1_PKT2_SA_S7_PKT4_PKT5_S5_PT6_21rocsparse_index_base_b.num_vgpr, 78
	.set _ZN9rocsparseL18bsrxmvn_4x4_kernelILj128ELj4EfliDF16_DF16_fEEvT3_20rocsparse_direction_NS_24const_host_device_scalarIT1_EES1_PKS1_PKT2_SA_S7_PKT4_PKT5_S5_PT6_21rocsparse_index_base_b.num_agpr, 0
	.set _ZN9rocsparseL18bsrxmvn_4x4_kernelILj128ELj4EfliDF16_DF16_fEEvT3_20rocsparse_direction_NS_24const_host_device_scalarIT1_EES1_PKS1_PKT2_SA_S7_PKT4_PKT5_S5_PT6_21rocsparse_index_base_b.numbered_sgpr, 18
	.set _ZN9rocsparseL18bsrxmvn_4x4_kernelILj128ELj4EfliDF16_DF16_fEEvT3_20rocsparse_direction_NS_24const_host_device_scalarIT1_EES1_PKS1_PKT2_SA_S7_PKT4_PKT5_S5_PT6_21rocsparse_index_base_b.num_named_barrier, 0
	.set _ZN9rocsparseL18bsrxmvn_4x4_kernelILj128ELj4EfliDF16_DF16_fEEvT3_20rocsparse_direction_NS_24const_host_device_scalarIT1_EES1_PKS1_PKT2_SA_S7_PKT4_PKT5_S5_PT6_21rocsparse_index_base_b.private_seg_size, 0
	.set _ZN9rocsparseL18bsrxmvn_4x4_kernelILj128ELj4EfliDF16_DF16_fEEvT3_20rocsparse_direction_NS_24const_host_device_scalarIT1_EES1_PKS1_PKT2_SA_S7_PKT4_PKT5_S5_PT6_21rocsparse_index_base_b.uses_vcc, 1
	.set _ZN9rocsparseL18bsrxmvn_4x4_kernelILj128ELj4EfliDF16_DF16_fEEvT3_20rocsparse_direction_NS_24const_host_device_scalarIT1_EES1_PKS1_PKT2_SA_S7_PKT4_PKT5_S5_PT6_21rocsparse_index_base_b.uses_flat_scratch, 0
	.set _ZN9rocsparseL18bsrxmvn_4x4_kernelILj128ELj4EfliDF16_DF16_fEEvT3_20rocsparse_direction_NS_24const_host_device_scalarIT1_EES1_PKS1_PKT2_SA_S7_PKT4_PKT5_S5_PT6_21rocsparse_index_base_b.has_dyn_sized_stack, 0
	.set _ZN9rocsparseL18bsrxmvn_4x4_kernelILj128ELj4EfliDF16_DF16_fEEvT3_20rocsparse_direction_NS_24const_host_device_scalarIT1_EES1_PKS1_PKT2_SA_S7_PKT4_PKT5_S5_PT6_21rocsparse_index_base_b.has_recursion, 0
	.set _ZN9rocsparseL18bsrxmvn_4x4_kernelILj128ELj4EfliDF16_DF16_fEEvT3_20rocsparse_direction_NS_24const_host_device_scalarIT1_EES1_PKS1_PKT2_SA_S7_PKT4_PKT5_S5_PT6_21rocsparse_index_base_b.has_indirect_call, 0
	.section	.AMDGPU.csdata,"",@progbits
; Kernel info:
; codeLenInByte = 4532
; TotalNumSgprs: 20
; NumVgprs: 78
; ScratchSize: 0
; MemoryBound: 0
; FloatMode: 240
; IeeeMode: 1
; LDSByteSize: 0 bytes/workgroup (compile time only)
; SGPRBlocks: 0
; VGPRBlocks: 4
; NumSGPRsForWavesPerEU: 20
; NumVGPRsForWavesPerEU: 78
; NamedBarCnt: 0
; Occupancy: 12
; WaveLimiterHint : 1
; COMPUTE_PGM_RSRC2:SCRATCH_EN: 0
; COMPUTE_PGM_RSRC2:USER_SGPR: 2
; COMPUTE_PGM_RSRC2:TRAP_HANDLER: 0
; COMPUTE_PGM_RSRC2:TGID_X_EN: 1
; COMPUTE_PGM_RSRC2:TGID_Y_EN: 0
; COMPUTE_PGM_RSRC2:TGID_Z_EN: 0
; COMPUTE_PGM_RSRC2:TIDIG_COMP_CNT: 0
	.section	.text._ZN9rocsparseL18bsrxmvn_4x4_kernelILj128ELj8EfliDF16_DF16_fEEvT3_20rocsparse_direction_NS_24const_host_device_scalarIT1_EES1_PKS1_PKT2_SA_S7_PKT4_PKT5_S5_PT6_21rocsparse_index_base_b,"axG",@progbits,_ZN9rocsparseL18bsrxmvn_4x4_kernelILj128ELj8EfliDF16_DF16_fEEvT3_20rocsparse_direction_NS_24const_host_device_scalarIT1_EES1_PKS1_PKT2_SA_S7_PKT4_PKT5_S5_PT6_21rocsparse_index_base_b,comdat
	.globl	_ZN9rocsparseL18bsrxmvn_4x4_kernelILj128ELj8EfliDF16_DF16_fEEvT3_20rocsparse_direction_NS_24const_host_device_scalarIT1_EES1_PKS1_PKT2_SA_S7_PKT4_PKT5_S5_PT6_21rocsparse_index_base_b ; -- Begin function _ZN9rocsparseL18bsrxmvn_4x4_kernelILj128ELj8EfliDF16_DF16_fEEvT3_20rocsparse_direction_NS_24const_host_device_scalarIT1_EES1_PKS1_PKT2_SA_S7_PKT4_PKT5_S5_PT6_21rocsparse_index_base_b
	.p2align	8
	.type	_ZN9rocsparseL18bsrxmvn_4x4_kernelILj128ELj8EfliDF16_DF16_fEEvT3_20rocsparse_direction_NS_24const_host_device_scalarIT1_EES1_PKS1_PKT2_SA_S7_PKT4_PKT5_S5_PT6_21rocsparse_index_base_b,@function
_ZN9rocsparseL18bsrxmvn_4x4_kernelILj128ELj8EfliDF16_DF16_fEEvT3_20rocsparse_direction_NS_24const_host_device_scalarIT1_EES1_PKS1_PKT2_SA_S7_PKT4_PKT5_S5_PT6_21rocsparse_index_base_b: ; @_ZN9rocsparseL18bsrxmvn_4x4_kernelILj128ELj8EfliDF16_DF16_fEEvT3_20rocsparse_direction_NS_24const_host_device_scalarIT1_EES1_PKS1_PKT2_SA_S7_PKT4_PKT5_S5_PT6_21rocsparse_index_base_b
; %bb.0:
	s_clause 0x2
	s_load_b64 s[16:17], s[0:1], 0x58
	s_load_b64 s[12:13], s[0:1], 0x8
	;; [unrolled: 1-line block ×3, first 2 shown]
	s_wait_kmcnt 0x0
	s_bitcmp1_b32 s17, 0
	s_cselect_b32 s2, -1, 0
	s_delay_alu instid0(SALU_CYCLE_1)
	s_and_b32 vcc_lo, exec_lo, s2
	s_xor_b32 s2, s2, -1
	s_cbranch_vccnz .LBB96_2
; %bb.1:
	s_load_b32 s12, s[12:13], 0x0
.LBB96_2:
	s_and_not1_b32 vcc_lo, exec_lo, s2
	s_cbranch_vccnz .LBB96_4
; %bb.3:
	s_load_b32 s14, s[14:15], 0x0
.LBB96_4:
	s_wait_kmcnt 0x0
	s_cmp_neq_f32 s12, 0
	s_mov_b32 s6, 0
	s_cselect_b32 s2, -1, 0
	s_cmp_neq_f32 s14, 1.0
	s_cselect_b32 s3, -1, 0
	s_delay_alu instid0(SALU_CYCLE_1) | instskip(NEXT) | instid1(SALU_CYCLE_1)
	s_or_b32 s2, s2, s3
	s_and_not1_b32 vcc_lo, exec_lo, s2
	s_cbranch_vccnz .LBB96_10
; %bb.5:
	s_clause 0x1
	s_load_b64 s[4:5], s[0:1], 0x18
	s_load_b64 s[2:3], s[0:1], 0x0
	s_bfe_u32 s7, ttmp6, 0x4000c
	s_and_b32 s8, ttmp6, 15
	s_add_co_i32 s7, s7, 1
	s_getreg_b32 s9, hwreg(HW_REG_IB_STS2, 6, 4)
	s_mul_i32 s7, ttmp9, s7
	v_lshrrev_b32_e32 v1, 3, v0
	s_add_co_i32 s8, s8, s7
	s_cmp_eq_u32 s9, 0
	s_cselect_b32 s7, ttmp9, s8
	s_delay_alu instid0(VALU_DEP_1) | instid1(SALU_CYCLE_1)
	v_lshl_or_b32 v2, s7, 4, v1
	s_wait_kmcnt 0x0
	s_cmp_lg_u64 s[4:5], 0
	s_cbranch_scc0 .LBB96_11
; %bb.6:
	s_load_b32 s6, s[0:1], 0x10
	s_mov_b32 s7, 0
                                        ; implicit-def: $vgpr1
	s_wait_kmcnt 0x0
	v_cmp_gt_i32_e32 vcc_lo, s6, v2
	s_mov_b32 s6, 0
	s_and_saveexec_b32 s8, vcc_lo
	s_delay_alu instid0(SALU_CYCLE_1)
	s_xor_b32 s8, exec_lo, s8
	s_cbranch_execz .LBB96_8
; %bb.7:
	global_load_b32 v1, v2, s[4:5] scale_offset
	s_mov_b32 s6, exec_lo
	s_wait_loadcnt 0x0
	v_subrev_nc_u32_e32 v1, s16, v1
.LBB96_8:
	s_or_b32 exec_lo, exec_lo, s8
	s_delay_alu instid0(SALU_CYCLE_1)
	s_and_b32 vcc_lo, exec_lo, s7
	s_cbranch_vccz .LBB96_12
.LBB96_9:
	v_cmp_gt_i32_e32 vcc_lo, s2, v2
	s_and_not1_b32 s2, s6, exec_lo
	s_and_b32 s4, vcc_lo, exec_lo
	s_delay_alu instid0(SALU_CYCLE_1) | instskip(NEXT) | instid1(SALU_CYCLE_1)
	s_or_b32 s6, s2, s4
	s_and_saveexec_b32 s2, s6
	s_cbranch_execnz .LBB96_13
.LBB96_10:
	s_sendmsg sendmsg(MSG_DEALLOC_VGPRS)
	s_endpgm
.LBB96_11:
                                        ; implicit-def: $vgpr1
	s_cbranch_execnz .LBB96_9
.LBB96_12:
	s_delay_alu instid0(VALU_DEP_1)
	v_mov_b32_e32 v2, v1
	s_and_saveexec_b32 s2, s6
	s_cbranch_execz .LBB96_10
.LBB96_13:
	s_load_b256 s[4:11], s[0:1], 0x20
	s_mov_b32 s17, 0
	v_dual_mov_b32 v1, 0 :: v_dual_bitop2_b32 v0, 7, v0 bitop3:0x40
	s_wait_kmcnt 0x0
	s_cmp_eq_u64 s[6:7], 0
	global_load_b64 v[14:15], v2, s[4:5] scale_offset
	s_cselect_b32 vcc_lo, -1, 0
	v_ashrrev_i32_e32 v3, 31, v2
	s_cmp_eq_u32 s3, 1
	s_delay_alu instid0(VALU_DEP_1) | instskip(NEXT) | instid1(VALU_DEP_1)
	v_lshlrev_b64_e32 v[4:5], 3, v[2:3]
	v_add_nc_u64_e32 v[6:7], s[4:5], v[4:5]
	v_add_nc_u64_e32 v[4:5], s[6:7], v[4:5]
	s_wait_xcnt 0x0
	s_load_b64 s[4:5], s[0:1], 0x40
	s_delay_alu instid0(VALU_DEP_2) | instskip(NEXT) | instid1(VALU_DEP_1)
	v_add_nc_u64_e32 v[6:7], 8, v[6:7]
	v_dual_cndmask_b32 v5, v5, v7 :: v_dual_cndmask_b32 v4, v4, v6
	global_load_b64 v[6:7], v[4:5], off
	s_wait_loadcnt 0x1
	s_wait_xcnt 0x0
	v_sub_nc_u64_e64 v[4:5], v[14:15], s[16:17]
	s_delay_alu instid0(VALU_DEP_1) | instskip(NEXT) | instid1(VALU_DEP_1)
	v_add_nc_u64_e32 v[4:5], v[4:5], v[0:1]
	v_lshlrev_b64_e32 v[8:9], 5, v[4:5]
	s_delay_alu instid0(VALU_DEP_1) | instskip(SKIP_2) | instid1(VALU_DEP_1)
	v_add_nc_u64_e32 v[8:9], s[10:11], v[8:9]
	s_wait_loadcnt 0x0
	v_sub_nc_u64_e64 v[6:7], v[6:7], s[16:17]
	v_cmp_lt_i64_e64 s2, v[4:5], v[6:7]
	s_cbranch_scc1 .LBB96_25
; %bb.14:
	v_dual_mov_b32 v11, v1 :: v_dual_mov_b32 v10, v1
	v_dual_mov_b32 v13, v1 :: v_dual_mov_b32 v12, v1
	s_and_saveexec_b32 s3, s2
	s_cbranch_execz .LBB96_24
; %bb.15:
	v_dual_mov_b32 v11, v1 :: v_dual_bitop2_b32 v10, 8, v0 bitop3:0x54
	v_sub_nc_u64_e32 v[12:13], s[16:17], v[0:1]
	v_not_b32_e32 v17, v15
	v_not_b32_e32 v16, v14
	v_mov_b64_e32 v[18:19], v[8:9]
	v_sub_nc_u64_e64 v[10:11], v[10:11], s[16:17]
	s_delay_alu instid0(VALU_DEP_3) | instskip(SKIP_1) | instid1(VALU_DEP_3)
	v_add_nc_u64_e32 v[12:13], v[12:13], v[16:17]
	v_mov_b64_e32 v[16:17], v[4:5]
	v_add_nc_u64_e32 v[10:11], v[10:11], v[14:15]
	s_delay_alu instid0(VALU_DEP_1) | instskip(NEXT) | instid1(VALU_DEP_1)
	v_max_i64 v[10:11], v[10:11], v[6:7]
	v_add_nc_u64_e32 v[20:21], v[12:13], v[10:11]
	s_delay_alu instid0(VALU_DEP_1) | instskip(NEXT) | instid1(VALU_DEP_1)
	v_dual_mov_b32 v13, 0 :: v_dual_bitop2_b32 v12, 24, v20 bitop3:0x40
	v_dual_mov_b32 v10, v13 :: v_dual_mov_b32 v11, v13
	s_delay_alu instid0(VALU_DEP_2)
	v_cmp_ne_u64_e32 vcc_lo, 24, v[12:13]
	v_mov_b32_e32 v12, v13
	s_and_saveexec_b32 s6, vcc_lo
	s_cbranch_execz .LBB96_19
; %bb.16:
	v_dual_lshrrev_b32 v3, 3, v20 :: v_dual_mov_b32 v11, 0
	v_mov_b64_e32 v[18:19], v[8:9]
	v_mov_b64_e32 v[16:17], v[4:5]
	v_lshl_add_u64 v[22:23], v[4:5], 2, s[8:9]
	s_delay_alu instid0(VALU_DEP_4) | instskip(SKIP_1) | instid1(VALU_DEP_1)
	v_dual_mov_b32 v12, v11 :: v_dual_add_nc_u32 v3, 1, v3
	s_mov_b32 s7, 0
	v_dual_mov_b32 v13, v11 :: v_dual_bitop2_b32 v10, 3, v3 bitop3:0x40
	s_delay_alu instid0(VALU_DEP_1)
	v_sub_nc_u64_e32 v[24:25], 0, v[10:11]
	v_mov_b32_e32 v10, v11
.LBB96_17:                              ; =>This Inner Loop Header: Depth=1
	global_load_b32 v3, v[22:23], off
	global_load_b128 v[26:29], v[18:19], off
	v_add_nc_u64_e32 v[24:25], 1, v[24:25]
	v_add_nc_u64_e32 v[16:17], 8, v[16:17]
	s_wait_xcnt 0x1
	v_add_nc_u64_e32 v[22:23], 32, v[22:23]
	s_delay_alu instid0(VALU_DEP_3)
	v_cmp_eq_u64_e32 vcc_lo, 0, v[24:25]
	s_or_b32 s7, vcc_lo, s7
	s_wait_loadcnt 0x1
	v_subrev_nc_u32_e32 v3, s16, v3
	s_wait_loadcnt 0x0
	v_dual_lshrrev_b32 v39, 16, v28 :: v_dual_lshrrev_b32 v40, 16, v29
	v_cvt_f32_f16_e32 v29, v29
	v_lshrrev_b32_e32 v38, 16, v27
	v_dual_lshlrev_b32 v30, 2, v3 :: v_dual_lshrrev_b32 v3, 16, v26
	s_delay_alu instid0(VALU_DEP_2) | instskip(NEXT) | instid1(VALU_DEP_2)
	v_cvt_f32_f16_e32 v38, v38
	v_ashrrev_i32_e32 v31, 31, v30
	s_wait_kmcnt 0x0
	s_delay_alu instid0(VALU_DEP_1)
	v_lshl_add_u64 v[34:35], v[30:31], 1, s[4:5]
	global_load_b128 v[30:33], v[18:19], off offset:16
	global_load_b64 v[36:37], v[34:35], off
	s_wait_xcnt 0x0
	v_cvt_f32_f16_e32 v34, v26
	v_cvt_f32_f16_e32 v35, v28
	;; [unrolled: 1-line block ×3, first 2 shown]
	v_add_nc_u64_e32 v[18:19], 0x100, v[18:19]
	s_wait_loadcnt 0x1
	v_dual_lshrrev_b32 v42, 16, v30 :: v_dual_lshrrev_b32 v43, 16, v31
	v_dual_lshrrev_b32 v41, 16, v32 :: v_dual_lshrrev_b32 v44, 16, v33
	v_cvt_f32_f16_e32 v26, v30
	v_cvt_f32_f16_e32 v27, v32
	;; [unrolled: 1-line block ×3, first 2 shown]
	s_wait_loadcnt 0x0
	v_lshrrev_b32_e32 v3, 16, v36
	v_cvt_f32_f16_e32 v36, v36
	v_cvt_f32_f16_e32 v32, v31
	;; [unrolled: 1-line block ×7, first 2 shown]
	v_pk_fma_f32 v[12:13], v[34:35], v[36:37], v[12:13] op_sel_hi:[1,0,1]
	v_pk_fma_f32 v[10:11], v[26:27], v[36:37], v[10:11] op_sel_hi:[1,0,1]
	v_cvt_f32_f16_e32 v33, v33
	v_lshrrev_b32_e32 v3, 16, v37
	v_cvt_f32_f16_e32 v26, v37
	v_pk_fma_f32 v[12:13], v[30:31], v[42:43], v[12:13] op_sel_hi:[1,0,1]
	v_pk_fma_f32 v[10:11], v[40:41], v[42:43], v[10:11] op_sel_hi:[1,0,1]
	v_cvt_f32_f16_e32 v31, v44
	v_cvt_f32_f16_e32 v30, v43
	;; [unrolled: 1-line block ×3, first 2 shown]
	v_pk_fma_f32 v[12:13], v[28:29], v[26:27], v[12:13] op_sel_hi:[1,0,1]
	v_pk_fma_f32 v[10:11], v[32:33], v[26:27], v[10:11] op_sel_hi:[1,0,1]
	s_delay_alu instid0(VALU_DEP_2) | instskip(NEXT) | instid1(VALU_DEP_2)
	v_pk_fma_f32 v[12:13], v[38:39], v[34:35], v[12:13] op_sel_hi:[1,0,1]
	v_pk_fma_f32 v[10:11], v[30:31], v[34:35], v[10:11] op_sel_hi:[1,0,1]
	s_and_not1_b32 exec_lo, exec_lo, s7
	s_cbranch_execnz .LBB96_17
; %bb.18:
	s_or_b32 exec_lo, exec_lo, s7
.LBB96_19:
	s_delay_alu instid0(SALU_CYCLE_1) | instskip(NEXT) | instid1(SALU_CYCLE_1)
	s_or_b32 exec_lo, exec_lo, s6
	s_mov_b32 s6, exec_lo
	v_cmpx_lt_u64_e32 23, v[20:21]
	s_cbranch_execz .LBB96_23
; %bb.20:
	v_lshl_add_u64 v[20:21], v[16:17], 2, s[8:9]
	s_mov_b32 s7, 0
	s_delay_alu instid0(VALU_DEP_1)
	v_add_nc_u64_e32 v[20:21], 64, v[20:21]
.LBB96_21:                              ; =>This Inner Loop Header: Depth=1
	global_load_b32 v3, v[20:21], off offset:-64
	s_clause 0x3
	global_load_b128 v[22:25], v[18:19], off
	global_load_b128 v[26:29], v[18:19], off offset:16
	global_load_b128 v[30:33], v[18:19], off offset:512
	;; [unrolled: 1-line block ×3, first 2 shown]
	s_clause 0x2
	global_load_b32 v52, v[20:21], off offset:-32
	global_load_b32 v53, v[20:21], off
	global_load_b32 v54, v[20:21], off offset:32
	s_clause 0x1
	global_load_b128 v[38:41], v[18:19], off offset:272
	global_load_b128 v[42:45], v[18:19], off offset:528
	v_add_nc_u64_e32 v[16:17], 32, v[16:17]
	s_wait_xcnt 0x2
	v_add_nc_u64_e32 v[20:21], 0x80, v[20:21]
	s_delay_alu instid0(VALU_DEP_2)
	v_cmp_ge_i64_e32 vcc_lo, v[16:17], v[6:7]
	s_or_b32 s7, vcc_lo, s7
	s_wait_loadcnt 0x9
	v_subrev_nc_u32_e32 v3, s16, v3
	s_wait_loadcnt 0x8
	v_dual_lshrrev_b32 v62, 16, v22 :: v_dual_lshrrev_b32 v63, 16, v23
	v_dual_lshrrev_b32 v64, 16, v24 :: v_dual_lshrrev_b32 v65, 16, v25
	v_cvt_f32_f16_e32 v47, v24
	s_wait_loadcnt 0x7
	v_dual_lshrrev_b32 v66, 16, v26 :: v_dual_lshrrev_b32 v67, 16, v27
	v_dual_lshrrev_b32 v68, 16, v28 :: v_dual_lshrrev_b32 v69, 16, v29
	v_cvt_f32_f16_e32 v24, v23
	s_wait_loadcnt 0x5
	v_cvt_f32_f16_e32 v51, v37
	v_dual_lshrrev_b32 v76, 16, v37 :: v_dual_lshrrev_b32 v77, 16, v30
	v_cvt_f32_f16_e32 v23, v28
	v_cvt_f32_f16_e32 v28, v27
	s_wait_loadcnt 0x4
	v_subrev_nc_u32_e32 v27, s16, v52
	s_wait_loadcnt 0x2
	v_subrev_nc_u32_e32 v37, s16, v54
	v_cvt_f32_f16_e32 v46, v22
	v_dual_lshrrev_b32 v70, 16, v31 :: v_dual_lshrrev_b32 v71, 16, v32
	v_dual_lshrrev_b32 v74, 16, v36 :: v_dual_lshrrev_b32 v75, 16, v35
	v_cvt_f32_f16_e32 v50, v35
	v_cvt_f32_f16_e32 v35, v32
	;; [unrolled: 1-line block ×4, first 2 shown]
	v_subrev_nc_u32_e32 v31, s16, v53
	v_dual_lshlrev_b32 v26, 2, v3 :: v_dual_lshlrev_b32 v52, 2, v37
	v_dual_lshrrev_b32 v72, 16, v33 :: v_dual_lshrrev_b32 v73, 16, v34
	v_cvt_f32_f16_e32 v48, v34
	v_cvt_f32_f16_e32 v34, v30
	s_delay_alu instid0(VALU_DEP_4) | instskip(SKIP_2) | instid1(VALU_DEP_3)
	v_dual_lshlrev_b32 v30, 2, v27 :: v_dual_ashrrev_i32 v27, 31, v26
	v_cvt_f32_f16_e32 v49, v36
	v_dual_lshlrev_b32 v36, 2, v31 :: v_dual_ashrrev_i32 v53, 31, v52
	v_ashrrev_i32_e32 v31, 31, v30
	s_wait_kmcnt 0x0
	v_lshl_add_u64 v[26:27], v[26:27], 1, s[4:5]
	s_wait_loadcnt 0x1
	v_dual_lshrrev_b32 v3, 16, v38 :: v_dual_ashrrev_i32 v37, 31, v36
	v_lshl_add_u64 v[52:53], v[52:53], 1, s[4:5]
	v_lshl_add_u64 v[30:31], v[30:31], 1, s[4:5]
	v_cvt_f32_f16_e32 v25, v25
	v_cvt_f32_f16_e32 v29, v29
	v_lshl_add_u64 v[36:37], v[36:37], 1, s[4:5]
	s_clause 0x3
	global_load_b64 v[54:55], v[26:27], off
	global_load_b64 v[56:57], v[30:31], off
	;; [unrolled: 1-line block ×4, first 2 shown]
	s_wait_xcnt 0x2
	v_cvt_f32_f16_e32 v31, v41
	v_cvt_f32_f16_e32 v30, v39
	;; [unrolled: 1-line block ×3, first 2 shown]
	s_wait_loadcnt 0x4
	s_wait_xcnt 0x0
	v_dual_lshrrev_b32 v53, 16, v43 :: v_dual_lshrrev_b32 v52, 16, v41
	v_cvt_f32_f16_e32 v41, v65
	s_wait_loadcnt 0x3
	v_cvt_f32_f16_e32 v26, v54
	v_dual_lshrrev_b32 v36, 16, v54 :: v_dual_lshrrev_b32 v54, 16, v44
	s_delay_alu instid0(VALU_DEP_2)
	v_pk_fma_f32 v[12:13], v[46:47], v[26:27], v[12:13] op_sel_hi:[1,0,1]
	v_pk_fma_f32 v[10:11], v[22:23], v[26:27], v[10:11] op_sel_hi:[1,0,1]
	v_cvt_f32_f16_e32 v23, v64
	v_cvt_f32_f16_e32 v22, v62
	;; [unrolled: 1-line block ×3, first 2 shown]
	v_lshrrev_b32_e32 v64, 16, v42
	v_cvt_f32_f16_e32 v27, v40
	v_cvt_f32_f16_e32 v26, v38
	v_lshrrev_b32_e32 v46, 16, v40
	v_pk_fma_f32 v[12:13], v[22:23], v[36:37], v[12:13] op_sel_hi:[1,0,1]
	v_cvt_f32_f16_e32 v23, v68
	v_cvt_f32_f16_e32 v22, v66
	v_cvt_f32_f16_e32 v38, v43
	v_cvt_f32_f16_e32 v40, v63
	v_cvt_f32_f16_e32 v43, v69
	v_lshrrev_b32_e32 v47, 16, v39
	v_pk_fma_f32 v[10:11], v[22:23], v[36:37], v[10:11] op_sel_hi:[1,0,1]
	v_cvt_f32_f16_e32 v22, v55
	v_cvt_f32_f16_e32 v36, v42
	;; [unrolled: 1-line block ×4, first 2 shown]
	v_lshrrev_b32_e32 v62, 16, v45
	v_pk_fma_f32 v[24:25], v[24:25], v[22:23], v[12:13] op_sel_hi:[1,0,1]
	v_pk_fma_f32 v[22:23], v[28:29], v[22:23], v[10:11] op_sel_hi:[1,0,1]
	v_lshrrev_b32_e32 v28, 16, v55
	global_load_b128 v[10:13], v[18:19], off offset:768
	v_cvt_f32_f16_e32 v37, v44
	v_cvt_f32_f16_e32 v28, v28
	s_delay_alu instid0(VALU_DEP_1)
	v_pk_fma_f32 v[40:41], v[40:41], v[28:29], v[24:25] op_sel_hi:[1,0,1]
	v_pk_fma_f32 v[28:29], v[42:43], v[28:29], v[22:23] op_sel_hi:[1,0,1]
	global_load_b128 v[22:25], v[18:19], off offset:784
	s_wait_loadcnt 0x4
	v_cvt_f32_f16_e32 v42, v56
	s_wait_xcnt 0x0
	v_add_nc_u64_e32 v[18:19], 0x400, v[18:19]
	s_delay_alu instid0(VALU_DEP_2)
	v_pk_fma_f32 v[40:41], v[48:49], v[42:43], v[40:41] op_sel_hi:[1,0,1]
	v_pk_fma_f32 v[26:27], v[26:27], v[42:43], v[28:29] op_sel_hi:[1,0,1]
	v_cvt_f32_f16_e32 v48, v70
	v_cvt_f32_f16_e32 v49, v72
	s_wait_loadcnt 0x1
	v_cvt_f32_f16_e32 v45, v12
	v_dual_lshrrev_b32 v55, 16, v10 :: v_dual_lshrrev_b32 v63, 16, v12
	v_cvt_f32_f16_e32 v12, v3
	v_lshrrev_b32_e32 v3, 16, v56
	v_cvt_f32_f16_e32 v44, v10
	v_cvt_f32_f16_e32 v29, v13
	;; [unrolled: 1-line block ×3, first 2 shown]
	v_dual_lshrrev_b32 v65, 16, v11 :: v_dual_lshrrev_b32 v66, 16, v13
	v_cvt_f32_f16_e32 v11, v74
	v_cvt_f32_f16_e32 v10, v73
	;; [unrolled: 1-line block ×3, first 2 shown]
	s_wait_loadcnt 0x0
	v_lshrrev_b32_e32 v67, 16, v23
	v_cvt_f32_f16_e32 v42, v3
	v_dual_lshrrev_b32 v3, 16, v22 :: v_dual_lshrrev_b32 v56, 16, v24
	v_cvt_f32_f16_e32 v46, v57
	v_lshrrev_b32_e32 v68, 16, v25
	s_delay_alu instid0(VALU_DEP_4)
	v_pk_fma_f32 v[10:11], v[10:11], v[42:43], v[40:41] op_sel_hi:[1,0,1]
	v_cvt_f32_f16_e32 v41, v24
	v_pk_fma_f32 v[12:13], v[12:13], v[42:43], v[26:27] op_sel_hi:[1,0,1]
	v_cvt_f32_f16_e32 v24, v47
	v_lshrrev_b32_e32 v47, 16, v57
	v_cvt_f32_f16_e32 v27, v25
	v_cvt_f32_f16_e32 v25, v52
	;; [unrolled: 1-line block ×5, first 2 shown]
	v_pk_fma_f32 v[12:13], v[30:31], v[46:47], v[12:13] op_sel_hi:[1,0,1]
	v_cvt_f32_f16_e32 v23, v76
	v_cvt_f32_f16_e32 v22, v75
	v_lshrrev_b32_e32 v31, 16, v58
	v_cvt_f32_f16_e32 v43, v71
	v_pk_fma_f32 v[12:13], v[24:25], v[52:53], v[12:13] op_sel_hi:[1,0,1]
	v_lshrrev_b32_e32 v25, 16, v59
	v_pk_fma_f32 v[10:11], v[50:51], v[46:47], v[10:11] op_sel_hi:[1,0,1]
	v_cvt_f32_f16_e32 v46, v58
	v_cvt_f32_f16_e32 v42, v77
	;; [unrolled: 1-line block ×4, first 2 shown]
	v_pk_fma_f32 v[10:11], v[22:23], v[52:53], v[10:11] op_sel_hi:[1,0,1]
	v_cvt_f32_f16_e32 v23, v54
	v_cvt_f32_f16_e32 v22, v64
	v_pk_fma_f32 v[12:13], v[36:37], v[46:47], v[12:13] op_sel_hi:[1,0,1]
	v_cvt_f32_f16_e32 v31, v62
	v_pk_fma_f32 v[10:11], v[34:35], v[46:47], v[10:11] op_sel_hi:[1,0,1]
	v_cvt_f32_f16_e32 v34, v59
	s_delay_alu instid0(VALU_DEP_4) | instskip(SKIP_1) | instid1(VALU_DEP_4)
	v_pk_fma_f32 v[12:13], v[22:23], v[24:25], v[12:13] op_sel_hi:[1,0,1]
	v_cvt_f32_f16_e32 v23, v63
	v_pk_fma_f32 v[10:11], v[42:43], v[24:25], v[10:11] op_sel_hi:[1,0,1]
	v_cvt_f32_f16_e32 v24, v25
	v_cvt_f32_f16_e32 v25, v66
	v_pk_fma_f32 v[12:13], v[38:39], v[34:35], v[12:13] op_sel_hi:[1,0,1]
	v_cvt_f32_f16_e32 v22, v55
	v_pk_fma_f32 v[10:11], v[32:33], v[34:35], v[10:11] op_sel_hi:[1,0,1]
	v_lshrrev_b32_e32 v33, 16, v60
	v_cvt_f32_f16_e32 v32, v60
	v_pk_fma_f32 v[12:13], v[30:31], v[24:25], v[12:13] op_sel_hi:[1,0,1]
	v_cvt_f32_f16_e32 v31, v56
	v_pk_fma_f32 v[10:11], v[48:49], v[24:25], v[10:11] op_sel_hi:[1,0,1]
	v_cvt_f32_f16_e32 v30, v3
	v_lshrrev_b32_e32 v3, 16, v61
	v_cvt_f32_f16_e32 v34, v33
	v_pk_fma_f32 v[12:13], v[40:41], v[32:33], v[12:13] op_sel_hi:[1,0,1]
	v_pk_fma_f32 v[10:11], v[44:45], v[32:33], v[10:11] op_sel_hi:[1,0,1]
	v_cvt_f32_f16_e32 v32, v61
	v_cvt_f32_f16_e32 v24, v65
	s_delay_alu instid0(VALU_DEP_4) | instskip(NEXT) | instid1(VALU_DEP_4)
	v_pk_fma_f32 v[12:13], v[30:31], v[34:35], v[12:13] op_sel_hi:[1,0,1]
	v_pk_fma_f32 v[10:11], v[22:23], v[34:35], v[10:11] op_sel_hi:[1,0,1]
	v_cvt_f32_f16_e32 v23, v68
	v_cvt_f32_f16_e32 v22, v67
	;; [unrolled: 1-line block ×3, first 2 shown]
	v_pk_fma_f32 v[26:27], v[26:27], v[32:33], v[12:13] op_sel_hi:[1,0,1]
	v_pk_fma_f32 v[10:11], v[28:29], v[32:33], v[10:11] op_sel_hi:[1,0,1]
	s_delay_alu instid0(VALU_DEP_1) | instskip(NEXT) | instid1(VALU_DEP_3)
	v_pk_fma_f32 v[12:13], v[24:25], v[30:31], v[10:11] op_sel_hi:[1,0,1]
	v_pk_fma_f32 v[10:11], v[22:23], v[30:31], v[26:27] op_sel_hi:[1,0,1]
	s_and_not1_b32 exec_lo, exec_lo, s7
	s_cbranch_execnz .LBB96_21
; %bb.22:
	s_or_b32 exec_lo, exec_lo, s7
.LBB96_23:
	s_delay_alu instid0(SALU_CYCLE_1)
	s_or_b32 exec_lo, exec_lo, s6
.LBB96_24:
	s_delay_alu instid0(SALU_CYCLE_1)
	s_or_b32 exec_lo, exec_lo, s3
	s_cbranch_execz .LBB96_26
	s_branch .LBB96_37
.LBB96_25:
                                        ; implicit-def: $vgpr11
                                        ; implicit-def: $vgpr13
.LBB96_26:
	v_dual_mov_b32 v11, 0 :: v_dual_mov_b32 v10, 0
	v_dual_mov_b32 v13, 0 :: v_dual_mov_b32 v12, 0
	s_and_saveexec_b32 s3, s2
	s_cbranch_execz .LBB96_36
; %bb.27:
	v_dual_mov_b32 v11, v1 :: v_dual_bitop2_b32 v10, 8, v0 bitop3:0x54
	v_sub_nc_u64_e32 v[12:13], s[16:17], v[0:1]
	s_delay_alu instid0(VALU_DEP_2) | instskip(NEXT) | instid1(VALU_DEP_1)
	v_sub_nc_u64_e64 v[10:11], v[10:11], s[16:17]
	v_add_nc_u64_e32 v[10:11], v[10:11], v[14:15]
	v_not_b32_e32 v15, v15
	v_not_b32_e32 v14, v14
	s_delay_alu instid0(VALU_DEP_1) | instskip(NEXT) | instid1(VALU_DEP_4)
	v_add_nc_u64_e32 v[12:13], v[12:13], v[14:15]
	v_max_i64 v[10:11], v[10:11], v[6:7]
	s_delay_alu instid0(VALU_DEP_1) | instskip(NEXT) | instid1(VALU_DEP_1)
	v_add_nc_u64_e32 v[14:15], v[12:13], v[10:11]
	v_dual_mov_b32 v13, 0 :: v_dual_bitop2_b32 v12, 24, v14 bitop3:0x40
	s_delay_alu instid0(VALU_DEP_1) | instskip(NEXT) | instid1(VALU_DEP_2)
	v_dual_mov_b32 v11, v13 :: v_dual_mov_b32 v10, v13
	v_cmp_ne_u64_e32 vcc_lo, 24, v[12:13]
	v_mov_b32_e32 v12, v13
	s_and_saveexec_b32 s2, vcc_lo
	s_cbranch_execz .LBB96_31
; %bb.28:
	v_dual_lshrrev_b32 v1, 3, v14 :: v_dual_mov_b32 v11, 0
	v_lshl_add_u64 v[16:17], v[4:5], 2, s[8:9]
	s_mov_b32 s6, 0
	s_delay_alu instid0(VALU_DEP_2) | instskip(NEXT) | instid1(VALU_DEP_1)
	v_dual_mov_b32 v12, v11 :: v_dual_add_nc_u32 v1, 1, v1
	v_dual_mov_b32 v13, v11 :: v_dual_bitop2_b32 v10, 3, v1 bitop3:0x40
	s_delay_alu instid0(VALU_DEP_1)
	v_sub_nc_u64_e32 v[18:19], 0, v[10:11]
	v_mov_b32_e32 v10, v11
.LBB96_29:                              ; =>This Inner Loop Header: Depth=1
	global_load_b32 v1, v[16:17], off
	global_load_b128 v[20:23], v[8:9], off
	v_add_nc_u64_e32 v[18:19], 1, v[18:19]
	v_add_nc_u64_e32 v[4:5], 8, v[4:5]
	s_wait_xcnt 0x1
	v_add_nc_u64_e32 v[16:17], 32, v[16:17]
	s_delay_alu instid0(VALU_DEP_3)
	v_cmp_eq_u64_e32 vcc_lo, 0, v[18:19]
	s_or_b32 s6, vcc_lo, s6
	s_wait_loadcnt 0x1
	v_subrev_nc_u32_e32 v1, s16, v1
	s_wait_loadcnt 0x0
	v_cvt_f32_f16_e32 v32, v23
	v_dual_lshrrev_b32 v3, 16, v21 :: v_dual_lshrrev_b32 v38, 16, v23
	s_delay_alu instid0(VALU_DEP_3) | instskip(SKIP_1) | instid1(VALU_DEP_2)
	v_dual_lshlrev_b32 v24, 2, v1 :: v_dual_lshrrev_b32 v1, 16, v20
	v_cvt_f32_f16_e32 v20, v20
	v_ashrrev_i32_e32 v25, 31, v24
	s_wait_kmcnt 0x0
	s_delay_alu instid0(VALU_DEP_1)
	v_lshl_add_u64 v[28:29], v[24:25], 1, s[4:5]
	global_load_b64 v[30:31], v[28:29], off
	global_load_b128 v[24:27], v[8:9], off offset:16
	s_wait_xcnt 0x1
	v_cvt_f32_f16_e32 v28, v21
	v_lshrrev_b32_e32 v33, 16, v22
	v_cvt_f32_f16_e32 v21, v1
	v_cvt_f32_f16_e32 v29, v3
	;; [unrolled: 1-line block ×3, first 2 shown]
	s_wait_xcnt 0x0
	v_add_nc_u64_e32 v[8:9], 0x100, v[8:9]
	s_wait_loadcnt 0x1
	v_lshrrev_b32_e32 v1, 16, v30
	s_wait_loadcnt 0x0
	v_lshrrev_b32_e32 v37, 16, v26
	v_cvt_f32_f16_e32 v30, v30
	v_dual_lshrrev_b32 v35, 16, v24 :: v_dual_lshrrev_b32 v39, 16, v25
	v_lshrrev_b32_e32 v40, 16, v27
	v_cvt_f32_f16_e32 v23, v33
	v_cvt_f32_f16_e32 v33, v38
	v_cvt_f32_f16_e32 v38, v1
	v_pk_fma_f32 v[12:13], v[20:21], v[30:31], v[12:13] op_sel_hi:[1,0,1]
	v_pk_fma_f32 v[10:11], v[28:29], v[30:31], v[10:11] op_sel_hi:[1,0,1]
	v_cvt_f32_f16_e32 v24, v24
	v_cvt_f32_f16_e32 v34, v25
	;; [unrolled: 1-line block ×4, first 2 shown]
	v_lshrrev_b32_e32 v1, 16, v31
	v_cvt_f32_f16_e32 v20, v31
	v_pk_fma_f32 v[12:13], v[22:23], v[38:39], v[12:13] op_sel_hi:[1,0,1]
	v_pk_fma_f32 v[10:11], v[32:33], v[38:39], v[10:11] op_sel_hi:[1,0,1]
	v_cvt_f32_f16_e32 v26, v26
	v_cvt_f32_f16_e32 v36, v27
	;; [unrolled: 1-line block ×5, first 2 shown]
	v_pk_fma_f32 v[12:13], v[24:25], v[20:21], v[12:13] op_sel_hi:[1,0,1]
	v_pk_fma_f32 v[10:11], v[34:35], v[20:21], v[10:11] op_sel_hi:[1,0,1]
	s_delay_alu instid0(VALU_DEP_2) | instskip(NEXT) | instid1(VALU_DEP_2)
	v_pk_fma_f32 v[12:13], v[26:27], v[22:23], v[12:13] op_sel_hi:[1,0,1]
	v_pk_fma_f32 v[10:11], v[36:37], v[22:23], v[10:11] op_sel_hi:[1,0,1]
	s_and_not1_b32 exec_lo, exec_lo, s6
	s_cbranch_execnz .LBB96_29
; %bb.30:
	s_or_b32 exec_lo, exec_lo, s6
.LBB96_31:
	s_delay_alu instid0(SALU_CYCLE_1) | instskip(NEXT) | instid1(SALU_CYCLE_1)
	s_or_b32 exec_lo, exec_lo, s2
	s_mov_b32 s2, exec_lo
	v_cmpx_lt_u64_e32 23, v[14:15]
	s_cbranch_execz .LBB96_35
; %bb.32:
	v_lshl_add_u64 v[14:15], v[4:5], 2, s[8:9]
	s_mov_b32 s6, 0
	s_delay_alu instid0(VALU_DEP_1)
	v_add_nc_u64_e32 v[14:15], 64, v[14:15]
.LBB96_33:                              ; =>This Inner Loop Header: Depth=1
	global_load_b32 v1, v[14:15], off offset:-64
	global_load_b128 v[16:19], v[8:9], off
	s_clause 0x1
	global_load_b32 v3, v[14:15], off offset:-32
	global_load_b32 v41, v[14:15], off
	s_clause 0x1
	global_load_b128 v[20:23], v[8:9], off offset:16
	global_load_b128 v[24:27], v[8:9], off offset:256
	global_load_b32 v43, v[14:15], off offset:32
	s_clause 0x2
	global_load_b128 v[28:31], v[8:9], off offset:272
	global_load_b128 v[32:35], v[8:9], off offset:512
	;; [unrolled: 1-line block ×3, first 2 shown]
	v_add_nc_u64_e32 v[4:5], 32, v[4:5]
	s_wait_xcnt 0x3
	v_add_nc_u64_e32 v[14:15], 0x80, v[14:15]
	s_delay_alu instid0(VALU_DEP_2)
	v_cmp_ge_i64_e32 vcc_lo, v[4:5], v[6:7]
	s_or_b32 s6, vcc_lo, s6
	s_wait_loadcnt 0x9
	v_subrev_nc_u32_e32 v1, s16, v1
	s_wait_loadcnt 0x8
	v_lshrrev_b32_e32 v65, 16, v19
	s_wait_loadcnt 0x7
	v_subrev_nc_u32_e32 v3, s16, v3
	s_wait_loadcnt 0x6
	v_subrev_nc_u32_e32 v41, s16, v41
	v_cvt_f32_f16_e32 v42, v19
	v_dual_lshrrev_b32 v45, 16, v16 :: v_dual_lshrrev_b32 v60, 16, v17
	s_wait_loadcnt 0x3
	v_subrev_nc_u32_e32 v19, s16, v43
	v_dual_lshlrev_b32 v44, 2, v1 :: v_dual_lshlrev_b32 v46, 2, v3
	v_lshlrev_b32_e32 v48, 2, v41
	v_cvt_f32_f16_e32 v40, v17
	s_delay_alu instid0(VALU_DEP_4) | instskip(SKIP_2) | instid1(VALU_DEP_3)
	v_lshlrev_b32_e32 v50, 2, v19
	v_cvt_f32_f16_e32 v17, v45
	v_dual_ashrrev_i32 v45, 31, v44 :: v_dual_ashrrev_i32 v47, 31, v46
	v_dual_ashrrev_i32 v49, 31, v48 :: v_dual_ashrrev_i32 v51, 31, v50
	v_lshrrev_b32_e32 v3, 16, v21
	s_wait_kmcnt 0x0
	s_delay_alu instid0(VALU_DEP_3)
	v_lshl_add_u64 v[44:45], v[44:45], 1, s[4:5]
	v_lshl_add_u64 v[46:47], v[46:47], 1, s[4:5]
	;; [unrolled: 1-line block ×4, first 2 shown]
	s_clause 0x3
	global_load_b64 v[52:53], v[44:45], off
	global_load_b64 v[54:55], v[46:47], off
	;; [unrolled: 1-line block ×4, first 2 shown]
	v_cvt_f32_f16_e32 v16, v16
	v_dual_lshrrev_b32 v61, 16, v18 :: v_dual_lshrrev_b32 v62, 16, v20
	v_dual_lshrrev_b32 v63, 16, v22 :: v_dual_lshrrev_b32 v64, 16, v24
	v_cvt_f32_f16_e32 v41, v60
	v_cvt_f32_f16_e32 v18, v18
	s_delay_alu instid0(VALU_DEP_4)
	v_cvt_f32_f16_e32 v19, v61
	v_lshrrev_b32_e32 v1, 16, v26
	v_cvt_f32_f16_e32 v43, v65
	v_cvt_f32_f16_e32 v20, v20
	s_wait_loadcnt 0x5
	s_wait_xcnt 0x0
	v_lshrrev_b32_e32 v51, 16, v34
	v_cvt_f32_f16_e32 v22, v22
	v_dual_lshrrev_b32 v49, 16, v31 :: v_dual_lshrrev_b32 v50, 16, v32
	v_lshrrev_b32_e32 v47, 16, v30
	v_cvt_f32_f16_e32 v32, v32
	s_wait_loadcnt 0x4
	v_dual_lshrrev_b32 v60, 16, v38 :: v_dual_lshrrev_b32 v61, 16, v39
	v_cvt_f32_f16_e32 v38, v38
	v_cvt_f32_f16_e32 v46, v39
	s_delay_alu instid0(VALU_DEP_3) | instskip(SKIP_4) | instid1(VALU_DEP_2)
	v_cvt_f32_f16_e32 v39, v60
	s_wait_loadcnt 0x3
	v_cvt_f32_f16_e32 v44, v52
	s_wait_loadcnt 0x2
	v_cvt_f32_f16_e32 v48, v54
	v_pk_fma_f32 v[12:13], v[16:17], v[44:45], v[12:13] op_sel_hi:[1,0,1]
	v_cvt_f32_f16_e32 v16, v24
	v_cvt_f32_f16_e32 v24, v21
	v_lshrrev_b32_e32 v21, 16, v52
	v_pk_fma_f32 v[10:11], v[40:41], v[44:45], v[10:11] op_sel_hi:[1,0,1]
	v_lshrrev_b32_e32 v17, 16, v23
	v_cvt_f32_f16_e32 v40, v23
	v_cvt_f32_f16_e32 v23, v63
	;; [unrolled: 1-line block ×5, first 2 shown]
	v_dual_lshrrev_b32 v17, 16, v53 :: v_dual_lshrrev_b32 v52, 16, v35
	s_delay_alu instid0(VALU_DEP_4)
	v_pk_fma_f32 v[12:13], v[18:19], v[44:45], v[12:13] op_sel_hi:[1,0,1]
	v_lshrrev_b32_e32 v45, 16, v28
	v_cvt_f32_f16_e32 v18, v26
	v_lshrrev_b32_e32 v19, 16, v25
	v_cvt_f32_f16_e32 v26, v25
	v_cvt_f32_f16_e32 v25, v3
	v_pk_fma_f32 v[10:11], v[42:43], v[44:45], v[10:11] op_sel_hi:[1,0,1]
	v_cvt_f32_f16_e32 v44, v53
	v_lshrrev_b32_e32 v43, 16, v27
	v_cvt_f32_f16_e32 v42, v27
	v_cvt_f32_f16_e32 v27, v19
	;; [unrolled: 1-line block ×3, first 2 shown]
	v_pk_fma_f32 v[12:13], v[20:21], v[44:45], v[12:13] op_sel_hi:[1,0,1]
	v_pk_fma_f32 v[10:11], v[24:25], v[44:45], v[10:11] op_sel_hi:[1,0,1]
	v_cvt_f32_f16_e32 v44, v17
	v_cvt_f32_f16_e32 v17, v64
	v_lshrrev_b32_e32 v1, 16, v54
	v_cvt_f32_f16_e32 v43, v43
	v_cvt_f32_f16_e32 v28, v28
	v_pk_fma_f32 v[12:13], v[22:23], v[44:45], v[12:13] op_sel_hi:[1,0,1]
	v_pk_fma_f32 v[10:11], v[40:41], v[44:45], v[10:11] op_sel_hi:[1,0,1]
	v_lshrrev_b32_e32 v3, 16, v29
	v_cvt_f32_f16_e32 v24, v29
	v_cvt_f32_f16_e32 v29, v45
	v_pk_fma_f32 v[12:13], v[16:17], v[48:49], v[12:13] op_sel_hi:[1,0,1]
	v_pk_fma_f32 v[16:17], v[26:27], v[48:49], v[10:11] op_sel_hi:[1,0,1]
	v_cvt_f32_f16_e32 v26, v1
	v_cvt_f32_f16_e32 v25, v3
	;; [unrolled: 1-line block ×4, first 2 shown]
	v_lshrrev_b32_e32 v41, 16, v33
	v_pk_fma_f32 v[18:19], v[18:19], v[26:27], v[12:13] op_sel_hi:[1,0,1]
	global_load_b128 v[10:13], v[8:9], off offset:768
	v_pk_fma_f32 v[26:27], v[42:43], v[26:27], v[16:17] op_sel_hi:[1,0,1]
	v_cvt_f32_f16_e32 v42, v55
	v_cvt_f32_f16_e32 v40, v35
	v_dual_lshrrev_b32 v35, 16, v36 :: v_dual_lshrrev_b32 v53, 16, v37
	v_cvt_f32_f16_e32 v21, v47
	s_delay_alu instid0(VALU_DEP_4)
	v_pk_fma_f32 v[28:29], v[28:29], v[42:43], v[18:19] op_sel_hi:[1,0,1]
	global_load_b128 v[16:19], v[8:9], off offset:784
	v_pk_fma_f32 v[24:25], v[24:25], v[42:43], v[26:27] op_sel_hi:[1,0,1]
	v_cvt_f32_f16_e32 v31, v49
	v_cvt_f32_f16_e32 v22, v34
	;; [unrolled: 1-line block ×7, first 2 shown]
	s_wait_loadcnt 0x3
	v_cvt_f32_f16_e32 v48, v56
	v_cvt_f32_f16_e32 v41, v52
	;; [unrolled: 1-line block ×5, first 2 shown]
	s_wait_xcnt 0x0
	v_add_nc_u64_e32 v[8:9], 0x400, v[8:9]
	v_lshrrev_b32_e32 v23, 16, v55
	s_delay_alu instid0(VALU_DEP_1) | instskip(SKIP_1) | instid1(VALU_DEP_2)
	v_cvt_f32_f16_e32 v26, v23
	v_cvt_f32_f16_e32 v23, v51
	v_pk_fma_f32 v[20:21], v[20:21], v[26:27], v[28:29] op_sel_hi:[1,0,1]
	v_pk_fma_f32 v[24:25], v[30:31], v[26:27], v[24:25] op_sel_hi:[1,0,1]
	s_wait_loadcnt 0x1
	v_dual_lshrrev_b32 v1, 16, v10 :: v_dual_lshrrev_b32 v27, 16, v11
	v_lshrrev_b32_e32 v31, 16, v13
	v_cvt_f32_f16_e32 v26, v11
	v_lshrrev_b32_e32 v11, 16, v56
	v_cvt_f32_f16_e32 v10, v10
	;; [unrolled: 2-line block ×3, first 2 shown]
	s_wait_loadcnt 0x0
	v_dual_lshrrev_b32 v49, 16, v17 :: v_dual_lshrrev_b32 v54, 16, v19
	v_cvt_f32_f16_e32 v30, v17
	v_dual_lshrrev_b32 v17, 16, v57 :: v_dual_lshrrev_b32 v29, 16, v16
	v_lshrrev_b32_e32 v43, 16, v18
	s_delay_alu instid0(VALU_DEP_4)
	v_pk_fma_f32 v[20:21], v[32:33], v[48:49], v[20:21] op_sel_hi:[1,0,1]
	v_cvt_f32_f16_e32 v32, v11
	v_pk_fma_f32 v[24:25], v[34:35], v[48:49], v[24:25] op_sel_hi:[1,0,1]
	v_cvt_f32_f16_e32 v34, v57
	v_cvt_f32_f16_e32 v11, v1
	v_lshrrev_b32_e32 v1, 16, v58
	v_pk_fma_f32 v[20:21], v[22:23], v[32:33], v[20:21] op_sel_hi:[1,0,1]
	v_pk_fma_f32 v[22:23], v[40:41], v[32:33], v[24:25] op_sel_hi:[1,0,1]
	v_cvt_f32_f16_e32 v24, v17
	v_cvt_f32_f16_e32 v32, v58
	v_cvt_f32_f16_e32 v12, v12
	v_pk_fma_f32 v[20:21], v[36:37], v[34:35], v[20:21] op_sel_hi:[1,0,1]
	v_pk_fma_f32 v[22:23], v[44:45], v[34:35], v[22:23] op_sel_hi:[1,0,1]
	v_cvt_f32_f16_e32 v28, v13
	v_cvt_f32_f16_e32 v13, v3
	v_cvt_f32_f16_e32 v17, v29
	;; [unrolled: 5-line block ×3, first 2 shown]
	v_pk_fma_f32 v[10:11], v[10:11], v[32:33], v[20:21] op_sel_hi:[1,0,1]
	v_pk_fma_f32 v[20:21], v[26:27], v[32:33], v[22:23] op_sel_hi:[1,0,1]
	v_cvt_f32_f16_e32 v31, v49
	v_lshrrev_b32_e32 v1, 16, v59
	v_cvt_f32_f16_e32 v22, v59
	v_pk_fma_f32 v[10:11], v[12:13], v[24:25], v[10:11] op_sel_hi:[1,0,1]
	v_pk_fma_f32 v[12:13], v[28:29], v[24:25], v[20:21] op_sel_hi:[1,0,1]
	v_cvt_f32_f16_e32 v18, v18
	v_cvt_f32_f16_e32 v42, v19
	;; [unrolled: 1-line block ×5, first 2 shown]
	v_pk_fma_f32 v[10:11], v[16:17], v[22:23], v[10:11] op_sel_hi:[1,0,1]
	v_pk_fma_f32 v[16:17], v[30:31], v[22:23], v[12:13] op_sel_hi:[1,0,1]
	s_delay_alu instid0(VALU_DEP_2) | instskip(NEXT) | instid1(VALU_DEP_2)
	v_pk_fma_f32 v[12:13], v[18:19], v[20:21], v[10:11] op_sel_hi:[1,0,1]
	v_pk_fma_f32 v[10:11], v[42:43], v[20:21], v[16:17] op_sel_hi:[1,0,1]
	s_and_not1_b32 exec_lo, exec_lo, s6
	s_cbranch_execnz .LBB96_33
; %bb.34:
	s_or_b32 exec_lo, exec_lo, s6
.LBB96_35:
	s_delay_alu instid0(SALU_CYCLE_1)
	s_or_b32 exec_lo, exec_lo, s2
.LBB96_36:
	s_delay_alu instid0(SALU_CYCLE_1)
	s_or_b32 exec_lo, exec_lo, s3
.LBB96_37:
	v_mbcnt_lo_u32_b32 v1, -1, 0
	s_mov_b32 s2, -1
	s_delay_alu instid0(VALU_DEP_1) | instskip(NEXT) | instid1(VALU_DEP_1)
	v_xor_b32_e32 v3, 4, v1
	v_cmp_gt_i32_e32 vcc_lo, 32, v3
	v_cndmask_b32_e32 v3, v1, v3, vcc_lo
	s_delay_alu instid0(VALU_DEP_1)
	v_lshlrev_b32_e32 v3, 2, v3
	ds_bpermute_b32 v4, v3, v12
	ds_bpermute_b32 v5, v3, v13
	ds_bpermute_b32 v6, v3, v10
	ds_bpermute_b32 v7, v3, v11
	v_xor_b32_e32 v3, 2, v1
	s_delay_alu instid0(VALU_DEP_1) | instskip(SKIP_1) | instid1(VALU_DEP_1)
	v_cmp_gt_i32_e32 vcc_lo, 32, v3
	v_cndmask_b32_e32 v3, v1, v3, vcc_lo
	v_lshlrev_b32_e32 v3, 2, v3
	s_wait_dscnt 0x2
	v_pk_add_f32 v[4:5], v[12:13], v[4:5]
	s_wait_dscnt 0x0
	v_pk_add_f32 v[6:7], v[10:11], v[6:7]
	ds_bpermute_b32 v8, v3, v4
	ds_bpermute_b32 v9, v3, v5
	;; [unrolled: 1-line block ×4, first 2 shown]
	v_xor_b32_e32 v3, 1, v1
	s_delay_alu instid0(VALU_DEP_1) | instskip(SKIP_2) | instid1(VALU_DEP_2)
	v_cmp_gt_i32_e32 vcc_lo, 32, v3
	v_cndmask_b32_e32 v1, v1, v3, vcc_lo
	v_cmp_eq_u32_e32 vcc_lo, 7, v0
	v_lshlrev_b32_e32 v1, 2, v1
	s_wait_dscnt 0x2
	v_pk_add_f32 v[4:5], v[4:5], v[8:9]
	s_wait_dscnt 0x0
	v_pk_add_f32 v[6:7], v[6:7], v[10:11]
	ds_bpermute_b32 v10, v1, v4
	ds_bpermute_b32 v11, v1, v5
	;; [unrolled: 1-line block ×4, first 2 shown]
	s_and_b32 exec_lo, exec_lo, vcc_lo
	s_cbranch_execz .LBB96_10
; %bb.38:
	s_load_b64 s[0:1], s[0:1], 0x50
	s_wait_dscnt 0x2
	v_pk_add_f32 v[4:5], v[4:5], v[10:11]
	s_wait_dscnt 0x0
	v_pk_add_f32 v[0:1], v[6:7], v[8:9]
	v_lshlrev_b32_e32 v2, 2, v2
	s_cmp_eq_f32 s14, 0
	s_cbranch_scc0 .LBB96_40
; %bb.39:
	s_delay_alu instid0(VALU_DEP_1)
	v_ashrrev_i32_e32 v3, 31, v2
	v_pk_mul_f32 v[6:7], s[12:13], v[4:5] op_sel_hi:[0,1]
	v_pk_mul_f32 v[8:9], s[12:13], v[0:1] op_sel_hi:[0,1]
	s_mov_b32 s2, 0
	s_wait_kmcnt 0x0
	v_lshl_add_u64 v[10:11], v[2:3], 2, s[0:1]
	global_store_b128 v[10:11], v[6:9], off
.LBB96_40:
	s_and_not1_b32 vcc_lo, exec_lo, s2
	s_cbranch_vccnz .LBB96_10
; %bb.41:
	v_ashrrev_i32_e32 v3, 31, v2
	s_wait_kmcnt 0x0
	s_delay_alu instid0(VALU_DEP_1)
	v_lshl_add_u64 v[10:11], v[2:3], 2, s[0:1]
	v_pk_mul_f32 v[2:3], s[12:13], v[4:5] op_sel_hi:[0,1]
	v_pk_mul_f32 v[4:5], s[12:13], v[0:1] op_sel_hi:[0,1]
	global_load_b128 v[6:9], v[10:11], off
	s_wait_loadcnt 0x0
	v_pk_fma_f32 v[0:1], s[14:15], v[6:7], v[2:3] op_sel_hi:[0,1,1]
	v_pk_fma_f32 v[2:3], s[14:15], v[8:9], v[4:5] op_sel_hi:[0,1,1]
	global_store_b128 v[10:11], v[0:3], off
	s_sendmsg sendmsg(MSG_DEALLOC_VGPRS)
	s_endpgm
	.section	.rodata,"a",@progbits
	.p2align	6, 0x0
	.amdhsa_kernel _ZN9rocsparseL18bsrxmvn_4x4_kernelILj128ELj8EfliDF16_DF16_fEEvT3_20rocsparse_direction_NS_24const_host_device_scalarIT1_EES1_PKS1_PKT2_SA_S7_PKT4_PKT5_S5_PT6_21rocsparse_index_base_b
		.amdhsa_group_segment_fixed_size 0
		.amdhsa_private_segment_fixed_size 0
		.amdhsa_kernarg_size 96
		.amdhsa_user_sgpr_count 2
		.amdhsa_user_sgpr_dispatch_ptr 0
		.amdhsa_user_sgpr_queue_ptr 0
		.amdhsa_user_sgpr_kernarg_segment_ptr 1
		.amdhsa_user_sgpr_dispatch_id 0
		.amdhsa_user_sgpr_kernarg_preload_length 0
		.amdhsa_user_sgpr_kernarg_preload_offset 0
		.amdhsa_user_sgpr_private_segment_size 0
		.amdhsa_wavefront_size32 1
		.amdhsa_uses_dynamic_stack 0
		.amdhsa_enable_private_segment 0
		.amdhsa_system_sgpr_workgroup_id_x 1
		.amdhsa_system_sgpr_workgroup_id_y 0
		.amdhsa_system_sgpr_workgroup_id_z 0
		.amdhsa_system_sgpr_workgroup_info 0
		.amdhsa_system_vgpr_workitem_id 0
		.amdhsa_next_free_vgpr 78
		.amdhsa_next_free_sgpr 18
		.amdhsa_named_barrier_count 0
		.amdhsa_reserve_vcc 1
		.amdhsa_float_round_mode_32 0
		.amdhsa_float_round_mode_16_64 0
		.amdhsa_float_denorm_mode_32 3
		.amdhsa_float_denorm_mode_16_64 3
		.amdhsa_fp16_overflow 0
		.amdhsa_memory_ordered 1
		.amdhsa_forward_progress 1
		.amdhsa_inst_pref_size 36
		.amdhsa_round_robin_scheduling 0
		.amdhsa_exception_fp_ieee_invalid_op 0
		.amdhsa_exception_fp_denorm_src 0
		.amdhsa_exception_fp_ieee_div_zero 0
		.amdhsa_exception_fp_ieee_overflow 0
		.amdhsa_exception_fp_ieee_underflow 0
		.amdhsa_exception_fp_ieee_inexact 0
		.amdhsa_exception_int_div_zero 0
	.end_amdhsa_kernel
	.section	.text._ZN9rocsparseL18bsrxmvn_4x4_kernelILj128ELj8EfliDF16_DF16_fEEvT3_20rocsparse_direction_NS_24const_host_device_scalarIT1_EES1_PKS1_PKT2_SA_S7_PKT4_PKT5_S5_PT6_21rocsparse_index_base_b,"axG",@progbits,_ZN9rocsparseL18bsrxmvn_4x4_kernelILj128ELj8EfliDF16_DF16_fEEvT3_20rocsparse_direction_NS_24const_host_device_scalarIT1_EES1_PKS1_PKT2_SA_S7_PKT4_PKT5_S5_PT6_21rocsparse_index_base_b,comdat
.Lfunc_end96:
	.size	_ZN9rocsparseL18bsrxmvn_4x4_kernelILj128ELj8EfliDF16_DF16_fEEvT3_20rocsparse_direction_NS_24const_host_device_scalarIT1_EES1_PKS1_PKT2_SA_S7_PKT4_PKT5_S5_PT6_21rocsparse_index_base_b, .Lfunc_end96-_ZN9rocsparseL18bsrxmvn_4x4_kernelILj128ELj8EfliDF16_DF16_fEEvT3_20rocsparse_direction_NS_24const_host_device_scalarIT1_EES1_PKS1_PKT2_SA_S7_PKT4_PKT5_S5_PT6_21rocsparse_index_base_b
                                        ; -- End function
	.set _ZN9rocsparseL18bsrxmvn_4x4_kernelILj128ELj8EfliDF16_DF16_fEEvT3_20rocsparse_direction_NS_24const_host_device_scalarIT1_EES1_PKS1_PKT2_SA_S7_PKT4_PKT5_S5_PT6_21rocsparse_index_base_b.num_vgpr, 78
	.set _ZN9rocsparseL18bsrxmvn_4x4_kernelILj128ELj8EfliDF16_DF16_fEEvT3_20rocsparse_direction_NS_24const_host_device_scalarIT1_EES1_PKS1_PKT2_SA_S7_PKT4_PKT5_S5_PT6_21rocsparse_index_base_b.num_agpr, 0
	.set _ZN9rocsparseL18bsrxmvn_4x4_kernelILj128ELj8EfliDF16_DF16_fEEvT3_20rocsparse_direction_NS_24const_host_device_scalarIT1_EES1_PKS1_PKT2_SA_S7_PKT4_PKT5_S5_PT6_21rocsparse_index_base_b.numbered_sgpr, 18
	.set _ZN9rocsparseL18bsrxmvn_4x4_kernelILj128ELj8EfliDF16_DF16_fEEvT3_20rocsparse_direction_NS_24const_host_device_scalarIT1_EES1_PKS1_PKT2_SA_S7_PKT4_PKT5_S5_PT6_21rocsparse_index_base_b.num_named_barrier, 0
	.set _ZN9rocsparseL18bsrxmvn_4x4_kernelILj128ELj8EfliDF16_DF16_fEEvT3_20rocsparse_direction_NS_24const_host_device_scalarIT1_EES1_PKS1_PKT2_SA_S7_PKT4_PKT5_S5_PT6_21rocsparse_index_base_b.private_seg_size, 0
	.set _ZN9rocsparseL18bsrxmvn_4x4_kernelILj128ELj8EfliDF16_DF16_fEEvT3_20rocsparse_direction_NS_24const_host_device_scalarIT1_EES1_PKS1_PKT2_SA_S7_PKT4_PKT5_S5_PT6_21rocsparse_index_base_b.uses_vcc, 1
	.set _ZN9rocsparseL18bsrxmvn_4x4_kernelILj128ELj8EfliDF16_DF16_fEEvT3_20rocsparse_direction_NS_24const_host_device_scalarIT1_EES1_PKS1_PKT2_SA_S7_PKT4_PKT5_S5_PT6_21rocsparse_index_base_b.uses_flat_scratch, 0
	.set _ZN9rocsparseL18bsrxmvn_4x4_kernelILj128ELj8EfliDF16_DF16_fEEvT3_20rocsparse_direction_NS_24const_host_device_scalarIT1_EES1_PKS1_PKT2_SA_S7_PKT4_PKT5_S5_PT6_21rocsparse_index_base_b.has_dyn_sized_stack, 0
	.set _ZN9rocsparseL18bsrxmvn_4x4_kernelILj128ELj8EfliDF16_DF16_fEEvT3_20rocsparse_direction_NS_24const_host_device_scalarIT1_EES1_PKS1_PKT2_SA_S7_PKT4_PKT5_S5_PT6_21rocsparse_index_base_b.has_recursion, 0
	.set _ZN9rocsparseL18bsrxmvn_4x4_kernelILj128ELj8EfliDF16_DF16_fEEvT3_20rocsparse_direction_NS_24const_host_device_scalarIT1_EES1_PKS1_PKT2_SA_S7_PKT4_PKT5_S5_PT6_21rocsparse_index_base_b.has_indirect_call, 0
	.section	.AMDGPU.csdata,"",@progbits
; Kernel info:
; codeLenInByte = 4608
; TotalNumSgprs: 20
; NumVgprs: 78
; ScratchSize: 0
; MemoryBound: 0
; FloatMode: 240
; IeeeMode: 1
; LDSByteSize: 0 bytes/workgroup (compile time only)
; SGPRBlocks: 0
; VGPRBlocks: 4
; NumSGPRsForWavesPerEU: 20
; NumVGPRsForWavesPerEU: 78
; NamedBarCnt: 0
; Occupancy: 12
; WaveLimiterHint : 1
; COMPUTE_PGM_RSRC2:SCRATCH_EN: 0
; COMPUTE_PGM_RSRC2:USER_SGPR: 2
; COMPUTE_PGM_RSRC2:TRAP_HANDLER: 0
; COMPUTE_PGM_RSRC2:TGID_X_EN: 1
; COMPUTE_PGM_RSRC2:TGID_Y_EN: 0
; COMPUTE_PGM_RSRC2:TGID_Z_EN: 0
; COMPUTE_PGM_RSRC2:TIDIG_COMP_CNT: 0
	.section	.text._ZN9rocsparseL18bsrxmvn_4x4_kernelILj128ELj16EfliDF16_DF16_fEEvT3_20rocsparse_direction_NS_24const_host_device_scalarIT1_EES1_PKS1_PKT2_SA_S7_PKT4_PKT5_S5_PT6_21rocsparse_index_base_b,"axG",@progbits,_ZN9rocsparseL18bsrxmvn_4x4_kernelILj128ELj16EfliDF16_DF16_fEEvT3_20rocsparse_direction_NS_24const_host_device_scalarIT1_EES1_PKS1_PKT2_SA_S7_PKT4_PKT5_S5_PT6_21rocsparse_index_base_b,comdat
	.globl	_ZN9rocsparseL18bsrxmvn_4x4_kernelILj128ELj16EfliDF16_DF16_fEEvT3_20rocsparse_direction_NS_24const_host_device_scalarIT1_EES1_PKS1_PKT2_SA_S7_PKT4_PKT5_S5_PT6_21rocsparse_index_base_b ; -- Begin function _ZN9rocsparseL18bsrxmvn_4x4_kernelILj128ELj16EfliDF16_DF16_fEEvT3_20rocsparse_direction_NS_24const_host_device_scalarIT1_EES1_PKS1_PKT2_SA_S7_PKT4_PKT5_S5_PT6_21rocsparse_index_base_b
	.p2align	8
	.type	_ZN9rocsparseL18bsrxmvn_4x4_kernelILj128ELj16EfliDF16_DF16_fEEvT3_20rocsparse_direction_NS_24const_host_device_scalarIT1_EES1_PKS1_PKT2_SA_S7_PKT4_PKT5_S5_PT6_21rocsparse_index_base_b,@function
_ZN9rocsparseL18bsrxmvn_4x4_kernelILj128ELj16EfliDF16_DF16_fEEvT3_20rocsparse_direction_NS_24const_host_device_scalarIT1_EES1_PKS1_PKT2_SA_S7_PKT4_PKT5_S5_PT6_21rocsparse_index_base_b: ; @_ZN9rocsparseL18bsrxmvn_4x4_kernelILj128ELj16EfliDF16_DF16_fEEvT3_20rocsparse_direction_NS_24const_host_device_scalarIT1_EES1_PKS1_PKT2_SA_S7_PKT4_PKT5_S5_PT6_21rocsparse_index_base_b
; %bb.0:
	s_clause 0x2
	s_load_b64 s[16:17], s[0:1], 0x58
	s_load_b64 s[12:13], s[0:1], 0x8
	;; [unrolled: 1-line block ×3, first 2 shown]
	s_wait_kmcnt 0x0
	s_bitcmp1_b32 s17, 0
	s_cselect_b32 s2, -1, 0
	s_delay_alu instid0(SALU_CYCLE_1)
	s_and_b32 vcc_lo, exec_lo, s2
	s_xor_b32 s2, s2, -1
	s_cbranch_vccnz .LBB97_2
; %bb.1:
	s_load_b32 s12, s[12:13], 0x0
.LBB97_2:
	s_and_not1_b32 vcc_lo, exec_lo, s2
	s_cbranch_vccnz .LBB97_4
; %bb.3:
	s_load_b32 s14, s[14:15], 0x0
.LBB97_4:
	s_wait_kmcnt 0x0
	s_cmp_neq_f32 s12, 0
	s_mov_b32 s6, 0
	s_cselect_b32 s2, -1, 0
	s_cmp_neq_f32 s14, 1.0
	s_cselect_b32 s3, -1, 0
	s_delay_alu instid0(SALU_CYCLE_1) | instskip(NEXT) | instid1(SALU_CYCLE_1)
	s_or_b32 s2, s2, s3
	s_and_not1_b32 vcc_lo, exec_lo, s2
	s_cbranch_vccnz .LBB97_10
; %bb.5:
	s_clause 0x1
	s_load_b64 s[4:5], s[0:1], 0x18
	s_load_b64 s[2:3], s[0:1], 0x0
	s_bfe_u32 s7, ttmp6, 0x4000c
	s_and_b32 s8, ttmp6, 15
	s_add_co_i32 s7, s7, 1
	s_getreg_b32 s9, hwreg(HW_REG_IB_STS2, 6, 4)
	s_mul_i32 s7, ttmp9, s7
	v_lshrrev_b32_e32 v1, 4, v0
	s_add_co_i32 s8, s8, s7
	s_cmp_eq_u32 s9, 0
	s_cselect_b32 s7, ttmp9, s8
	s_delay_alu instid0(VALU_DEP_1) | instid1(SALU_CYCLE_1)
	v_lshl_or_b32 v2, s7, 3, v1
	s_wait_kmcnt 0x0
	s_cmp_lg_u64 s[4:5], 0
	s_cbranch_scc0 .LBB97_11
; %bb.6:
	s_load_b32 s6, s[0:1], 0x10
	s_mov_b32 s7, 0
                                        ; implicit-def: $vgpr1
	s_wait_kmcnt 0x0
	v_cmp_gt_i32_e32 vcc_lo, s6, v2
	s_mov_b32 s6, 0
	s_and_saveexec_b32 s8, vcc_lo
	s_delay_alu instid0(SALU_CYCLE_1)
	s_xor_b32 s8, exec_lo, s8
	s_cbranch_execz .LBB97_8
; %bb.7:
	global_load_b32 v1, v2, s[4:5] scale_offset
	s_mov_b32 s6, exec_lo
	s_wait_loadcnt 0x0
	v_subrev_nc_u32_e32 v1, s16, v1
.LBB97_8:
	s_or_b32 exec_lo, exec_lo, s8
	s_delay_alu instid0(SALU_CYCLE_1)
	s_and_b32 vcc_lo, exec_lo, s7
	s_cbranch_vccz .LBB97_12
.LBB97_9:
	v_cmp_gt_i32_e32 vcc_lo, s2, v2
	s_and_not1_b32 s2, s6, exec_lo
	s_and_b32 s4, vcc_lo, exec_lo
	s_delay_alu instid0(SALU_CYCLE_1) | instskip(NEXT) | instid1(SALU_CYCLE_1)
	s_or_b32 s6, s2, s4
	s_and_saveexec_b32 s2, s6
	s_cbranch_execnz .LBB97_13
.LBB97_10:
	s_sendmsg sendmsg(MSG_DEALLOC_VGPRS)
	s_endpgm
.LBB97_11:
                                        ; implicit-def: $vgpr1
	s_cbranch_execnz .LBB97_9
.LBB97_12:
	s_delay_alu instid0(VALU_DEP_1)
	v_mov_b32_e32 v2, v1
	s_and_saveexec_b32 s2, s6
	s_cbranch_execz .LBB97_10
.LBB97_13:
	s_load_b256 s[4:11], s[0:1], 0x20
	s_mov_b32 s17, 0
	v_dual_mov_b32 v1, 0 :: v_dual_bitop2_b32 v0, 15, v0 bitop3:0x40
	s_wait_kmcnt 0x0
	s_cmp_eq_u64 s[6:7], 0
	global_load_b64 v[14:15], v2, s[4:5] scale_offset
	s_cselect_b32 vcc_lo, -1, 0
	v_ashrrev_i32_e32 v3, 31, v2
	s_cmp_eq_u32 s3, 1
	s_delay_alu instid0(VALU_DEP_1) | instskip(NEXT) | instid1(VALU_DEP_1)
	v_lshlrev_b64_e32 v[4:5], 3, v[2:3]
	v_add_nc_u64_e32 v[6:7], s[4:5], v[4:5]
	v_add_nc_u64_e32 v[4:5], s[6:7], v[4:5]
	s_wait_xcnt 0x0
	s_load_b64 s[4:5], s[0:1], 0x40
	s_delay_alu instid0(VALU_DEP_2) | instskip(NEXT) | instid1(VALU_DEP_1)
	v_add_nc_u64_e32 v[6:7], 8, v[6:7]
	v_dual_cndmask_b32 v5, v5, v7 :: v_dual_cndmask_b32 v4, v4, v6
	global_load_b64 v[6:7], v[4:5], off
	s_wait_loadcnt 0x1
	s_wait_xcnt 0x0
	v_sub_nc_u64_e64 v[4:5], v[14:15], s[16:17]
	s_delay_alu instid0(VALU_DEP_1) | instskip(NEXT) | instid1(VALU_DEP_1)
	v_add_nc_u64_e32 v[4:5], v[4:5], v[0:1]
	v_lshlrev_b64_e32 v[8:9], 5, v[4:5]
	s_delay_alu instid0(VALU_DEP_1) | instskip(SKIP_2) | instid1(VALU_DEP_1)
	v_add_nc_u64_e32 v[8:9], s[10:11], v[8:9]
	s_wait_loadcnt 0x0
	v_sub_nc_u64_e64 v[6:7], v[6:7], s[16:17]
	v_cmp_lt_i64_e64 s2, v[4:5], v[6:7]
	s_cbranch_scc1 .LBB97_25
; %bb.14:
	v_dual_mov_b32 v13, v1 :: v_dual_mov_b32 v12, v1
	v_dual_mov_b32 v11, v1 :: v_dual_mov_b32 v10, v1
	s_and_saveexec_b32 s3, s2
	s_cbranch_execz .LBB97_24
; %bb.15:
	v_dual_mov_b32 v11, v1 :: v_dual_bitop2_b32 v10, 16, v0 bitop3:0x54
	v_sub_nc_u64_e32 v[12:13], s[16:17], v[0:1]
	v_not_b32_e32 v17, v15
	v_not_b32_e32 v16, v14
	v_mov_b64_e32 v[18:19], v[8:9]
	v_sub_nc_u64_e64 v[10:11], v[10:11], s[16:17]
	s_delay_alu instid0(VALU_DEP_3) | instskip(SKIP_1) | instid1(VALU_DEP_3)
	v_add_nc_u64_e32 v[12:13], v[12:13], v[16:17]
	v_mov_b64_e32 v[16:17], v[4:5]
	v_add_nc_u64_e32 v[10:11], v[10:11], v[14:15]
	s_delay_alu instid0(VALU_DEP_1) | instskip(NEXT) | instid1(VALU_DEP_1)
	v_max_i64 v[10:11], v[10:11], v[6:7]
	v_add_nc_u64_e32 v[20:21], v[12:13], v[10:11]
	s_delay_alu instid0(VALU_DEP_1) | instskip(NEXT) | instid1(VALU_DEP_1)
	v_dual_mov_b32 v11, 0 :: v_dual_bitop2_b32 v10, 48, v20 bitop3:0x40
	v_dual_mov_b32 v12, v11 :: v_dual_mov_b32 v13, v11
	s_delay_alu instid0(VALU_DEP_2)
	v_cmp_ne_u64_e32 vcc_lo, 48, v[10:11]
	v_mov_b32_e32 v10, v11
	s_and_saveexec_b32 s6, vcc_lo
	s_cbranch_execz .LBB97_19
; %bb.16:
	v_dual_lshrrev_b32 v3, 4, v20 :: v_dual_mov_b32 v13, 0
	v_mov_b64_e32 v[18:19], v[8:9]
	v_mov_b64_e32 v[16:17], v[4:5]
	v_lshl_add_u64 v[22:23], v[4:5], 2, s[8:9]
	s_delay_alu instid0(VALU_DEP_4) | instskip(SKIP_1) | instid1(VALU_DEP_1)
	v_dual_mov_b32 v10, v13 :: v_dual_add_nc_u32 v3, 1, v3
	s_mov_b32 s7, 0
	v_dual_mov_b32 v11, v13 :: v_dual_bitop2_b32 v12, 3, v3 bitop3:0x40
	s_delay_alu instid0(VALU_DEP_1)
	v_sub_nc_u64_e32 v[24:25], 0, v[12:13]
	v_mov_b32_e32 v12, v13
.LBB97_17:                              ; =>This Inner Loop Header: Depth=1
	global_load_b32 v3, v[22:23], off
	global_load_b128 v[26:29], v[18:19], off
	v_add_nc_u64_e32 v[24:25], 1, v[24:25]
	v_add_nc_u64_e32 v[16:17], 16, v[16:17]
	s_wait_xcnt 0x1
	v_add_nc_u64_e32 v[22:23], 64, v[22:23]
	s_delay_alu instid0(VALU_DEP_3)
	v_cmp_eq_u64_e32 vcc_lo, 0, v[24:25]
	s_or_b32 s7, vcc_lo, s7
	s_wait_loadcnt 0x1
	v_subrev_nc_u32_e32 v3, s16, v3
	s_wait_loadcnt 0x0
	v_dual_lshrrev_b32 v41, 16, v28 :: v_dual_lshrrev_b32 v44, 16, v27
	s_delay_alu instid0(VALU_DEP_2) | instskip(NEXT) | instid1(VALU_DEP_2)
	v_dual_lshlrev_b32 v30, 2, v3 :: v_dual_lshrrev_b32 v3, 16, v26
	v_cvt_f32_f16_e32 v41, v41
	s_delay_alu instid0(VALU_DEP_2) | instskip(NEXT) | instid1(VALU_DEP_3)
	v_ashrrev_i32_e32 v31, 31, v30
	v_cvt_f32_f16_e32 v40, v3
	s_wait_kmcnt 0x0
	s_delay_alu instid0(VALU_DEP_2)
	v_lshl_add_u64 v[34:35], v[30:31], 1, s[4:5]
	global_load_b128 v[30:33], v[18:19], off offset:16
	global_load_b64 v[36:37], v[34:35], off
	s_wait_xcnt 0x0
	v_cvt_f32_f16_e32 v35, v29
	v_lshrrev_b32_e32 v29, 16, v29
	v_cvt_f32_f16_e32 v34, v27
	v_add_nc_u64_e32 v[18:19], 0x200, v[18:19]
	s_delay_alu instid0(VALU_DEP_3)
	v_cvt_f32_f16_e32 v27, v29
	s_wait_loadcnt 0x1
	v_dual_lshrrev_b32 v42, 16, v30 :: v_dual_lshrrev_b32 v43, 16, v32
	s_wait_loadcnt 0x0
	v_lshrrev_b32_e32 v3, 16, v36
	v_fma_mix_f32 v10, v26, v36, v10 op_sel_hi:[1,1,0]
	v_fma_mix_f32 v11, v28, v36, v11 op_sel_hi:[1,1,0]
	v_cvt_f32_f16_e32 v42, v42
	v_cvt_f32_f16_e32 v43, v43
	v_fma_mix_f32 v12, v30, v36, v12 op_sel_hi:[1,1,0]
	v_fma_mix_f32 v13, v32, v36, v13 op_sel_hi:[1,1,0]
	v_cvt_f32_f16_e32 v28, v3
	v_cvt_f32_f16_e32 v39, v33
	;; [unrolled: 1-line block ×3, first 2 shown]
	v_dual_lshrrev_b32 v33, 16, v33 :: v_dual_lshrrev_b32 v31, 16, v31
	v_lshrrev_b32_e32 v3, 16, v37
	v_cvt_f32_f16_e32 v30, v37
	v_pk_fma_f32 v[10:11], v[40:41], v[28:29], v[10:11] op_sel_hi:[1,0,1]
	v_pk_fma_f32 v[12:13], v[42:43], v[28:29], v[12:13] op_sel_hi:[1,0,1]
	v_cvt_f32_f16_e32 v26, v44
	v_cvt_f32_f16_e32 v29, v33
	v_cvt_f32_f16_e32 v28, v31
	v_cvt_f32_f16_e32 v32, v3
	v_pk_fma_f32 v[10:11], v[34:35], v[30:31], v[10:11] op_sel_hi:[1,0,1]
	v_pk_fma_f32 v[12:13], v[38:39], v[30:31], v[12:13] op_sel_hi:[1,0,1]
	s_delay_alu instid0(VALU_DEP_2) | instskip(NEXT) | instid1(VALU_DEP_2)
	v_pk_fma_f32 v[10:11], v[26:27], v[32:33], v[10:11] op_sel_hi:[1,0,1]
	v_pk_fma_f32 v[12:13], v[28:29], v[32:33], v[12:13] op_sel_hi:[1,0,1]
	s_and_not1_b32 exec_lo, exec_lo, s7
	s_cbranch_execnz .LBB97_17
; %bb.18:
	s_or_b32 exec_lo, exec_lo, s7
.LBB97_19:
	s_delay_alu instid0(SALU_CYCLE_1) | instskip(NEXT) | instid1(SALU_CYCLE_1)
	s_or_b32 exec_lo, exec_lo, s6
	s_mov_b32 s6, exec_lo
	v_cmpx_lt_u64_e32 47, v[20:21]
	s_cbranch_execz .LBB97_23
; %bb.20:
	v_lshl_add_u64 v[20:21], v[16:17], 2, s[8:9]
	s_mov_b32 s7, 0
	s_delay_alu instid0(VALU_DEP_1)
	v_add_nc_u64_e32 v[20:21], 0x80, v[20:21]
.LBB97_21:                              ; =>This Inner Loop Header: Depth=1
	global_load_b32 v3, v[20:21], off offset:-128
	s_clause 0x3
	global_load_b128 v[22:25], v[18:19], off
	global_load_b128 v[26:29], v[18:19], off offset:16
	global_load_b128 v[30:33], v[18:19], off offset:512
	;; [unrolled: 1-line block ×3, first 2 shown]
	s_clause 0x2
	global_load_b32 v52, v[20:21], off offset:-64
	global_load_b32 v53, v[20:21], off
	global_load_b32 v54, v[20:21], off offset:64
	s_clause 0x1
	global_load_b128 v[38:41], v[18:19], off offset:528
	global_load_b128 v[42:45], v[18:19], off offset:1040
	v_add_nc_u64_e32 v[16:17], 64, v[16:17]
	s_wait_xcnt 0x2
	v_add_nc_u64_e32 v[20:21], 0x100, v[20:21]
	s_delay_alu instid0(VALU_DEP_2)
	v_cmp_ge_i64_e32 vcc_lo, v[16:17], v[6:7]
	s_or_b32 s7, vcc_lo, s7
	s_wait_loadcnt 0x9
	v_subrev_nc_u32_e32 v3, s16, v3
	s_wait_loadcnt 0x8
	v_cvt_f32_f16_e32 v46, v23
	v_dual_lshrrev_b32 v70, 16, v25 :: v_dual_lshrrev_b32 v71, 16, v23
	v_cvt_f32_f16_e32 v47, v25
	s_wait_loadcnt 0x4
	v_subrev_nc_u32_e32 v23, s16, v52
	s_wait_loadcnt 0x3
	v_subrev_nc_u32_e32 v25, s16, v53
	v_cvt_f32_f16_e32 v51, v33
	v_dual_lshrrev_b32 v74, 16, v31 :: v_dual_lshrrev_b32 v75, 16, v33
	s_wait_loadcnt 0x2
	v_subrev_nc_u32_e32 v33, s16, v54
	v_cvt_f32_f16_e32 v49, v32
	v_dual_lshrrev_b32 v72, 16, v30 :: v_dual_lshrrev_b32 v73, 16, v32
	v_dual_lshlrev_b32 v32, 2, v3 :: v_dual_lshlrev_b32 v54, 2, v25
	s_delay_alu instid0(VALU_DEP_4) | instskip(NEXT) | instid1(VALU_DEP_2)
	v_dual_lshlrev_b32 v52, 2, v23 :: v_dual_lshlrev_b32 v56, 2, v33
	v_dual_lshrrev_b32 v3, 16, v34 :: v_dual_ashrrev_i32 v33, 31, v32
	s_delay_alu instid0(VALU_DEP_2) | instskip(NEXT) | instid1(VALU_DEP_3)
	v_dual_ashrrev_i32 v55, 31, v54 :: v_dual_ashrrev_i32 v53, 31, v52
	v_dual_ashrrev_i32 v57, 31, v56 :: v_dual_lshrrev_b32 v66, 16, v22
	v_lshrrev_b32_e32 v67, 16, v24
	s_wait_kmcnt 0x0
	v_lshl_add_u64 v[32:33], v[32:33], 1, s[4:5]
	v_lshl_add_u64 v[52:53], v[52:53], 1, s[4:5]
	;; [unrolled: 1-line block ×4, first 2 shown]
	s_clause 0x3
	global_load_b64 v[58:59], v[32:33], off
	global_load_b64 v[60:61], v[52:53], off
	;; [unrolled: 1-line block ×4, first 2 shown]
	v_cvt_f32_f16_e32 v48, v30
	v_cvt_f32_f16_e32 v30, v34
	v_dual_lshrrev_b32 v68, 16, v26 :: v_dual_lshrrev_b32 v69, 16, v28
	v_cvt_f32_f16_e32 v25, v67
	v_cvt_f32_f16_e32 v23, v29
	s_wait_xcnt 0x0
	v_dual_lshrrev_b32 v55, 16, v29 :: v_dual_lshrrev_b32 v56, 16, v27
	s_wait_loadcnt 0x5
	v_dual_lshrrev_b32 v57, 16, v38 :: v_dual_lshrrev_b32 v76, 16, v40
	v_dual_lshrrev_b32 v77, 16, v39 :: v_dual_lshrrev_b32 v78, 16, v41
	v_cvt_f32_f16_e32 v50, v31
	v_cvt_f32_f16_e32 v31, v36
	v_dual_lshrrev_b32 v52, 16, v36 :: v_dual_lshrrev_b32 v54, 16, v37
	v_cvt_f32_f16_e32 v29, v41
	s_wait_loadcnt 0x4
	v_cvt_f32_f16_e32 v36, v43
	v_cvt_f32_f16_e32 v41, v70
	;; [unrolled: 1-line block ×3, first 2 shown]
	v_lshrrev_b32_e32 v53, 16, v35
	v_cvt_f32_f16_e32 v33, v37
	v_cvt_f32_f16_e32 v37, v45
	v_lshrrev_b32_e32 v67, 16, v43
	v_cvt_f32_f16_e32 v43, v55
	s_wait_loadcnt 0x3
	v_lshrrev_b32_e32 v34, 16, v58
	v_fma_mix_f32 v10, v22, v58, v10 op_sel_hi:[1,1,0]
	v_fma_mix_f32 v11, v24, v58, v11 op_sel_hi:[1,1,0]
	v_cvt_f32_f16_e32 v24, v66
	v_lshrrev_b32_e32 v66, 16, v44
	v_cvt_f32_f16_e32 v34, v34
	v_fma_mix_f32 v12, v26, v58, v12 op_sel_hi:[1,1,0]
	v_fma_mix_f32 v13, v28, v58, v13 op_sel_hi:[1,1,0]
	v_cvt_f32_f16_e32 v22, v27
	v_cvt_f32_f16_e32 v26, v38
	v_pk_fma_f32 v[10:11], v[24:25], v[34:35], v[10:11] op_sel_hi:[1,0,1]
	v_cvt_f32_f16_e32 v24, v68
	v_cvt_f32_f16_e32 v25, v69
	;; [unrolled: 1-line block ×3, first 2 shown]
	v_lshrrev_b32_e32 v68, 16, v45
	v_cvt_f32_f16_e32 v27, v40
	v_lshrrev_b32_e32 v58, 16, v42
	v_pk_fma_f32 v[12:13], v[24:25], v[34:35], v[12:13] op_sel_hi:[1,0,1]
	v_cvt_f32_f16_e32 v24, v59
	v_cvt_f32_f16_e32 v34, v42
	;; [unrolled: 1-line block ×5, first 2 shown]
	v_pk_fma_f32 v[38:39], v[46:47], v[24:25], v[10:11] op_sel_hi:[1,0,1]
	v_pk_fma_f32 v[22:23], v[22:23], v[24:25], v[12:13] op_sel_hi:[1,0,1]
	v_lshrrev_b32_e32 v24, 16, v59
	global_load_b128 v[10:13], v[18:19], off offset:1536
	v_cvt_f32_f16_e32 v44, v3
	s_wait_loadcnt 0x3
	v_lshrrev_b32_e32 v3, 16, v61
	v_cvt_f32_f16_e32 v46, v61
	v_cvt_f32_f16_e32 v24, v24
	;; [unrolled: 1-line block ×3, first 2 shown]
	s_delay_alu instid0(VALU_DEP_4)
	v_cvt_f32_f16_e32 v52, v3
	s_wait_loadcnt 0x2
	v_lshrrev_b32_e32 v3, 16, v62
	v_pk_fma_f32 v[38:39], v[40:41], v[24:25], v[38:39] op_sel_hi:[1,0,1]
	v_pk_fma_f32 v[40:41], v[42:43], v[24:25], v[22:23] op_sel_hi:[1,0,1]
	global_load_b128 v[22:25], v[18:19], off offset:1552
	v_cvt_f32_f16_e32 v42, v60
	s_wait_xcnt 0x0
	v_add_nc_u64_e32 v[18:19], 0x800, v[18:19]
	s_delay_alu instid0(VALU_DEP_2)
	v_pk_fma_f32 v[26:27], v[26:27], v[42:43], v[40:41] op_sel_hi:[1,0,1]
	v_pk_fma_f32 v[38:39], v[48:49], v[42:43], v[38:39] op_sel_hi:[1,0,1]
	v_cvt_f32_f16_e32 v49, v54
	v_cvt_f32_f16_e32 v48, v53
	s_wait_loadcnt 0x1
	v_cvt_f32_f16_e32 v41, v12
	v_dual_lshrrev_b32 v56, 16, v12 :: v_dual_lshrrev_b32 v59, 16, v13
	v_dual_lshrrev_b32 v12, 16, v60 :: v_dual_lshrrev_b32 v47, 16, v10
	v_lshrrev_b32_e32 v55, 16, v11
	v_cvt_f32_f16_e32 v40, v10
	v_cvt_f32_f16_e32 v42, v11
	;; [unrolled: 1-line block ×5, first 2 shown]
	s_wait_loadcnt 0x0
	v_lshrrev_b32_e32 v60, 16, v22
	v_cvt_f32_f16_e32 v12, v12
	v_dual_lshrrev_b32 v69, 16, v24 :: v_dual_lshrrev_b32 v70, 16, v25
	s_delay_alu instid0(VALU_DEP_2) | instskip(SKIP_3) | instid1(VALU_DEP_4)
	v_pk_fma_f32 v[10:11], v[10:11], v[12:13], v[38:39] op_sel_hi:[1,0,1]
	v_cvt_f32_f16_e32 v39, v76
	v_cvt_f32_f16_e32 v38, v57
	v_lshrrev_b32_e32 v57, 16, v23
	v_pk_fma_f32 v[10:11], v[50:51], v[46:47], v[10:11] op_sel_hi:[1,0,1]
	s_delay_alu instid0(VALU_DEP_3)
	v_pk_fma_f32 v[12:13], v[38:39], v[12:13], v[26:27] op_sel_hi:[1,0,1]
	v_cvt_f32_f16_e32 v26, v22
	v_cvt_f32_f16_e32 v27, v24
	;; [unrolled: 1-line block ×8, first 2 shown]
	v_pk_fma_f32 v[12:13], v[28:29], v[46:47], v[12:13] op_sel_hi:[1,0,1]
	v_cvt_f32_f16_e32 v46, v62
	v_pk_fma_f32 v[10:11], v[22:23], v[52:53], v[10:11] op_sel_hi:[1,0,1]
	v_cvt_f32_f16_e32 v29, v66
	v_cvt_f32_f16_e32 v28, v58
	v_pk_fma_f32 v[12:13], v[24:25], v[52:53], v[12:13] op_sel_hi:[1,0,1]
	v_cvt_f32_f16_e32 v24, v3
	v_pk_fma_f32 v[10:11], v[30:31], v[46:47], v[10:11] op_sel_hi:[1,0,1]
	v_lshrrev_b32_e32 v3, 16, v63
	v_cvt_f32_f16_e32 v30, v63
	v_pk_fma_f32 v[12:13], v[34:35], v[46:47], v[12:13] op_sel_hi:[1,0,1]
	v_cvt_f32_f16_e32 v23, v68
	v_pk_fma_f32 v[10:11], v[44:45], v[24:25], v[10:11] op_sel_hi:[1,0,1]
	v_cvt_f32_f16_e32 v22, v67
	s_delay_alu instid0(VALU_DEP_4) | instskip(SKIP_1) | instid1(VALU_DEP_4)
	v_pk_fma_f32 v[12:13], v[28:29], v[24:25], v[12:13] op_sel_hi:[1,0,1]
	v_cvt_f32_f16_e32 v28, v3
	v_pk_fma_f32 v[10:11], v[32:33], v[30:31], v[10:11] op_sel_hi:[1,0,1]
	v_cvt_f32_f16_e32 v29, v59
	v_lshrrev_b32_e32 v3, 16, v64
	v_pk_fma_f32 v[12:13], v[36:37], v[30:31], v[12:13] op_sel_hi:[1,0,1]
	v_cvt_f32_f16_e32 v30, v64
	v_cvt_f32_f16_e32 v25, v56
	v_pk_fma_f32 v[10:11], v[48:49], v[28:29], v[10:11] op_sel_hi:[1,0,1]
	v_cvt_f32_f16_e32 v24, v47
	v_pk_fma_f32 v[12:13], v[22:23], v[28:29], v[12:13] op_sel_hi:[1,0,1]
	v_cvt_f32_f16_e32 v23, v69
	v_cvt_f32_f16_e32 v22, v60
	;; [unrolled: 1-line block ×3, first 2 shown]
	v_pk_fma_f32 v[10:11], v[40:41], v[30:31], v[10:11] op_sel_hi:[1,0,1]
	v_pk_fma_f32 v[12:13], v[26:27], v[30:31], v[12:13] op_sel_hi:[1,0,1]
	v_lshrrev_b32_e32 v3, 16, v65
	v_cvt_f32_f16_e32 v26, v65
	v_cvt_f32_f16_e32 v28, v55
	v_pk_fma_f32 v[10:11], v[24:25], v[32:33], v[10:11] op_sel_hi:[1,0,1]
	v_pk_fma_f32 v[12:13], v[22:23], v[32:33], v[12:13] op_sel_hi:[1,0,1]
	v_cvt_f32_f16_e32 v23, v70
	v_cvt_f32_f16_e32 v22, v57
	;; [unrolled: 1-line block ×3, first 2 shown]
	v_pk_fma_f32 v[10:11], v[42:43], v[26:27], v[10:11] op_sel_hi:[1,0,1]
	v_pk_fma_f32 v[12:13], v[38:39], v[26:27], v[12:13] op_sel_hi:[1,0,1]
	s_delay_alu instid0(VALU_DEP_2) | instskip(NEXT) | instid1(VALU_DEP_2)
	v_pk_fma_f32 v[10:11], v[28:29], v[24:25], v[10:11] op_sel_hi:[1,0,1]
	v_pk_fma_f32 v[12:13], v[22:23], v[24:25], v[12:13] op_sel_hi:[1,0,1]
	s_and_not1_b32 exec_lo, exec_lo, s7
	s_cbranch_execnz .LBB97_21
; %bb.22:
	s_or_b32 exec_lo, exec_lo, s7
.LBB97_23:
	s_delay_alu instid0(SALU_CYCLE_1)
	s_or_b32 exec_lo, exec_lo, s6
.LBB97_24:
	s_delay_alu instid0(SALU_CYCLE_1)
	s_or_b32 exec_lo, exec_lo, s3
	s_cbranch_execz .LBB97_26
	s_branch .LBB97_37
.LBB97_25:
                                        ; implicit-def: $vgpr13
                                        ; implicit-def: $vgpr11
.LBB97_26:
	v_dual_mov_b32 v13, 0 :: v_dual_mov_b32 v12, 0
	v_dual_mov_b32 v11, 0 :: v_dual_mov_b32 v10, 0
	s_and_saveexec_b32 s3, s2
	s_cbranch_execz .LBB97_36
; %bb.27:
	v_dual_mov_b32 v11, v1 :: v_dual_bitop2_b32 v10, 16, v0 bitop3:0x54
	v_sub_nc_u64_e32 v[12:13], s[16:17], v[0:1]
	s_delay_alu instid0(VALU_DEP_2) | instskip(NEXT) | instid1(VALU_DEP_1)
	v_sub_nc_u64_e64 v[10:11], v[10:11], s[16:17]
	v_add_nc_u64_e32 v[10:11], v[10:11], v[14:15]
	v_not_b32_e32 v15, v15
	v_not_b32_e32 v14, v14
	s_delay_alu instid0(VALU_DEP_1) | instskip(NEXT) | instid1(VALU_DEP_4)
	v_add_nc_u64_e32 v[12:13], v[12:13], v[14:15]
	v_max_i64 v[10:11], v[10:11], v[6:7]
	s_delay_alu instid0(VALU_DEP_1) | instskip(SKIP_2) | instid1(VALU_DEP_2)
	v_add_nc_u64_e32 v[16:17], v[12:13], v[10:11]
	v_mov_b32_e32 v12, 0
	v_mov_b64_e32 v[10:11], 0
	v_dual_mov_b32 v15, v12 :: v_dual_bitop2_b32 v14, 48, v16 bitop3:0x40
	s_delay_alu instid0(VALU_DEP_1)
	v_cmp_ne_u64_e32 vcc_lo, 48, v[14:15]
	v_mov_b64_e32 v[14:15], 0
	s_and_saveexec_b32 s2, vcc_lo
	s_cbranch_execz .LBB97_31
; %bb.28:
	v_dual_lshrrev_b32 v1, 4, v16 :: v_dual_mov_b32 v11, v12
	v_lshl_add_u64 v[14:15], v[4:5], 2, s[8:9]
	s_mov_b32 s6, 0
	s_delay_alu instid0(VALU_DEP_2) | instskip(NEXT) | instid1(VALU_DEP_1)
	v_dual_mov_b32 v13, v12 :: v_dual_add_nc_u32 v1, 1, v1
	v_and_b32_e32 v10, 3, v1
	s_delay_alu instid0(VALU_DEP_1)
	v_sub_nc_u64_e32 v[18:19], 0, v[10:11]
	v_mov_b32_e32 v10, v12
.LBB97_29:                              ; =>This Inner Loop Header: Depth=1
	global_load_b32 v1, v[14:15], off
	global_load_b128 v[20:23], v[8:9], off
	v_add_nc_u64_e32 v[18:19], 1, v[18:19]
	v_add_nc_u64_e32 v[4:5], 16, v[4:5]
	s_wait_xcnt 0x1
	v_add_nc_u64_e32 v[14:15], 64, v[14:15]
	s_delay_alu instid0(VALU_DEP_3)
	v_cmp_eq_u64_e32 vcc_lo, 0, v[18:19]
	s_or_b32 s6, vcc_lo, s6
	s_wait_loadcnt 0x1
	v_subrev_nc_u32_e32 v1, s16, v1
	s_wait_loadcnt 0x0
	v_dual_lshrrev_b32 v33, 16, v22 :: v_dual_lshrrev_b32 v35, 16, v23
	v_cvt_f32_f16_e32 v22, v22
	v_cvt_f32_f16_e32 v32, v23
	v_dual_lshlrev_b32 v24, 2, v1 :: v_dual_lshrrev_b32 v1, 16, v20
	v_cvt_f32_f16_e32 v20, v20
	v_cvt_f32_f16_e32 v23, v33
	;; [unrolled: 1-line block ×3, first 2 shown]
	s_delay_alu instid0(VALU_DEP_4) | instskip(SKIP_1) | instid1(VALU_DEP_1)
	v_dual_ashrrev_i32 v25, 31, v24 :: v_dual_lshrrev_b32 v3, 16, v21
	s_wait_kmcnt 0x0
	v_lshl_add_u64 v[28:29], v[24:25], 1, s[4:5]
	global_load_b64 v[30:31], v[28:29], off
	global_load_b128 v[24:27], v[8:9], off offset:16
	s_wait_xcnt 0x1
	v_cvt_f32_f16_e32 v28, v21
	v_cvt_f32_f16_e32 v21, v1
	v_cvt_f32_f16_e32 v29, v3
	s_wait_xcnt 0x0
	v_add_nc_u64_e32 v[8:9], 0x200, v[8:9]
	s_wait_loadcnt 0x1
	v_cvt_f32_f16_e32 v38, v30
	s_wait_loadcnt 0x0
	v_dual_lshrrev_b32 v37, 16, v24 :: v_dual_lshrrev_b32 v39, 16, v26
	v_dual_lshrrev_b32 v1, 16, v30 :: v_dual_lshrrev_b32 v40, 16, v25
	v_lshrrev_b32_e32 v41, 16, v27
	v_cvt_f32_f16_e32 v24, v24
	s_delay_alu instid0(VALU_DEP_4) | instskip(NEXT) | instid1(VALU_DEP_4)
	v_pk_fma_f32 v[10:11], v[20:21], v[38:39], v[10:11] op_sel_hi:[1,0,1]
	v_cvt_f32_f16_e32 v20, v1
	v_pk_fma_f32 v[12:13], v[28:29], v[38:39], v[12:13] op_sel_hi:[1,0,1]
	v_cvt_f32_f16_e32 v34, v25
	v_cvt_f32_f16_e32 v25, v37
	;; [unrolled: 1-line block ×3, first 2 shown]
	v_lshrrev_b32_e32 v1, 16, v31
	v_cvt_f32_f16_e32 v28, v31
	v_pk_fma_f32 v[10:11], v[22:23], v[20:21], v[10:11] op_sel_hi:[1,0,1]
	v_pk_fma_f32 v[12:13], v[32:33], v[20:21], v[12:13] op_sel_hi:[1,0,1]
	v_cvt_f32_f16_e32 v26, v26
	v_cvt_f32_f16_e32 v36, v27
	;; [unrolled: 1-line block ×5, first 2 shown]
	v_pk_fma_f32 v[10:11], v[24:25], v[28:29], v[10:11] op_sel_hi:[1,0,1]
	v_pk_fma_f32 v[12:13], v[34:35], v[28:29], v[12:13] op_sel_hi:[1,0,1]
	s_delay_alu instid0(VALU_DEP_2) | instskip(NEXT) | instid1(VALU_DEP_2)
	v_pk_fma_f32 v[10:11], v[26:27], v[20:21], v[10:11] op_sel_hi:[1,0,1]
	v_pk_fma_f32 v[12:13], v[36:37], v[20:21], v[12:13] op_sel_hi:[1,0,1]
	s_and_not1_b32 exec_lo, exec_lo, s6
	s_cbranch_execnz .LBB97_29
; %bb.30:
	s_or_b32 exec_lo, exec_lo, s6
	s_delay_alu instid0(VALU_DEP_1)
	v_mov_b64_e32 v[14:15], v[12:13]
.LBB97_31:
	s_or_b32 exec_lo, exec_lo, s2
	s_delay_alu instid0(SALU_CYCLE_1)
	s_mov_b32 s2, exec_lo
	v_cmpx_lt_u64_e32 47, v[16:17]
	s_cbranch_execz .LBB97_35
; %bb.32:
	v_lshl_add_u64 v[12:13], v[4:5], 2, s[8:9]
	s_mov_b32 s6, 0
	s_delay_alu instid0(VALU_DEP_1)
	v_add_nc_u64_e32 v[12:13], 0x80, v[12:13]
.LBB97_33:                              ; =>This Inner Loop Header: Depth=1
	global_load_b32 v1, v[12:13], off offset:-128
	global_load_b128 v[16:19], v[8:9], off
	s_clause 0x1
	global_load_b32 v3, v[12:13], off offset:-64
	global_load_b32 v41, v[12:13], off
	s_clause 0x1
	global_load_b128 v[20:23], v[8:9], off offset:16
	global_load_b128 v[24:27], v[8:9], off offset:512
	global_load_b32 v43, v[12:13], off offset:64
	s_clause 0x2
	global_load_b128 v[28:31], v[8:9], off offset:528
	global_load_b128 v[32:35], v[8:9], off offset:1024
	;; [unrolled: 1-line block ×3, first 2 shown]
	v_add_nc_u64_e32 v[4:5], 64, v[4:5]
	s_wait_xcnt 0x3
	v_add_nc_u64_e32 v[12:13], 0x100, v[12:13]
	s_delay_alu instid0(VALU_DEP_2)
	v_cmp_ge_i64_e32 vcc_lo, v[4:5], v[6:7]
	s_or_b32 s6, vcc_lo, s6
	s_wait_loadcnt 0x9
	v_subrev_nc_u32_e32 v1, s16, v1
	s_wait_loadcnt 0x8
	v_dual_lshrrev_b32 v61, 16, v18 :: v_dual_lshrrev_b32 v62, 16, v19
	s_wait_loadcnt 0x7
	v_subrev_nc_u32_e32 v3, s16, v3
	v_cvt_f32_f16_e32 v42, v19
	s_wait_loadcnt 0x6
	v_subrev_nc_u32_e32 v19, s16, v41
	s_wait_loadcnt 0x3
	v_subrev_nc_u32_e32 v41, s16, v43
	v_dual_lshrrev_b32 v45, 16, v16 :: v_dual_lshrrev_b32 v60, 16, v17
	v_dual_lshrrev_b32 v65, 16, v24 :: v_dual_lshlrev_b32 v44, 2, v1
	s_delay_alu instid0(VALU_DEP_3) | instskip(SKIP_3) | instid1(VALU_DEP_4)
	v_dual_lshlrev_b32 v46, 2, v3 :: v_dual_lshlrev_b32 v50, 2, v41
	v_lshlrev_b32_e32 v48, 2, v19
	v_cvt_f32_f16_e32 v40, v17
	v_cvt_f32_f16_e32 v17, v45
	v_dual_ashrrev_i32 v45, 31, v44 :: v_dual_ashrrev_i32 v47, 31, v46
	s_delay_alu instid0(VALU_DEP_4) | instskip(SKIP_2) | instid1(VALU_DEP_3)
	v_dual_ashrrev_i32 v49, 31, v48 :: v_dual_ashrrev_i32 v51, 31, v50
	v_lshrrev_b32_e32 v3, 16, v21
	s_wait_kmcnt 0x0
	v_lshl_add_u64 v[44:45], v[44:45], 1, s[4:5]
	v_lshl_add_u64 v[46:47], v[46:47], 1, s[4:5]
	;; [unrolled: 1-line block ×4, first 2 shown]
	s_clause 0x3
	global_load_b64 v[52:53], v[44:45], off
	global_load_b64 v[54:55], v[46:47], off
	;; [unrolled: 1-line block ×4, first 2 shown]
	v_cvt_f32_f16_e32 v16, v16
	v_cvt_f32_f16_e32 v41, v60
	v_cvt_f32_f16_e32 v18, v18
	v_cvt_f32_f16_e32 v19, v61
	v_dual_lshrrev_b32 v63, 16, v20 :: v_dual_lshrrev_b32 v64, 16, v22
	v_lshrrev_b32_e32 v1, 16, v26
	v_cvt_f32_f16_e32 v43, v62
	v_cvt_f32_f16_e32 v20, v20
	s_wait_loadcnt 0x5
	s_wait_xcnt 0x0
	v_lshrrev_b32_e32 v51, 16, v34
	v_cvt_f32_f16_e32 v22, v22
	v_lshrrev_b32_e32 v47, 16, v30
	v_cvt_f32_f16_e32 v30, v30
	v_dual_lshrrev_b32 v49, 16, v31 :: v_dual_lshrrev_b32 v50, 16, v32
	v_cvt_f32_f16_e32 v32, v32
	s_wait_loadcnt 0x4
	v_dual_lshrrev_b32 v60, 16, v37 :: v_dual_lshrrev_b32 v61, 16, v39
	v_cvt_f32_f16_e32 v46, v37
	v_cvt_f32_f16_e32 v48, v39
	s_wait_loadcnt 0x3
	v_cvt_f32_f16_e32 v44, v52
	s_delay_alu instid0(VALU_DEP_1)
	v_pk_fma_f32 v[10:11], v[16:17], v[44:45], v[10:11] op_sel_hi:[1,0,1]
	v_cvt_f32_f16_e32 v16, v24
	v_cvt_f32_f16_e32 v24, v21
	v_lshrrev_b32_e32 v21, 16, v52
	v_pk_fma_f32 v[14:15], v[40:41], v[44:45], v[14:15] op_sel_hi:[1,0,1]
	v_lshrrev_b32_e32 v17, 16, v23
	v_cvt_f32_f16_e32 v40, v23
	v_cvt_f32_f16_e32 v23, v64
	;; [unrolled: 1-line block ×5, first 2 shown]
	v_dual_lshrrev_b32 v17, 16, v53 :: v_dual_lshrrev_b32 v52, 16, v35
	s_delay_alu instid0(VALU_DEP_4)
	v_pk_fma_f32 v[10:11], v[18:19], v[44:45], v[10:11] op_sel_hi:[1,0,1]
	v_lshrrev_b32_e32 v45, 16, v28
	v_cvt_f32_f16_e32 v18, v26
	v_lshrrev_b32_e32 v19, 16, v25
	v_cvt_f32_f16_e32 v26, v25
	v_cvt_f32_f16_e32 v25, v3
	v_pk_fma_f32 v[14:15], v[42:43], v[44:45], v[14:15] op_sel_hi:[1,0,1]
	v_cvt_f32_f16_e32 v44, v53
	v_lshrrev_b32_e32 v43, 16, v27
	v_cvt_f32_f16_e32 v42, v27
	v_cvt_f32_f16_e32 v27, v19
	;; [unrolled: 1-line block ×3, first 2 shown]
	v_pk_fma_f32 v[10:11], v[20:21], v[44:45], v[10:11] op_sel_hi:[1,0,1]
	v_pk_fma_f32 v[14:15], v[24:25], v[44:45], v[14:15] op_sel_hi:[1,0,1]
	v_cvt_f32_f16_e32 v20, v17
	v_cvt_f32_f16_e32 v17, v65
	;; [unrolled: 1-line block ×3, first 2 shown]
	v_lshrrev_b32_e32 v3, 16, v29
	v_cvt_f32_f16_e32 v28, v28
	v_pk_fma_f32 v[10:11], v[22:23], v[20:21], v[10:11] op_sel_hi:[1,0,1]
	v_pk_fma_f32 v[14:15], v[40:41], v[20:21], v[14:15] op_sel_hi:[1,0,1]
	s_wait_loadcnt 0x2
	v_cvt_f32_f16_e32 v20, v54
	v_cvt_f32_f16_e32 v24, v29
	;; [unrolled: 1-line block ×5, first 2 shown]
	v_pk_fma_f32 v[10:11], v[16:17], v[20:21], v[10:11] op_sel_hi:[1,0,1]
	v_pk_fma_f32 v[20:21], v[26:27], v[20:21], v[14:15] op_sel_hi:[1,0,1]
	global_load_b128 v[14:17], v[8:9], off offset:1536
	v_lshrrev_b32_e32 v1, 16, v54
	v_cvt_f32_f16_e32 v31, v47
	v_lshrrev_b32_e32 v41, 16, v33
	v_cvt_f32_f16_e32 v40, v35
	v_dual_lshrrev_b32 v35, 16, v36 :: v_dual_lshrrev_b32 v53, 16, v38
	v_cvt_f32_f16_e32 v26, v1
	v_cvt_f32_f16_e32 v45, v49
	;; [unrolled: 1-line block ×5, first 2 shown]
	v_pk_fma_f32 v[10:11], v[18:19], v[26:27], v[10:11] op_sel_hi:[1,0,1]
	v_pk_fma_f32 v[26:27], v[42:43], v[26:27], v[20:21] op_sel_hi:[1,0,1]
	global_load_b128 v[18:21], v[8:9], off offset:1552
	v_cvt_f32_f16_e32 v42, v55
	v_cvt_f32_f16_e32 v37, v35
	;; [unrolled: 1-line block ×5, first 2 shown]
	v_pk_fma_f32 v[10:11], v[28:29], v[42:43], v[10:11] op_sel_hi:[1,0,1]
	v_pk_fma_f32 v[24:25], v[24:25], v[42:43], v[26:27] op_sel_hi:[1,0,1]
	v_cvt_f32_f16_e32 v47, v60
	v_cvt_f32_f16_e32 v38, v38
	v_cvt_f32_f16_e32 v39, v53
	v_cvt_f32_f16_e32 v49, v61
	s_wait_xcnt 0x0
	v_add_nc_u64_e32 v[8:9], 0x800, v[8:9]
	v_lshrrev_b32_e32 v23, 16, v55
	s_delay_alu instid0(VALU_DEP_1) | instskip(SKIP_1) | instid1(VALU_DEP_2)
	v_cvt_f32_f16_e32 v26, v23
	v_cvt_f32_f16_e32 v23, v51
	v_pk_fma_f32 v[10:11], v[30:31], v[26:27], v[10:11] op_sel_hi:[1,0,1]
	s_wait_loadcnt 0x1
	v_dual_lshrrev_b32 v1, 16, v14 :: v_dual_lshrrev_b32 v27, 16, v16
	v_lshrrev_b32_e32 v3, 16, v15
	v_cvt_f32_f16_e32 v28, v15
	v_lshrrev_b32_e32 v15, 16, v56
	v_cvt_f32_f16_e32 v14, v14
	v_cvt_f32_f16_e32 v16, v16
	;; [unrolled: 1-line block ×3, first 2 shown]
	s_wait_loadcnt 0x0
	v_lshrrev_b32_e32 v31, 16, v18
	v_pk_fma_f32 v[24:25], v[44:45], v[26:27], v[24:25] op_sel_hi:[1,0,1]
	v_dual_lshrrev_b32 v43, 16, v20 :: v_dual_lshrrev_b32 v45, 16, v17
	v_cvt_f32_f16_e32 v44, v56
	v_cvt_f32_f16_e32 v26, v17
	v_dual_lshrrev_b32 v17, 16, v57 :: v_dual_lshrrev_b32 v54, 16, v19
	v_lshrrev_b32_e32 v55, 16, v21
	s_delay_alu instid0(VALU_DEP_4)
	v_pk_fma_f32 v[10:11], v[32:33], v[44:45], v[10:11] op_sel_hi:[1,0,1]
	v_cvt_f32_f16_e32 v32, v15
	v_pk_fma_f32 v[24:25], v[34:35], v[44:45], v[24:25] op_sel_hi:[1,0,1]
	v_cvt_f32_f16_e32 v34, v57
	v_cvt_f32_f16_e32 v15, v1
	v_lshrrev_b32_e32 v1, 16, v58
	v_pk_fma_f32 v[10:11], v[22:23], v[32:33], v[10:11] op_sel_hi:[1,0,1]
	v_pk_fma_f32 v[22:23], v[40:41], v[32:33], v[24:25] op_sel_hi:[1,0,1]
	v_cvt_f32_f16_e32 v24, v17
	v_cvt_f32_f16_e32 v32, v58
	v_cvt_f32_f16_e32 v17, v27
	v_pk_fma_f32 v[10:11], v[36:37], v[34:35], v[10:11] op_sel_hi:[1,0,1]
	v_pk_fma_f32 v[22:23], v[46:47], v[34:35], v[22:23] op_sel_hi:[1,0,1]
	v_cvt_f32_f16_e32 v27, v45
	v_cvt_f32_f16_e32 v18, v18
	v_cvt_f32_f16_e32 v30, v19
	;; [unrolled: 5-line block ×3, first 2 shown]
	v_pk_fma_f32 v[10:11], v[14:15], v[32:33], v[10:11] op_sel_hi:[1,0,1]
	v_pk_fma_f32 v[14:15], v[28:29], v[32:33], v[22:23] op_sel_hi:[1,0,1]
	v_lshrrev_b32_e32 v1, 16, v59
	v_cvt_f32_f16_e32 v22, v59
	v_cvt_f32_f16_e32 v20, v20
	v_pk_fma_f32 v[10:11], v[16:17], v[24:25], v[10:11] op_sel_hi:[1,0,1]
	v_pk_fma_f32 v[14:15], v[26:27], v[24:25], v[14:15] op_sel_hi:[1,0,1]
	v_cvt_f32_f16_e32 v42, v21
	v_cvt_f32_f16_e32 v21, v43
	;; [unrolled: 1-line block ×4, first 2 shown]
	v_pk_fma_f32 v[10:11], v[18:19], v[22:23], v[10:11] op_sel_hi:[1,0,1]
	v_pk_fma_f32 v[14:15], v[30:31], v[22:23], v[14:15] op_sel_hi:[1,0,1]
	s_delay_alu instid0(VALU_DEP_2) | instskip(NEXT) | instid1(VALU_DEP_2)
	v_pk_fma_f32 v[10:11], v[20:21], v[16:17], v[10:11] op_sel_hi:[1,0,1]
	v_pk_fma_f32 v[14:15], v[42:43], v[16:17], v[14:15] op_sel_hi:[1,0,1]
	s_and_not1_b32 exec_lo, exec_lo, s6
	s_cbranch_execnz .LBB97_33
; %bb.34:
	s_or_b32 exec_lo, exec_lo, s6
	s_delay_alu instid0(VALU_DEP_1)
	v_dual_mov_b32 v13, v15 :: v_dual_mov_b32 v12, v14
.LBB97_35:
	s_or_b32 exec_lo, exec_lo, s2
.LBB97_36:
	s_delay_alu instid0(SALU_CYCLE_1)
	s_or_b32 exec_lo, exec_lo, s3
.LBB97_37:
	v_mbcnt_lo_u32_b32 v1, -1, 0
	s_mov_b32 s2, -1
	s_delay_alu instid0(VALU_DEP_1) | instskip(NEXT) | instid1(VALU_DEP_1)
	v_xor_b32_e32 v3, 8, v1
	v_cmp_gt_i32_e32 vcc_lo, 32, v3
	v_cndmask_b32_e32 v3, v1, v3, vcc_lo
	s_delay_alu instid0(VALU_DEP_1)
	v_lshlrev_b32_e32 v3, 2, v3
	ds_bpermute_b32 v4, v3, v10
	ds_bpermute_b32 v5, v3, v11
	;; [unrolled: 1-line block ×4, first 2 shown]
	v_xor_b32_e32 v3, 4, v1
	s_delay_alu instid0(VALU_DEP_1) | instskip(SKIP_1) | instid1(VALU_DEP_1)
	v_cmp_gt_i32_e32 vcc_lo, 32, v3
	v_cndmask_b32_e32 v3, v1, v3, vcc_lo
	v_lshlrev_b32_e32 v3, 2, v3
	s_wait_dscnt 0x2
	v_pk_add_f32 v[4:5], v[10:11], v[4:5]
	s_wait_dscnt 0x0
	v_pk_add_f32 v[6:7], v[12:13], v[6:7]
	ds_bpermute_b32 v8, v3, v4
	ds_bpermute_b32 v9, v3, v5
	;; [unrolled: 1-line block ×4, first 2 shown]
	v_xor_b32_e32 v3, 2, v1
	s_delay_alu instid0(VALU_DEP_1) | instskip(SKIP_1) | instid1(VALU_DEP_1)
	v_cmp_gt_i32_e32 vcc_lo, 32, v3
	v_cndmask_b32_e32 v3, v1, v3, vcc_lo
	v_lshlrev_b32_e32 v3, 2, v3
	s_wait_dscnt 0x2
	v_pk_add_f32 v[4:5], v[4:5], v[8:9]
	s_wait_dscnt 0x0
	v_pk_add_f32 v[6:7], v[6:7], v[10:11]
	ds_bpermute_b32 v8, v3, v4
	ds_bpermute_b32 v9, v3, v5
	;; [unrolled: 1-line block ×4, first 2 shown]
	v_xor_b32_e32 v3, 1, v1
	s_delay_alu instid0(VALU_DEP_1) | instskip(SKIP_2) | instid1(VALU_DEP_2)
	v_cmp_gt_i32_e32 vcc_lo, 32, v3
	v_cndmask_b32_e32 v1, v1, v3, vcc_lo
	v_cmp_eq_u32_e32 vcc_lo, 15, v0
	v_lshlrev_b32_e32 v1, 2, v1
	s_wait_dscnt 0x2
	v_pk_add_f32 v[4:5], v[4:5], v[8:9]
	s_wait_dscnt 0x0
	v_pk_add_f32 v[6:7], v[6:7], v[10:11]
	ds_bpermute_b32 v10, v1, v4
	ds_bpermute_b32 v11, v1, v5
	;; [unrolled: 1-line block ×4, first 2 shown]
	s_and_b32 exec_lo, exec_lo, vcc_lo
	s_cbranch_execz .LBB97_10
; %bb.38:
	s_load_b64 s[0:1], s[0:1], 0x50
	s_wait_dscnt 0x2
	v_pk_add_f32 v[4:5], v[4:5], v[10:11]
	s_wait_dscnt 0x0
	v_pk_add_f32 v[0:1], v[6:7], v[8:9]
	v_lshlrev_b32_e32 v2, 2, v2
	s_cmp_eq_f32 s14, 0
	s_cbranch_scc0 .LBB97_40
; %bb.39:
	s_delay_alu instid0(VALU_DEP_1)
	v_ashrrev_i32_e32 v3, 31, v2
	v_pk_mul_f32 v[6:7], s[12:13], v[4:5] op_sel_hi:[0,1]
	v_pk_mul_f32 v[8:9], s[12:13], v[0:1] op_sel_hi:[0,1]
	s_mov_b32 s2, 0
	s_wait_kmcnt 0x0
	v_lshl_add_u64 v[10:11], v[2:3], 2, s[0:1]
	global_store_b128 v[10:11], v[6:9], off
.LBB97_40:
	s_and_not1_b32 vcc_lo, exec_lo, s2
	s_cbranch_vccnz .LBB97_10
; %bb.41:
	v_ashrrev_i32_e32 v3, 31, v2
	s_wait_kmcnt 0x0
	s_delay_alu instid0(VALU_DEP_1)
	v_lshl_add_u64 v[10:11], v[2:3], 2, s[0:1]
	v_pk_mul_f32 v[2:3], s[12:13], v[4:5] op_sel_hi:[0,1]
	v_pk_mul_f32 v[4:5], s[12:13], v[0:1] op_sel_hi:[0,1]
	global_load_b128 v[6:9], v[10:11], off
	s_wait_loadcnt 0x0
	v_pk_fma_f32 v[0:1], s[14:15], v[6:7], v[2:3] op_sel_hi:[0,1,1]
	v_pk_fma_f32 v[2:3], s[14:15], v[8:9], v[4:5] op_sel_hi:[0,1,1]
	global_store_b128 v[10:11], v[0:3], off
	s_sendmsg sendmsg(MSG_DEALLOC_VGPRS)
	s_endpgm
	.section	.rodata,"a",@progbits
	.p2align	6, 0x0
	.amdhsa_kernel _ZN9rocsparseL18bsrxmvn_4x4_kernelILj128ELj16EfliDF16_DF16_fEEvT3_20rocsparse_direction_NS_24const_host_device_scalarIT1_EES1_PKS1_PKT2_SA_S7_PKT4_PKT5_S5_PT6_21rocsparse_index_base_b
		.amdhsa_group_segment_fixed_size 0
		.amdhsa_private_segment_fixed_size 0
		.amdhsa_kernarg_size 96
		.amdhsa_user_sgpr_count 2
		.amdhsa_user_sgpr_dispatch_ptr 0
		.amdhsa_user_sgpr_queue_ptr 0
		.amdhsa_user_sgpr_kernarg_segment_ptr 1
		.amdhsa_user_sgpr_dispatch_id 0
		.amdhsa_user_sgpr_kernarg_preload_length 0
		.amdhsa_user_sgpr_kernarg_preload_offset 0
		.amdhsa_user_sgpr_private_segment_size 0
		.amdhsa_wavefront_size32 1
		.amdhsa_uses_dynamic_stack 0
		.amdhsa_enable_private_segment 0
		.amdhsa_system_sgpr_workgroup_id_x 1
		.amdhsa_system_sgpr_workgroup_id_y 0
		.amdhsa_system_sgpr_workgroup_id_z 0
		.amdhsa_system_sgpr_workgroup_info 0
		.amdhsa_system_vgpr_workitem_id 0
		.amdhsa_next_free_vgpr 79
		.amdhsa_next_free_sgpr 18
		.amdhsa_named_barrier_count 0
		.amdhsa_reserve_vcc 1
		.amdhsa_float_round_mode_32 0
		.amdhsa_float_round_mode_16_64 0
		.amdhsa_float_denorm_mode_32 3
		.amdhsa_float_denorm_mode_16_64 3
		.amdhsa_fp16_overflow 0
		.amdhsa_memory_ordered 1
		.amdhsa_forward_progress 1
		.amdhsa_inst_pref_size 37
		.amdhsa_round_robin_scheduling 0
		.amdhsa_exception_fp_ieee_invalid_op 0
		.amdhsa_exception_fp_denorm_src 0
		.amdhsa_exception_fp_ieee_div_zero 0
		.amdhsa_exception_fp_ieee_overflow 0
		.amdhsa_exception_fp_ieee_underflow 0
		.amdhsa_exception_fp_ieee_inexact 0
		.amdhsa_exception_int_div_zero 0
	.end_amdhsa_kernel
	.section	.text._ZN9rocsparseL18bsrxmvn_4x4_kernelILj128ELj16EfliDF16_DF16_fEEvT3_20rocsparse_direction_NS_24const_host_device_scalarIT1_EES1_PKS1_PKT2_SA_S7_PKT4_PKT5_S5_PT6_21rocsparse_index_base_b,"axG",@progbits,_ZN9rocsparseL18bsrxmvn_4x4_kernelILj128ELj16EfliDF16_DF16_fEEvT3_20rocsparse_direction_NS_24const_host_device_scalarIT1_EES1_PKS1_PKT2_SA_S7_PKT4_PKT5_S5_PT6_21rocsparse_index_base_b,comdat
.Lfunc_end97:
	.size	_ZN9rocsparseL18bsrxmvn_4x4_kernelILj128ELj16EfliDF16_DF16_fEEvT3_20rocsparse_direction_NS_24const_host_device_scalarIT1_EES1_PKS1_PKT2_SA_S7_PKT4_PKT5_S5_PT6_21rocsparse_index_base_b, .Lfunc_end97-_ZN9rocsparseL18bsrxmvn_4x4_kernelILj128ELj16EfliDF16_DF16_fEEvT3_20rocsparse_direction_NS_24const_host_device_scalarIT1_EES1_PKS1_PKT2_SA_S7_PKT4_PKT5_S5_PT6_21rocsparse_index_base_b
                                        ; -- End function
	.set _ZN9rocsparseL18bsrxmvn_4x4_kernelILj128ELj16EfliDF16_DF16_fEEvT3_20rocsparse_direction_NS_24const_host_device_scalarIT1_EES1_PKS1_PKT2_SA_S7_PKT4_PKT5_S5_PT6_21rocsparse_index_base_b.num_vgpr, 79
	.set _ZN9rocsparseL18bsrxmvn_4x4_kernelILj128ELj16EfliDF16_DF16_fEEvT3_20rocsparse_direction_NS_24const_host_device_scalarIT1_EES1_PKS1_PKT2_SA_S7_PKT4_PKT5_S5_PT6_21rocsparse_index_base_b.num_agpr, 0
	.set _ZN9rocsparseL18bsrxmvn_4x4_kernelILj128ELj16EfliDF16_DF16_fEEvT3_20rocsparse_direction_NS_24const_host_device_scalarIT1_EES1_PKS1_PKT2_SA_S7_PKT4_PKT5_S5_PT6_21rocsparse_index_base_b.numbered_sgpr, 18
	.set _ZN9rocsparseL18bsrxmvn_4x4_kernelILj128ELj16EfliDF16_DF16_fEEvT3_20rocsparse_direction_NS_24const_host_device_scalarIT1_EES1_PKS1_PKT2_SA_S7_PKT4_PKT5_S5_PT6_21rocsparse_index_base_b.num_named_barrier, 0
	.set _ZN9rocsparseL18bsrxmvn_4x4_kernelILj128ELj16EfliDF16_DF16_fEEvT3_20rocsparse_direction_NS_24const_host_device_scalarIT1_EES1_PKS1_PKT2_SA_S7_PKT4_PKT5_S5_PT6_21rocsparse_index_base_b.private_seg_size, 0
	.set _ZN9rocsparseL18bsrxmvn_4x4_kernelILj128ELj16EfliDF16_DF16_fEEvT3_20rocsparse_direction_NS_24const_host_device_scalarIT1_EES1_PKS1_PKT2_SA_S7_PKT4_PKT5_S5_PT6_21rocsparse_index_base_b.uses_vcc, 1
	.set _ZN9rocsparseL18bsrxmvn_4x4_kernelILj128ELj16EfliDF16_DF16_fEEvT3_20rocsparse_direction_NS_24const_host_device_scalarIT1_EES1_PKS1_PKT2_SA_S7_PKT4_PKT5_S5_PT6_21rocsparse_index_base_b.uses_flat_scratch, 0
	.set _ZN9rocsparseL18bsrxmvn_4x4_kernelILj128ELj16EfliDF16_DF16_fEEvT3_20rocsparse_direction_NS_24const_host_device_scalarIT1_EES1_PKS1_PKT2_SA_S7_PKT4_PKT5_S5_PT6_21rocsparse_index_base_b.has_dyn_sized_stack, 0
	.set _ZN9rocsparseL18bsrxmvn_4x4_kernelILj128ELj16EfliDF16_DF16_fEEvT3_20rocsparse_direction_NS_24const_host_device_scalarIT1_EES1_PKS1_PKT2_SA_S7_PKT4_PKT5_S5_PT6_21rocsparse_index_base_b.has_recursion, 0
	.set _ZN9rocsparseL18bsrxmvn_4x4_kernelILj128ELj16EfliDF16_DF16_fEEvT3_20rocsparse_direction_NS_24const_host_device_scalarIT1_EES1_PKS1_PKT2_SA_S7_PKT4_PKT5_S5_PT6_21rocsparse_index_base_b.has_indirect_call, 0
	.section	.AMDGPU.csdata,"",@progbits
; Kernel info:
; codeLenInByte = 4696
; TotalNumSgprs: 20
; NumVgprs: 79
; ScratchSize: 0
; MemoryBound: 0
; FloatMode: 240
; IeeeMode: 1
; LDSByteSize: 0 bytes/workgroup (compile time only)
; SGPRBlocks: 0
; VGPRBlocks: 4
; NumSGPRsForWavesPerEU: 20
; NumVGPRsForWavesPerEU: 79
; NamedBarCnt: 0
; Occupancy: 12
; WaveLimiterHint : 1
; COMPUTE_PGM_RSRC2:SCRATCH_EN: 0
; COMPUTE_PGM_RSRC2:USER_SGPR: 2
; COMPUTE_PGM_RSRC2:TRAP_HANDLER: 0
; COMPUTE_PGM_RSRC2:TGID_X_EN: 1
; COMPUTE_PGM_RSRC2:TGID_Y_EN: 0
; COMPUTE_PGM_RSRC2:TGID_Z_EN: 0
; COMPUTE_PGM_RSRC2:TIDIG_COMP_CNT: 0
	.section	.text._ZN9rocsparseL18bsrxmvn_4x4_kernelILj128ELj32EfliDF16_DF16_fEEvT3_20rocsparse_direction_NS_24const_host_device_scalarIT1_EES1_PKS1_PKT2_SA_S7_PKT4_PKT5_S5_PT6_21rocsparse_index_base_b,"axG",@progbits,_ZN9rocsparseL18bsrxmvn_4x4_kernelILj128ELj32EfliDF16_DF16_fEEvT3_20rocsparse_direction_NS_24const_host_device_scalarIT1_EES1_PKS1_PKT2_SA_S7_PKT4_PKT5_S5_PT6_21rocsparse_index_base_b,comdat
	.globl	_ZN9rocsparseL18bsrxmvn_4x4_kernelILj128ELj32EfliDF16_DF16_fEEvT3_20rocsparse_direction_NS_24const_host_device_scalarIT1_EES1_PKS1_PKT2_SA_S7_PKT4_PKT5_S5_PT6_21rocsparse_index_base_b ; -- Begin function _ZN9rocsparseL18bsrxmvn_4x4_kernelILj128ELj32EfliDF16_DF16_fEEvT3_20rocsparse_direction_NS_24const_host_device_scalarIT1_EES1_PKS1_PKT2_SA_S7_PKT4_PKT5_S5_PT6_21rocsparse_index_base_b
	.p2align	8
	.type	_ZN9rocsparseL18bsrxmvn_4x4_kernelILj128ELj32EfliDF16_DF16_fEEvT3_20rocsparse_direction_NS_24const_host_device_scalarIT1_EES1_PKS1_PKT2_SA_S7_PKT4_PKT5_S5_PT6_21rocsparse_index_base_b,@function
_ZN9rocsparseL18bsrxmvn_4x4_kernelILj128ELj32EfliDF16_DF16_fEEvT3_20rocsparse_direction_NS_24const_host_device_scalarIT1_EES1_PKS1_PKT2_SA_S7_PKT4_PKT5_S5_PT6_21rocsparse_index_base_b: ; @_ZN9rocsparseL18bsrxmvn_4x4_kernelILj128ELj32EfliDF16_DF16_fEEvT3_20rocsparse_direction_NS_24const_host_device_scalarIT1_EES1_PKS1_PKT2_SA_S7_PKT4_PKT5_S5_PT6_21rocsparse_index_base_b
; %bb.0:
	s_clause 0x2
	s_load_b64 s[16:17], s[0:1], 0x58
	s_load_b64 s[12:13], s[0:1], 0x8
	;; [unrolled: 1-line block ×3, first 2 shown]
	s_wait_kmcnt 0x0
	s_bitcmp1_b32 s17, 0
	s_cselect_b32 s2, -1, 0
	s_delay_alu instid0(SALU_CYCLE_1)
	s_and_b32 vcc_lo, exec_lo, s2
	s_xor_b32 s2, s2, -1
	s_cbranch_vccnz .LBB98_2
; %bb.1:
	s_load_b32 s12, s[12:13], 0x0
.LBB98_2:
	s_and_not1_b32 vcc_lo, exec_lo, s2
	s_cbranch_vccnz .LBB98_4
; %bb.3:
	s_load_b32 s14, s[14:15], 0x0
.LBB98_4:
	s_wait_kmcnt 0x0
	s_cmp_neq_f32 s12, 0
	s_mov_b32 s6, 0
	s_cselect_b32 s2, -1, 0
	s_cmp_neq_f32 s14, 1.0
	s_cselect_b32 s3, -1, 0
	s_delay_alu instid0(SALU_CYCLE_1) | instskip(NEXT) | instid1(SALU_CYCLE_1)
	s_or_b32 s2, s2, s3
	s_and_not1_b32 vcc_lo, exec_lo, s2
	s_cbranch_vccnz .LBB98_10
; %bb.5:
	s_clause 0x1
	s_load_b64 s[4:5], s[0:1], 0x18
	s_load_b64 s[2:3], s[0:1], 0x0
	s_bfe_u32 s7, ttmp6, 0x4000c
	s_and_b32 s8, ttmp6, 15
	s_add_co_i32 s7, s7, 1
	s_getreg_b32 s9, hwreg(HW_REG_IB_STS2, 6, 4)
	s_mul_i32 s7, ttmp9, s7
	v_lshrrev_b32_e32 v1, 5, v0
	s_add_co_i32 s8, s8, s7
	s_cmp_eq_u32 s9, 0
	s_cselect_b32 s7, ttmp9, s8
	s_delay_alu instid0(VALU_DEP_1) | instid1(SALU_CYCLE_1)
	v_lshl_or_b32 v2, s7, 2, v1
	s_wait_kmcnt 0x0
	s_cmp_lg_u64 s[4:5], 0
	s_cbranch_scc0 .LBB98_11
; %bb.6:
	s_load_b32 s6, s[0:1], 0x10
	s_mov_b32 s7, 0
                                        ; implicit-def: $vgpr1
	s_wait_kmcnt 0x0
	v_cmp_gt_i32_e32 vcc_lo, s6, v2
	s_mov_b32 s6, 0
	s_and_saveexec_b32 s8, vcc_lo
	s_delay_alu instid0(SALU_CYCLE_1)
	s_xor_b32 s8, exec_lo, s8
	s_cbranch_execz .LBB98_8
; %bb.7:
	global_load_b32 v1, v2, s[4:5] scale_offset
	s_mov_b32 s6, exec_lo
	s_wait_loadcnt 0x0
	v_subrev_nc_u32_e32 v1, s16, v1
.LBB98_8:
	s_or_b32 exec_lo, exec_lo, s8
	s_delay_alu instid0(SALU_CYCLE_1)
	s_and_b32 vcc_lo, exec_lo, s7
	s_cbranch_vccz .LBB98_12
.LBB98_9:
	v_cmp_gt_i32_e32 vcc_lo, s2, v2
	s_and_not1_b32 s2, s6, exec_lo
	s_and_b32 s4, vcc_lo, exec_lo
	s_delay_alu instid0(SALU_CYCLE_1) | instskip(NEXT) | instid1(SALU_CYCLE_1)
	s_or_b32 s6, s2, s4
	s_and_saveexec_b32 s2, s6
	s_cbranch_execnz .LBB98_13
.LBB98_10:
	s_sendmsg sendmsg(MSG_DEALLOC_VGPRS)
	s_endpgm
.LBB98_11:
                                        ; implicit-def: $vgpr1
	s_cbranch_execnz .LBB98_9
.LBB98_12:
	s_delay_alu instid0(VALU_DEP_1)
	v_mov_b32_e32 v2, v1
	s_and_saveexec_b32 s2, s6
	s_cbranch_execz .LBB98_10
.LBB98_13:
	s_load_b256 s[4:11], s[0:1], 0x20
	s_mov_b32 s17, 0
	v_dual_mov_b32 v1, 0 :: v_dual_bitop2_b32 v0, 31, v0 bitop3:0x40
	s_wait_kmcnt 0x0
	s_cmp_eq_u64 s[6:7], 0
	global_load_b64 v[12:13], v2, s[4:5] scale_offset
	s_cselect_b32 vcc_lo, -1, 0
	v_ashrrev_i32_e32 v3, 31, v2
	s_cmp_eq_u32 s3, 1
	s_delay_alu instid0(VALU_DEP_1) | instskip(NEXT) | instid1(VALU_DEP_1)
	v_lshlrev_b64_e32 v[4:5], 3, v[2:3]
	v_add_nc_u64_e32 v[6:7], s[4:5], v[4:5]
	v_add_nc_u64_e32 v[4:5], s[6:7], v[4:5]
	s_wait_xcnt 0x0
	s_load_b64 s[4:5], s[0:1], 0x40
	s_delay_alu instid0(VALU_DEP_2) | instskip(NEXT) | instid1(VALU_DEP_1)
	v_add_nc_u64_e32 v[6:7], 8, v[6:7]
	v_dual_cndmask_b32 v5, v5, v7 :: v_dual_cndmask_b32 v4, v4, v6
	global_load_b64 v[6:7], v[4:5], off
	s_wait_loadcnt 0x1
	s_wait_xcnt 0x0
	v_sub_nc_u64_e64 v[4:5], v[12:13], s[16:17]
	s_delay_alu instid0(VALU_DEP_1) | instskip(NEXT) | instid1(VALU_DEP_1)
	v_add_nc_u64_e32 v[4:5], v[4:5], v[0:1]
	v_lshlrev_b64_e32 v[8:9], 5, v[4:5]
	s_delay_alu instid0(VALU_DEP_1) | instskip(SKIP_2) | instid1(VALU_DEP_1)
	v_add_nc_u64_e32 v[8:9], s[10:11], v[8:9]
	s_wait_loadcnt 0x0
	v_sub_nc_u64_e64 v[6:7], v[6:7], s[16:17]
	v_cmp_lt_i64_e64 s2, v[4:5], v[6:7]
	s_cbranch_scc1 .LBB98_25
; %bb.14:
	v_dual_mov_b32 v19, v1 :: v_dual_mov_b32 v18, v1
	v_dual_mov_b32 v11, v1 :: v_dual_mov_b32 v10, v1
	s_and_saveexec_b32 s3, s2
	s_cbranch_execz .LBB98_24
; %bb.15:
	v_dual_mov_b32 v11, v1 :: v_dual_bitop2_b32 v10, 32, v0 bitop3:0x54
	v_sub_nc_u64_e32 v[14:15], s[16:17], v[0:1]
	v_not_b32_e32 v17, v13
	v_not_b32_e32 v16, v12
	v_mov_b32_e32 v18, 0
	v_sub_nc_u64_e64 v[10:11], v[10:11], s[16:17]
	v_mov_b64_e32 v[20:21], 0
	s_delay_alu instid0(VALU_DEP_4) | instskip(SKIP_1) | instid1(VALU_DEP_4)
	v_add_nc_u64_e32 v[14:15], v[14:15], v[16:17]
	v_mov_b64_e32 v[16:17], v[8:9]
	v_add_nc_u64_e32 v[10:11], v[10:11], v[12:13]
	s_delay_alu instid0(VALU_DEP_1) | instskip(NEXT) | instid1(VALU_DEP_1)
	v_max_i64 v[10:11], v[10:11], v[6:7]
	v_add_nc_u64_e32 v[22:23], v[14:15], v[10:11]
	v_mov_b32_e32 v15, v18
	v_mov_b64_e32 v[10:11], 0
	s_delay_alu instid0(VALU_DEP_3) | instskip(NEXT) | instid1(VALU_DEP_1)
	v_and_b32_e32 v14, 0x60, v22
	v_cmp_ne_u64_e32 vcc_lo, 0x60, v[14:15]
	v_mov_b64_e32 v[14:15], v[4:5]
	s_and_saveexec_b32 s6, vcc_lo
	s_cbranch_execz .LBB98_19
; %bb.16:
	v_dual_lshrrev_b32 v3, 5, v22 :: v_dual_mov_b32 v11, v18
	v_mov_b64_e32 v[16:17], v[8:9]
	v_mov_b64_e32 v[14:15], v[4:5]
	v_lshl_add_u64 v[20:21], v[4:5], 2, s[8:9]
	s_delay_alu instid0(VALU_DEP_4) | instskip(SKIP_1) | instid1(VALU_DEP_1)
	v_dual_add_nc_u32 v3, 1, v3 :: v_dual_mov_b32 v19, v18
	s_mov_b32 s7, 0
	v_and_b32_e32 v10, 3, v3
	s_delay_alu instid0(VALU_DEP_1)
	v_sub_nc_u64_e32 v[24:25], 0, v[10:11]
	v_mov_b32_e32 v10, v18
.LBB98_17:                              ; =>This Inner Loop Header: Depth=1
	global_load_b32 v3, v[20:21], off
	global_load_b128 v[26:29], v[16:17], off
	v_add_nc_u64_e32 v[24:25], 1, v[24:25]
	v_add_nc_u64_e32 v[14:15], 32, v[14:15]
	s_wait_xcnt 0x1
	v_add_nc_u64_e32 v[20:21], 0x80, v[20:21]
	s_delay_alu instid0(VALU_DEP_3)
	v_cmp_eq_u64_e32 vcc_lo, 0, v[24:25]
	s_or_b32 s7, vcc_lo, s7
	s_wait_loadcnt 0x1
	v_subrev_nc_u32_e32 v3, s16, v3
	s_wait_loadcnt 0x0
	v_dual_lshrrev_b32 v41, 16, v28 :: v_dual_lshrrev_b32 v42, 16, v26
	v_cvt_f32_f16_e32 v39, v28
	v_cvt_f32_f16_e32 v38, v26
	v_dual_lshlrev_b32 v30, 2, v3 :: v_dual_lshrrev_b32 v40, 16, v29
	s_delay_alu instid0(VALU_DEP_1) | instskip(SKIP_1) | instid1(VALU_DEP_1)
	v_dual_lshrrev_b32 v3, 16, v27 :: v_dual_ashrrev_i32 v31, 31, v30
	s_wait_kmcnt 0x0
	v_lshl_add_u64 v[34:35], v[30:31], 1, s[4:5]
	global_load_b128 v[30:33], v[16:17], off offset:16
	global_load_b64 v[36:37], v[34:35], off
	s_wait_xcnt 0x0
	v_cvt_f32_f16_e32 v34, v27
	v_cvt_f32_f16_e32 v35, v29
	v_add_nc_u64_e32 v[16:17], 0x400, v[16:17]
	s_wait_loadcnt 0x1
	v_dual_lshrrev_b32 v43, 16, v31 :: v_dual_lshrrev_b32 v44, 16, v33
	v_cvt_f32_f16_e32 v29, v32
	v_cvt_f32_f16_e32 v28, v30
	v_dual_lshrrev_b32 v45, 16, v32 :: v_dual_lshrrev_b32 v46, 16, v30
	v_cvt_f32_f16_e32 v27, v33
	v_cvt_f32_f16_e32 v30, v42
	v_cvt_f32_f16_e32 v33, v40
	s_wait_loadcnt 0x0
	v_lshrrev_b32_e32 v42, 16, v36
	v_cvt_f32_f16_e32 v32, v36
	v_cvt_f32_f16_e32 v26, v31
	;; [unrolled: 1-line block ×5, first 2 shown]
	v_pk_fma_f32 v[10:11], v[38:39], v[32:33], v[10:11] op_sel_hi:[1,0,1]
	v_pk_fma_f32 v[18:19], v[28:29], v[32:33], v[18:19] op_sel_hi:[1,0,1]
	v_cvt_f32_f16_e32 v32, v3
	v_lshrrev_b32_e32 v3, 16, v37
	v_cvt_f32_f16_e32 v36, v42
	v_cvt_f32_f16_e32 v28, v37
	s_delay_alu instid0(VALU_DEP_2)
	v_pk_fma_f32 v[10:11], v[30:31], v[36:37], v[10:11] op_sel_hi:[1,0,1]
	v_pk_fma_f32 v[18:19], v[40:41], v[36:37], v[18:19] op_sel_hi:[1,0,1]
	v_cvt_f32_f16_e32 v31, v44
	v_cvt_f32_f16_e32 v30, v43
	v_cvt_f32_f16_e32 v36, v3
	v_pk_fma_f32 v[10:11], v[34:35], v[28:29], v[10:11] op_sel_hi:[1,0,1]
	v_pk_fma_f32 v[18:19], v[26:27], v[28:29], v[18:19] op_sel_hi:[1,0,1]
	s_delay_alu instid0(VALU_DEP_2) | instskip(NEXT) | instid1(VALU_DEP_2)
	v_pk_fma_f32 v[10:11], v[32:33], v[36:37], v[10:11] op_sel_hi:[1,0,1]
	v_pk_fma_f32 v[18:19], v[30:31], v[36:37], v[18:19] op_sel_hi:[1,0,1]
	s_and_not1_b32 exec_lo, exec_lo, s7
	s_cbranch_execnz .LBB98_17
; %bb.18:
	s_or_b32 exec_lo, exec_lo, s7
	s_delay_alu instid0(VALU_DEP_1)
	v_mov_b64_e32 v[20:21], v[18:19]
.LBB98_19:
	s_or_b32 exec_lo, exec_lo, s6
	s_delay_alu instid0(SALU_CYCLE_1)
	s_mov_b32 s6, exec_lo
	v_cmpx_lt_u64_e32 0x5f, v[22:23]
	s_cbranch_execz .LBB98_23
; %bb.20:
	v_lshl_add_u64 v[18:19], v[14:15], 2, s[8:9]
	s_mov_b32 s7, 0
	s_delay_alu instid0(VALU_DEP_1)
	v_add_nc_u64_e32 v[18:19], 0x100, v[18:19]
.LBB98_21:                              ; =>This Inner Loop Header: Depth=1
	global_load_b32 v3, v[18:19], off offset:-256
	s_clause 0x3
	global_load_b128 v[22:25], v[16:17], off
	global_load_b128 v[26:29], v[16:17], off offset:16
	global_load_b128 v[30:33], v[16:17], off offset:1024
	;; [unrolled: 1-line block ×3, first 2 shown]
	s_clause 0x2
	global_load_b32 v54, v[18:19], off offset:-128
	global_load_b32 v55, v[18:19], off
	global_load_b32 v56, v[18:19], off offset:128
	s_clause 0x1
	global_load_b128 v[38:41], v[16:17], off offset:1040
	global_load_b128 v[42:45], v[16:17], off offset:2064
	v_add_nc_u64_e32 v[14:15], 0x80, v[14:15]
	s_wait_xcnt 0x2
	v_add_nc_u64_e32 v[18:19], 0x200, v[18:19]
	s_delay_alu instid0(VALU_DEP_2)
	v_cmp_ge_i64_e32 vcc_lo, v[14:15], v[6:7]
	s_or_b32 s7, vcc_lo, s7
	s_wait_loadcnt 0x9
	v_subrev_nc_u32_e32 v3, s16, v3
	s_wait_loadcnt 0x8
	v_dual_lshrrev_b32 v62, 16, v23 :: v_dual_lshrrev_b32 v63, 16, v25
	v_cvt_f32_f16_e32 v47, v25
	s_wait_loadcnt 0x7
	v_dual_lshrrev_b32 v66, 16, v27 :: v_dual_lshrrev_b32 v67, 16, v29
	s_wait_loadcnt 0x4
	v_subrev_nc_u32_e32 v25, s16, v54
	v_cvt_f32_f16_e32 v50, v27
	s_wait_loadcnt 0x3
	v_subrev_nc_u32_e32 v27, s16, v55
	v_cvt_f32_f16_e32 v51, v29
	v_cvt_f32_f16_e32 v29, v32
	v_dual_lshrrev_b32 v70, 16, v30 :: v_dual_lshrrev_b32 v71, 16, v32
	v_cvt_f32_f16_e32 v32, v35
	v_dual_lshrrev_b32 v76, 16, v35 :: v_dual_lshrrev_b32 v77, 16, v37
	s_wait_loadcnt 0x2
	v_subrev_nc_u32_e32 v35, s16, v56
	v_cvt_f32_f16_e32 v49, v24
	v_dual_lshrrev_b32 v64, 16, v24 :: v_dual_lshrrev_b32 v65, 16, v22
	v_lshlrev_b32_e32 v24, 2, v3
	v_cvt_f32_f16_e32 v48, v22
	v_cvt_f32_f16_e32 v22, v26
	v_dual_lshrrev_b32 v68, 16, v28 :: v_dual_lshrrev_b32 v69, 16, v26
	v_lshlrev_b32_e32 v26, 2, v25
	v_cvt_f32_f16_e32 v46, v23
	v_cvt_f32_f16_e32 v23, v28
	v_cvt_f32_f16_e32 v28, v30
	v_cvt_f32_f16_e32 v30, v34
	v_dual_lshrrev_b32 v74, 16, v34 :: v_dual_lshrrev_b32 v75, 16, v36
	v_dual_lshlrev_b32 v34, 2, v27 :: v_dual_ashrrev_i32 v25, 31, v24
	v_cvt_f32_f16_e32 v52, v31
	v_dual_lshrrev_b32 v72, 16, v31 :: v_dual_lshrrev_b32 v73, 16, v33
	v_cvt_f32_f16_e32 v31, v36
	v_dual_lshlrev_b32 v36, 2, v35 :: v_dual_ashrrev_i32 v27, 31, v26
	v_ashrrev_i32_e32 v35, 31, v34
	v_cvt_f32_f16_e32 v53, v33
	v_cvt_f32_f16_e32 v33, v37
	s_delay_alu instid0(VALU_DEP_4)
	v_ashrrev_i32_e32 v37, 31, v36
	s_wait_kmcnt 0x0
	v_lshl_add_u64 v[24:25], v[24:25], 1, s[4:5]
	v_lshl_add_u64 v[26:27], v[26:27], 1, s[4:5]
	v_lshl_add_u64 v[34:35], v[34:35], 1, s[4:5]
	v_lshl_add_u64 v[36:37], v[36:37], 1, s[4:5]
	s_clause 0x3
	global_load_b64 v[54:55], v[24:25], off
	global_load_b64 v[56:57], v[26:27], off
	;; [unrolled: 1-line block ×4, first 2 shown]
	s_wait_xcnt 0x2
	v_cvt_f32_f16_e32 v27, v64
	v_cvt_f32_f16_e32 v26, v65
	s_wait_xcnt 0x1
	v_cvt_f32_f16_e32 v35, v68
	v_cvt_f32_f16_e32 v34, v69
	s_wait_loadcnt 0x4
	v_lshrrev_b32_e32 v65, 16, v43
	s_wait_loadcnt 0x3
	v_cvt_f32_f16_e32 v24, v54
	s_delay_alu instid0(VALU_DEP_1) | instskip(SKIP_4) | instid1(VALU_DEP_1)
	v_pk_fma_f32 v[10:11], v[48:49], v[24:25], v[10:11] op_sel_hi:[1,0,1]
	v_pk_fma_f32 v[24:25], v[22:23], v[24:25], v[20:21] op_sel_hi:[1,0,1]
	global_load_b128 v[20:23], v[16:17], off offset:3072
	v_dual_lshrrev_b32 v3, 16, v54 :: v_dual_lshrrev_b32 v48, 16, v55
	s_wait_xcnt 0x1
	v_cvt_f32_f16_e32 v36, v3
	s_delay_alu instid0(VALU_DEP_2) | instskip(NEXT) | instid1(VALU_DEP_2)
	v_cvt_f32_f16_e32 v48, v48
	v_pk_fma_f32 v[10:11], v[26:27], v[36:37], v[10:11] op_sel_hi:[1,0,1]
	v_pk_fma_f32 v[34:35], v[34:35], v[36:37], v[24:25] op_sel_hi:[1,0,1]
	global_load_b128 v[24:27], v[16:17], off offset:3088
	v_cvt_f32_f16_e32 v36, v55
	v_lshrrev_b32_e32 v55, 16, v41
	s_wait_xcnt 0x0
	v_add_nc_u64_e32 v[16:17], 0x1000, v[16:17]
	s_delay_alu instid0(VALU_DEP_3)
	v_pk_fma_f32 v[10:11], v[46:47], v[36:37], v[10:11] op_sel_hi:[1,0,1]
	v_pk_fma_f32 v[34:35], v[50:51], v[36:37], v[34:35] op_sel_hi:[1,0,1]
	s_wait_loadcnt 0x1
	v_dual_lshrrev_b32 v50, 16, v39 :: v_dual_lshrrev_b32 v64, 16, v21
	v_cvt_f32_f16_e32 v37, v22
	v_cvt_f32_f16_e32 v36, v20
	;; [unrolled: 1-line block ×4, first 2 shown]
	v_dual_lshrrev_b32 v3, 16, v20 :: v_dual_lshrrev_b32 v51, 16, v22
	v_lshrrev_b32_e32 v54, 16, v23
	v_cvt_f32_f16_e32 v21, v63
	v_cvt_f32_f16_e32 v20, v62
	;; [unrolled: 1-line block ×4, first 2 shown]
	v_dual_lshrrev_b32 v62, 16, v42 :: v_dual_lshrrev_b32 v63, 16, v44
	s_delay_alu instid0(VALU_DEP_4)
	v_pk_fma_f32 v[10:11], v[20:21], v[48:49], v[10:11] op_sel_hi:[1,0,1]
	v_cvt_f32_f16_e32 v21, v40
	v_cvt_f32_f16_e32 v20, v38
	v_pk_fma_f32 v[22:23], v[22:23], v[48:49], v[34:35] op_sel_hi:[1,0,1]
	v_dual_lshrrev_b32 v48, 16, v38 :: v_dual_lshrrev_b32 v49, 16, v40
	v_cvt_f32_f16_e32 v38, v56
	s_wait_loadcnt 0x0
	v_dual_lshrrev_b32 v40, 16, v56 :: v_dual_lshrrev_b32 v66, 16, v26
	v_cvt_f32_f16_e32 v34, v39
	v_cvt_f32_f16_e32 v35, v41
	v_pk_fma_f32 v[10:11], v[28:29], v[38:39], v[10:11] op_sel_hi:[1,0,1]
	v_pk_fma_f32 v[20:21], v[20:21], v[38:39], v[22:23] op_sel_hi:[1,0,1]
	v_cvt_f32_f16_e32 v39, v71
	v_cvt_f32_f16_e32 v38, v70
	;; [unrolled: 1-line block ×5, first 2 shown]
	v_lshrrev_b32_e32 v45, 16, v45
	v_cvt_f32_f16_e32 v44, v57
	v_pk_fma_f32 v[10:11], v[38:39], v[40:41], v[10:11] op_sel_hi:[1,0,1]
	v_cvt_f32_f16_e32 v39, v49
	v_cvt_f32_f16_e32 v38, v48
	v_dual_lshrrev_b32 v56, 16, v24 :: v_dual_lshrrev_b32 v67, 16, v27
	v_lshrrev_b32_e32 v68, 16, v25
	v_pk_fma_f32 v[10:11], v[52:53], v[44:45], v[10:11] op_sel_hi:[1,0,1]
	s_delay_alu instid0(VALU_DEP_4)
	v_pk_fma_f32 v[20:21], v[38:39], v[40:41], v[20:21] op_sel_hi:[1,0,1]
	v_cvt_f32_f16_e32 v39, v26
	v_cvt_f32_f16_e32 v26, v50
	v_lshrrev_b32_e32 v50, 16, v57
	v_cvt_f32_f16_e32 v38, v24
	v_cvt_f32_f16_e32 v41, v27
	;; [unrolled: 1-line block ×7, first 2 shown]
	v_pk_fma_f32 v[20:21], v[34:35], v[44:45], v[20:21] op_sel_hi:[1,0,1]
	v_cvt_f32_f16_e32 v28, v42
	v_cvt_f32_f16_e32 v34, v3
	v_lshrrev_b32_e32 v3, 16, v58
	v_cvt_f32_f16_e32 v44, v58
	v_pk_fma_f32 v[10:11], v[24:25], v[50:51], v[10:11] op_sel_hi:[1,0,1]
	v_pk_fma_f32 v[20:21], v[26:27], v[50:51], v[20:21] op_sel_hi:[1,0,1]
	v_cvt_f32_f16_e32 v22, v43
	v_cvt_f32_f16_e32 v43, v75
	;; [unrolled: 1-line block ×6, first 2 shown]
	v_pk_fma_f32 v[10:11], v[30:31], v[44:45], v[10:11] op_sel_hi:[1,0,1]
	v_pk_fma_f32 v[20:21], v[28:29], v[44:45], v[20:21] op_sel_hi:[1,0,1]
	v_lshrrev_b32_e32 v3, 16, v59
	v_cvt_f32_f16_e32 v28, v59
	v_cvt_f32_f16_e32 v49, v77
	v_pk_fma_f32 v[10:11], v[42:43], v[26:27], v[10:11] op_sel_hi:[1,0,1]
	v_pk_fma_f32 v[20:21], v[24:25], v[26:27], v[20:21] op_sel_hi:[1,0,1]
	v_cvt_f32_f16_e32 v48, v76
	v_cvt_f32_f16_e32 v25, v45
	;; [unrolled: 1-line block ×4, first 2 shown]
	v_pk_fma_f32 v[10:11], v[32:33], v[28:29], v[10:11] op_sel_hi:[1,0,1]
	v_pk_fma_f32 v[20:21], v[22:23], v[28:29], v[20:21] op_sel_hi:[1,0,1]
	v_cvt_f32_f16_e32 v23, v54
	v_lshrrev_b32_e32 v3, 16, v60
	v_cvt_f32_f16_e32 v22, v60
	v_pk_fma_f32 v[10:11], v[48:49], v[26:27], v[10:11] op_sel_hi:[1,0,1]
	v_pk_fma_f32 v[20:21], v[24:25], v[26:27], v[20:21] op_sel_hi:[1,0,1]
	v_cvt_f32_f16_e32 v35, v51
	v_cvt_f32_f16_e32 v24, v56
	;; [unrolled: 1-line block ×4, first 2 shown]
	v_pk_fma_f32 v[10:11], v[36:37], v[22:23], v[10:11] op_sel_hi:[1,0,1]
	v_pk_fma_f32 v[20:21], v[38:39], v[22:23], v[20:21] op_sel_hi:[1,0,1]
	v_lshrrev_b32_e32 v3, 16, v61
	v_cvt_f32_f16_e32 v28, v61
	v_cvt_f32_f16_e32 v22, v64
	v_pk_fma_f32 v[10:11], v[34:35], v[26:27], v[10:11] op_sel_hi:[1,0,1]
	v_pk_fma_f32 v[20:21], v[24:25], v[26:27], v[20:21] op_sel_hi:[1,0,1]
	v_cvt_f32_f16_e32 v25, v67
	v_cvt_f32_f16_e32 v24, v68
	;; [unrolled: 1-line block ×3, first 2 shown]
	v_pk_fma_f32 v[10:11], v[46:47], v[28:29], v[10:11] op_sel_hi:[1,0,1]
	v_pk_fma_f32 v[20:21], v[40:41], v[28:29], v[20:21] op_sel_hi:[1,0,1]
	s_delay_alu instid0(VALU_DEP_2) | instskip(NEXT) | instid1(VALU_DEP_2)
	v_pk_fma_f32 v[10:11], v[22:23], v[26:27], v[10:11] op_sel_hi:[1,0,1]
	v_pk_fma_f32 v[20:21], v[24:25], v[26:27], v[20:21] op_sel_hi:[1,0,1]
	s_and_not1_b32 exec_lo, exec_lo, s7
	s_cbranch_execnz .LBB98_21
; %bb.22:
	s_or_b32 exec_lo, exec_lo, s7
	s_delay_alu instid0(VALU_DEP_1)
	v_dual_mov_b32 v19, v21 :: v_dual_mov_b32 v18, v20
.LBB98_23:
	s_or_b32 exec_lo, exec_lo, s6
.LBB98_24:
	s_delay_alu instid0(SALU_CYCLE_1)
	s_or_b32 exec_lo, exec_lo, s3
	s_cbranch_execz .LBB98_26
	s_branch .LBB98_37
.LBB98_25:
                                        ; implicit-def: $vgpr19
                                        ; implicit-def: $vgpr11
.LBB98_26:
	v_dual_mov_b32 v19, 0 :: v_dual_mov_b32 v18, 0
	v_dual_mov_b32 v11, 0 :: v_dual_mov_b32 v10, 0
	s_and_saveexec_b32 s3, s2
	s_cbranch_execz .LBB98_36
; %bb.27:
	v_dual_mov_b32 v11, v1 :: v_dual_bitop2_b32 v10, 32, v0 bitop3:0x54
	v_sub_nc_u64_e32 v[14:15], s[16:17], v[0:1]
	v_mov_b32_e32 v18, 0
	s_delay_alu instid0(VALU_DEP_3) | instskip(NEXT) | instid1(VALU_DEP_1)
	v_sub_nc_u64_e64 v[10:11], v[10:11], s[16:17]
	v_add_nc_u64_e32 v[10:11], v[10:11], v[12:13]
	v_not_b32_e32 v13, v13
	v_not_b32_e32 v12, v12
	s_delay_alu instid0(VALU_DEP_1) | instskip(NEXT) | instid1(VALU_DEP_4)
	v_add_nc_u64_e32 v[12:13], v[14:15], v[12:13]
	v_max_i64 v[10:11], v[10:11], v[6:7]
	v_mov_b32_e32 v15, v18
	s_delay_alu instid0(VALU_DEP_2) | instskip(SKIP_1) | instid1(VALU_DEP_2)
	v_add_nc_u64_e32 v[12:13], v[12:13], v[10:11]
	v_mov_b64_e32 v[10:11], 0
	v_and_b32_e32 v14, 0x60, v12
	s_delay_alu instid0(VALU_DEP_1)
	v_cmp_ne_u64_e32 vcc_lo, 0x60, v[14:15]
	v_mov_b64_e32 v[14:15], 0
	s_and_saveexec_b32 s2, vcc_lo
	s_cbranch_execz .LBB98_31
; %bb.28:
	v_dual_lshrrev_b32 v1, 5, v12 :: v_dual_mov_b32 v11, v18
	v_lshl_add_u64 v[14:15], v[4:5], 2, s[8:9]
	s_mov_b32 s6, 0
	s_delay_alu instid0(VALU_DEP_2) | instskip(NEXT) | instid1(VALU_DEP_1)
	v_dual_mov_b32 v19, v18 :: v_dual_add_nc_u32 v1, 1, v1
	v_and_b32_e32 v10, 3, v1
	s_delay_alu instid0(VALU_DEP_1)
	v_sub_nc_u64_e32 v[16:17], 0, v[10:11]
	v_mov_b32_e32 v10, v18
.LBB98_29:                              ; =>This Inner Loop Header: Depth=1
	global_load_b32 v1, v[14:15], off
	global_load_b128 v[20:23], v[8:9], off
	v_add_nc_u64_e32 v[16:17], 1, v[16:17]
	v_add_nc_u64_e32 v[4:5], 32, v[4:5]
	s_wait_xcnt 0x1
	v_add_nc_u64_e32 v[14:15], 0x80, v[14:15]
	s_delay_alu instid0(VALU_DEP_3)
	v_cmp_eq_u64_e32 vcc_lo, 0, v[16:17]
	s_or_b32 s6, vcc_lo, s6
	s_wait_loadcnt 0x1
	v_subrev_nc_u32_e32 v1, s16, v1
	s_wait_loadcnt 0x0
	v_cvt_f32_f16_e32 v32, v23
	v_lshrrev_b32_e32 v3, 16, v22
	v_cvt_f32_f16_e32 v22, v22
	v_dual_lshrrev_b32 v33, 16, v23 :: v_dual_lshlrev_b32 v24, 2, v1
	v_lshrrev_b32_e32 v1, 16, v20
	v_cvt_f32_f16_e32 v20, v20
	v_cvt_f32_f16_e32 v23, v3
	s_delay_alu instid0(VALU_DEP_4) | instskip(SKIP_2) | instid1(VALU_DEP_1)
	v_cvt_f32_f16_e32 v33, v33
	v_ashrrev_i32_e32 v25, 31, v24
	s_wait_kmcnt 0x0
	v_lshl_add_u64 v[28:29], v[24:25], 1, s[4:5]
	global_load_b64 v[30:31], v[28:29], off
	global_load_b128 v[24:27], v[8:9], off offset:16
	s_wait_xcnt 0x1
	v_lshrrev_b32_e32 v29, 16, v21
	v_cvt_f32_f16_e32 v28, v21
	v_cvt_f32_f16_e32 v21, v1
	s_wait_xcnt 0x0
	v_add_nc_u64_e32 v[8:9], 0x400, v[8:9]
	v_cvt_f32_f16_e32 v29, v29
	s_wait_loadcnt 0x1
	v_lshrrev_b32_e32 v1, 16, v30
	v_cvt_f32_f16_e32 v30, v30
	s_wait_loadcnt 0x0
	v_dual_lshrrev_b32 v35, 16, v24 :: v_dual_lshrrev_b32 v37, 16, v25
	v_dual_lshrrev_b32 v39, 16, v26 :: v_dual_lshrrev_b32 v40, 16, v27
	v_cvt_f32_f16_e32 v38, v1
	v_pk_fma_f32 v[10:11], v[20:21], v[30:31], v[10:11] op_sel_hi:[1,0,1]
	v_pk_fma_f32 v[18:19], v[28:29], v[30:31], v[18:19] op_sel_hi:[1,0,1]
	v_cvt_f32_f16_e32 v24, v24
	v_cvt_f32_f16_e32 v34, v25
	v_cvt_f32_f16_e32 v25, v35
	v_cvt_f32_f16_e32 v35, v37
	v_lshrrev_b32_e32 v1, 16, v31
	v_cvt_f32_f16_e32 v20, v31
	v_pk_fma_f32 v[10:11], v[22:23], v[38:39], v[10:11] op_sel_hi:[1,0,1]
	v_pk_fma_f32 v[18:19], v[32:33], v[38:39], v[18:19] op_sel_hi:[1,0,1]
	v_cvt_f32_f16_e32 v26, v26
	v_cvt_f32_f16_e32 v36, v27
	;; [unrolled: 1-line block ×5, first 2 shown]
	v_pk_fma_f32 v[10:11], v[24:25], v[20:21], v[10:11] op_sel_hi:[1,0,1]
	v_pk_fma_f32 v[18:19], v[34:35], v[20:21], v[18:19] op_sel_hi:[1,0,1]
	s_delay_alu instid0(VALU_DEP_2) | instskip(NEXT) | instid1(VALU_DEP_2)
	v_pk_fma_f32 v[10:11], v[26:27], v[22:23], v[10:11] op_sel_hi:[1,0,1]
	v_pk_fma_f32 v[18:19], v[36:37], v[22:23], v[18:19] op_sel_hi:[1,0,1]
	s_and_not1_b32 exec_lo, exec_lo, s6
	s_cbranch_execnz .LBB98_29
; %bb.30:
	s_or_b32 exec_lo, exec_lo, s6
	s_delay_alu instid0(VALU_DEP_1)
	v_mov_b64_e32 v[14:15], v[18:19]
.LBB98_31:
	s_or_b32 exec_lo, exec_lo, s2
	s_delay_alu instid0(SALU_CYCLE_1)
	s_mov_b32 s2, exec_lo
	v_cmpx_lt_u64_e32 0x5f, v[12:13]
	s_cbranch_execz .LBB98_35
; %bb.32:
	v_lshl_add_u64 v[12:13], v[4:5], 2, s[8:9]
	s_mov_b32 s6, 0
	s_delay_alu instid0(VALU_DEP_1)
	v_add_nc_u64_e32 v[12:13], 0x100, v[12:13]
.LBB98_33:                              ; =>This Inner Loop Header: Depth=1
	global_load_b32 v1, v[12:13], off offset:-256
	global_load_b128 v[16:19], v[8:9], off
	s_clause 0x2
	global_load_b32 v3, v[12:13], off offset:-128
	global_load_b32 v45, v[12:13], off
	global_load_b32 v47, v[12:13], off offset:128
	s_clause 0x5
	global_load_b128 v[20:23], v[8:9], off offset:16
	global_load_b128 v[24:27], v[8:9], off offset:1024
	;; [unrolled: 1-line block ×6, first 2 shown]
	v_add_nc_u64_e32 v[4:5], 0x80, v[4:5]
	s_wait_xcnt 0x6
	v_add_nc_u64_e32 v[12:13], 0x200, v[12:13]
	s_delay_alu instid0(VALU_DEP_2)
	v_cmp_ge_i64_e32 vcc_lo, v[4:5], v[6:7]
	s_or_b32 s6, vcc_lo, s6
	s_wait_loadcnt 0xa
	v_subrev_nc_u32_e32 v1, s16, v1
	s_wait_loadcnt 0x9
	v_dual_lshrrev_b32 v65, 16, v17 :: v_dual_lshrrev_b32 v66, 16, v19
	s_wait_loadcnt 0x8
	v_subrev_nc_u32_e32 v3, s16, v3
	v_cvt_f32_f16_e32 v48, v19
	s_wait_loadcnt 0x7
	v_subrev_nc_u32_e32 v19, s16, v45
	s_wait_loadcnt 0x6
	v_subrev_nc_u32_e32 v45, s16, v47
	v_dual_lshrrev_b32 v49, 16, v16 :: v_dual_lshrrev_b32 v64, 16, v18
	v_cvt_f32_f16_e32 v44, v18
	v_dual_lshlrev_b32 v18, 2, v1 :: v_dual_lshlrev_b32 v50, 2, v3
	s_delay_alu instid0(VALU_DEP_4) | instskip(SKIP_1) | instid1(VALU_DEP_2)
	v_dual_lshlrev_b32 v52, 2, v19 :: v_dual_lshlrev_b32 v54, 2, v45
	s_wait_loadcnt 0x5
	v_dual_lshrrev_b32 v1, 16, v20 :: v_dual_ashrrev_i32 v19, 31, v18
	s_delay_alu instid0(VALU_DEP_2) | instskip(NEXT) | instid1(VALU_DEP_3)
	v_dual_ashrrev_i32 v51, 31, v50 :: v_dual_ashrrev_i32 v53, 31, v52
	v_dual_ashrrev_i32 v55, 31, v54 :: v_dual_lshrrev_b32 v3, 16, v21
	s_wait_kmcnt 0x0
	s_delay_alu instid0(VALU_DEP_3) | instskip(NEXT) | instid1(VALU_DEP_3)
	v_lshl_add_u64 v[18:19], v[18:19], 1, s[4:5]
	v_lshl_add_u64 v[50:51], v[50:51], 1, s[4:5]
	;; [unrolled: 1-line block ×4, first 2 shown]
	s_clause 0x3
	global_load_b64 v[56:57], v[18:19], off
	global_load_b64 v[58:59], v[50:51], off
	;; [unrolled: 1-line block ×4, first 2 shown]
	v_cvt_f32_f16_e32 v16, v16
	v_cvt_f32_f16_e32 v46, v17
	;; [unrolled: 1-line block ×7, first 2 shown]
	s_wait_loadcnt 0x5
	s_wait_xcnt 0x1
	v_dual_lshrrev_b32 v52, 16, v35 :: v_dual_lshrrev_b32 v53, 16, v37
	s_wait_loadcnt 0x4
	s_wait_xcnt 0x0
	v_dual_lshrrev_b32 v54, 16, v39 :: v_dual_lshrrev_b32 v55, 16, v41
	s_wait_loadcnt 0x3
	v_cvt_f32_f16_e32 v50, v56
	s_delay_alu instid0(VALU_DEP_1)
	v_pk_fma_f32 v[10:11], v[16:17], v[50:51], v[10:11] op_sel_hi:[1,0,1]
	global_load_b128 v[16:19], v[8:9], off offset:3088
	v_pk_fma_f32 v[14:15], v[46:47], v[50:51], v[14:15] op_sel_hi:[1,0,1]
	v_lshrrev_b32_e32 v46, 16, v56
	v_dual_lshrrev_b32 v51, 16, v36 :: v_dual_lshrrev_b32 v56, 16, v42
	v_cvt_f32_f16_e32 v42, v42
	s_wait_xcnt 0x0
	v_add_nc_u64_e32 v[8:9], 0x1000, v[8:9]
	v_cvt_f32_f16_e32 v46, v46
	v_lshrrev_b32_e32 v50, 16, v34
	s_delay_alu instid0(VALU_DEP_2)
	v_pk_fma_f32 v[10:11], v[44:45], v[46:47], v[10:11] op_sel_hi:[1,0,1]
	v_lshrrev_b32_e32 v47, 16, v22
	v_cvt_f32_f16_e32 v44, v21
	v_cvt_f32_f16_e32 v21, v1
	v_lshrrev_b32_e32 v1, 16, v26
	v_cvt_f32_f16_e32 v45, v3
	v_pk_fma_f32 v[14:15], v[48:49], v[46:47], v[14:15] op_sel_hi:[1,0,1]
	v_cvt_f32_f16_e32 v46, v57
	v_lshrrev_b32_e32 v48, 16, v24
	v_dual_lshrrev_b32 v3, 16, v28 :: v_dual_lshrrev_b32 v49, 16, v30
	v_cvt_f32_f16_e32 v22, v22
	s_delay_alu instid0(VALU_DEP_4)
	v_pk_fma_f32 v[10:11], v[20:21], v[46:47], v[10:11] op_sel_hi:[1,0,1]
	v_cvt_f32_f16_e32 v20, v24
	v_cvt_f32_f16_e32 v24, v26
	;; [unrolled: 1-line block ×3, first 2 shown]
	v_lshrrev_b32_e32 v28, 16, v57
	v_pk_fma_f32 v[14:15], v[44:45], v[46:47], v[14:15] op_sel_hi:[1,0,1]
	v_lshrrev_b32_e32 v21, 16, v23
	v_cvt_f32_f16_e32 v44, v23
	v_cvt_f32_f16_e32 v23, v47
	;; [unrolled: 1-line block ×3, first 2 shown]
	v_lshrrev_b32_e32 v47, 16, v32
	v_cvt_f32_f16_e32 v45, v21
	v_lshrrev_b32_e32 v46, 16, v27
	v_cvt_f32_f16_e32 v21, v48
	v_pk_fma_f32 v[10:11], v[22:23], v[28:29], v[10:11] op_sel_hi:[1,0,1]
	v_lshrrev_b32_e32 v23, 16, v25
	v_cvt_f32_f16_e32 v22, v30
	v_pk_fma_f32 v[14:15], v[44:45], v[28:29], v[14:15] op_sel_hi:[1,0,1]
	v_cvt_f32_f16_e32 v44, v25
	v_cvt_f32_f16_e32 v30, v32
	;; [unrolled: 1-line block ×3, first 2 shown]
	s_wait_loadcnt 0x3
	v_cvt_f32_f16_e32 v32, v58
	v_cvt_f32_f16_e32 v25, v1
	v_lshrrev_b32_e32 v1, 16, v58
	v_cvt_f32_f16_e32 v28, v27
	v_cvt_f32_f16_e32 v27, v3
	v_pk_fma_f32 v[10:11], v[20:21], v[32:33], v[10:11] op_sel_hi:[1,0,1]
	v_pk_fma_f32 v[14:15], v[44:45], v[32:33], v[14:15] op_sel_hi:[1,0,1]
	v_dual_lshrrev_b32 v21, 16, v29 :: v_dual_lshrrev_b32 v45, 16, v31
	v_cvt_f32_f16_e32 v32, v29
	v_cvt_f32_f16_e32 v44, v1
	;; [unrolled: 1-line block ×3, first 2 shown]
	v_lshrrev_b32_e32 v1, 16, v38
	v_cvt_f32_f16_e32 v20, v34
	v_cvt_f32_f16_e32 v34, v31
	v_pk_fma_f32 v[10:11], v[24:25], v[44:45], v[10:11] op_sel_hi:[1,0,1]
	v_pk_fma_f32 v[14:15], v[28:29], v[44:45], v[14:15] op_sel_hi:[1,0,1]
	v_lshrrev_b32_e32 v29, 16, v33
	v_cvt_f32_f16_e32 v28, v33
	v_cvt_f32_f16_e32 v44, v59
	;; [unrolled: 1-line block ×3, first 2 shown]
	v_lshrrev_b32_e32 v21, 16, v59
	v_cvt_f32_f16_e32 v24, v36
	v_cvt_f32_f16_e32 v36, v35
	v_pk_fma_f32 v[10:11], v[26:27], v[44:45], v[10:11] op_sel_hi:[1,0,1]
	v_pk_fma_f32 v[14:15], v[32:33], v[44:45], v[14:15] op_sel_hi:[1,0,1]
	v_cvt_f32_f16_e32 v23, v49
	v_cvt_f32_f16_e32 v48, v21
	;; [unrolled: 1-line block ×6, first 2 shown]
	v_pk_fma_f32 v[10:11], v[22:23], v[48:49], v[10:11] op_sel_hi:[1,0,1]
	v_pk_fma_f32 v[14:15], v[34:35], v[48:49], v[14:15] op_sel_hi:[1,0,1]
	s_wait_loadcnt 0x2
	v_lshrrev_b32_e32 v1, 16, v60
	v_cvt_f32_f16_e32 v48, v60
	v_lshrrev_b32_e32 v3, 16, v40
	v_cvt_f32_f16_e32 v32, v37
	v_cvt_f32_f16_e32 v21, v50
	;; [unrolled: 1-line block ×8, first 2 shown]
	v_lshrrev_b32_e32 v57, 16, v43
	v_cvt_f32_f16_e32 v40, v40
	v_cvt_f32_f16_e32 v44, v41
	;; [unrolled: 1-line block ×6, first 2 shown]
	s_wait_loadcnt 0x0
	v_dual_lshrrev_b32 v49, 16, v17 :: v_dual_lshrrev_b32 v58, 16, v19
	v_lshrrev_b32_e32 v23, 16, v16
	v_cvt_f32_f16_e32 v47, v57
	v_lshrrev_b32_e32 v35, 16, v18
	s_delay_alu instid0(VALU_DEP_4)
	v_pk_fma_f32 v[10:11], v[30:31], v[48:49], v[10:11] op_sel_hi:[1,0,1]
	v_cvt_f32_f16_e32 v30, v1
	v_pk_fma_f32 v[14:15], v[28:29], v[48:49], v[14:15] op_sel_hi:[1,0,1]
	v_lshrrev_b32_e32 v1, 16, v61
	v_cvt_f32_f16_e32 v28, v61
	v_cvt_f32_f16_e32 v16, v16
	v_pk_fma_f32 v[10:11], v[20:21], v[30:31], v[10:11] op_sel_hi:[1,0,1]
	v_pk_fma_f32 v[14:15], v[36:37], v[30:31], v[14:15] op_sel_hi:[1,0,1]
	v_cvt_f32_f16_e32 v20, v1
	v_lshrrev_b32_e32 v1, 16, v62
	v_cvt_f32_f16_e32 v22, v17
	v_pk_fma_f32 v[10:11], v[24:25], v[28:29], v[10:11] op_sel_hi:[1,0,1]
	v_pk_fma_f32 v[14:15], v[32:33], v[28:29], v[14:15] op_sel_hi:[1,0,1]
	v_cvt_f32_f16_e32 v24, v62
	v_cvt_f32_f16_e32 v17, v23
	;; [unrolled: 1-line block ×3, first 2 shown]
	v_pk_fma_f32 v[10:11], v[26:27], v[20:21], v[10:11] op_sel_hi:[1,0,1]
	v_pk_fma_f32 v[14:15], v[38:39], v[20:21], v[14:15] op_sel_hi:[1,0,1]
	v_cvt_f32_f16_e32 v20, v1
	v_lshrrev_b32_e32 v1, 16, v63
	v_cvt_f32_f16_e32 v18, v18
	v_pk_fma_f32 v[10:11], v[40:41], v[24:25], v[10:11] op_sel_hi:[1,0,1]
	v_pk_fma_f32 v[14:15], v[44:45], v[24:25], v[14:15] op_sel_hi:[1,0,1]
	v_cvt_f32_f16_e32 v24, v63
	v_cvt_f32_f16_e32 v34, v19
	;; [unrolled: 1-line block ×3, first 2 shown]
	v_pk_fma_f32 v[10:11], v[42:43], v[20:21], v[10:11] op_sel_hi:[1,0,1]
	v_pk_fma_f32 v[14:15], v[46:47], v[20:21], v[14:15] op_sel_hi:[1,0,1]
	v_cvt_f32_f16_e32 v35, v58
	v_cvt_f32_f16_e32 v20, v1
	s_delay_alu instid0(VALU_DEP_4) | instskip(NEXT) | instid1(VALU_DEP_4)
	v_pk_fma_f32 v[10:11], v[16:17], v[24:25], v[10:11] op_sel_hi:[1,0,1]
	v_pk_fma_f32 v[14:15], v[22:23], v[24:25], v[14:15] op_sel_hi:[1,0,1]
	s_delay_alu instid0(VALU_DEP_2) | instskip(NEXT) | instid1(VALU_DEP_2)
	v_pk_fma_f32 v[10:11], v[18:19], v[20:21], v[10:11] op_sel_hi:[1,0,1]
	v_pk_fma_f32 v[14:15], v[34:35], v[20:21], v[14:15] op_sel_hi:[1,0,1]
	s_and_not1_b32 exec_lo, exec_lo, s6
	s_cbranch_execnz .LBB98_33
; %bb.34:
	s_or_b32 exec_lo, exec_lo, s6
	s_delay_alu instid0(VALU_DEP_1)
	v_dual_mov_b32 v19, v15 :: v_dual_mov_b32 v18, v14
.LBB98_35:
	s_or_b32 exec_lo, exec_lo, s2
.LBB98_36:
	s_delay_alu instid0(SALU_CYCLE_1)
	s_or_b32 exec_lo, exec_lo, s3
.LBB98_37:
	v_mbcnt_lo_u32_b32 v1, -1, 0
	s_mov_b32 s2, -1
	s_delay_alu instid0(VALU_DEP_1) | instskip(NEXT) | instid1(VALU_DEP_1)
	v_xor_b32_e32 v3, 16, v1
	v_cmp_gt_i32_e32 vcc_lo, 32, v3
	v_cndmask_b32_e32 v3, v1, v3, vcc_lo
	s_delay_alu instid0(VALU_DEP_1)
	v_lshlrev_b32_e32 v3, 2, v3
	ds_bpermute_b32 v4, v3, v10
	ds_bpermute_b32 v5, v3, v11
	ds_bpermute_b32 v6, v3, v18
	ds_bpermute_b32 v7, v3, v19
	v_xor_b32_e32 v3, 8, v1
	s_delay_alu instid0(VALU_DEP_1) | instskip(SKIP_1) | instid1(VALU_DEP_1)
	v_cmp_gt_i32_e32 vcc_lo, 32, v3
	v_cndmask_b32_e32 v3, v1, v3, vcc_lo
	v_lshlrev_b32_e32 v3, 2, v3
	s_wait_dscnt 0x2
	v_pk_add_f32 v[4:5], v[10:11], v[4:5]
	s_wait_dscnt 0x0
	v_pk_add_f32 v[6:7], v[18:19], v[6:7]
	ds_bpermute_b32 v8, v3, v4
	ds_bpermute_b32 v9, v3, v5
	ds_bpermute_b32 v10, v3, v6
	ds_bpermute_b32 v11, v3, v7
	v_xor_b32_e32 v3, 4, v1
	s_delay_alu instid0(VALU_DEP_1) | instskip(SKIP_1) | instid1(VALU_DEP_1)
	v_cmp_gt_i32_e32 vcc_lo, 32, v3
	v_cndmask_b32_e32 v3, v1, v3, vcc_lo
	v_lshlrev_b32_e32 v3, 2, v3
	s_wait_dscnt 0x2
	v_pk_add_f32 v[4:5], v[4:5], v[8:9]
	s_wait_dscnt 0x0
	v_pk_add_f32 v[6:7], v[6:7], v[10:11]
	;; [unrolled: 13-line block ×3, first 2 shown]
	ds_bpermute_b32 v8, v3, v4
	ds_bpermute_b32 v9, v3, v5
	;; [unrolled: 1-line block ×4, first 2 shown]
	v_xor_b32_e32 v3, 1, v1
	s_delay_alu instid0(VALU_DEP_1) | instskip(SKIP_2) | instid1(VALU_DEP_2)
	v_cmp_gt_i32_e32 vcc_lo, 32, v3
	v_cndmask_b32_e32 v1, v1, v3, vcc_lo
	v_cmp_eq_u32_e32 vcc_lo, 31, v0
	v_lshlrev_b32_e32 v1, 2, v1
	s_wait_dscnt 0x2
	v_pk_add_f32 v[4:5], v[4:5], v[8:9]
	s_wait_dscnt 0x0
	v_pk_add_f32 v[6:7], v[6:7], v[10:11]
	ds_bpermute_b32 v10, v1, v4
	ds_bpermute_b32 v11, v1, v5
	;; [unrolled: 1-line block ×4, first 2 shown]
	s_and_b32 exec_lo, exec_lo, vcc_lo
	s_cbranch_execz .LBB98_10
; %bb.38:
	s_load_b64 s[0:1], s[0:1], 0x50
	s_wait_dscnt 0x2
	v_pk_add_f32 v[4:5], v[4:5], v[10:11]
	s_wait_dscnt 0x0
	v_pk_add_f32 v[0:1], v[6:7], v[8:9]
	v_lshlrev_b32_e32 v2, 2, v2
	s_cmp_eq_f32 s14, 0
	s_cbranch_scc0 .LBB98_40
; %bb.39:
	s_delay_alu instid0(VALU_DEP_1)
	v_ashrrev_i32_e32 v3, 31, v2
	v_pk_mul_f32 v[6:7], s[12:13], v[4:5] op_sel_hi:[0,1]
	v_pk_mul_f32 v[8:9], s[12:13], v[0:1] op_sel_hi:[0,1]
	s_mov_b32 s2, 0
	s_wait_kmcnt 0x0
	v_lshl_add_u64 v[10:11], v[2:3], 2, s[0:1]
	global_store_b128 v[10:11], v[6:9], off
.LBB98_40:
	s_and_not1_b32 vcc_lo, exec_lo, s2
	s_cbranch_vccnz .LBB98_10
; %bb.41:
	v_ashrrev_i32_e32 v3, 31, v2
	s_wait_kmcnt 0x0
	s_delay_alu instid0(VALU_DEP_1)
	v_lshl_add_u64 v[10:11], v[2:3], 2, s[0:1]
	v_pk_mul_f32 v[2:3], s[12:13], v[4:5] op_sel_hi:[0,1]
	v_pk_mul_f32 v[4:5], s[12:13], v[0:1] op_sel_hi:[0,1]
	global_load_b128 v[6:9], v[10:11], off
	s_wait_loadcnt 0x0
	v_pk_fma_f32 v[0:1], s[14:15], v[6:7], v[2:3] op_sel_hi:[0,1,1]
	v_pk_fma_f32 v[2:3], s[14:15], v[8:9], v[4:5] op_sel_hi:[0,1,1]
	global_store_b128 v[10:11], v[0:3], off
	s_sendmsg sendmsg(MSG_DEALLOC_VGPRS)
	s_endpgm
	.section	.rodata,"a",@progbits
	.p2align	6, 0x0
	.amdhsa_kernel _ZN9rocsparseL18bsrxmvn_4x4_kernelILj128ELj32EfliDF16_DF16_fEEvT3_20rocsparse_direction_NS_24const_host_device_scalarIT1_EES1_PKS1_PKT2_SA_S7_PKT4_PKT5_S5_PT6_21rocsparse_index_base_b
		.amdhsa_group_segment_fixed_size 0
		.amdhsa_private_segment_fixed_size 0
		.amdhsa_kernarg_size 96
		.amdhsa_user_sgpr_count 2
		.amdhsa_user_sgpr_dispatch_ptr 0
		.amdhsa_user_sgpr_queue_ptr 0
		.amdhsa_user_sgpr_kernarg_segment_ptr 1
		.amdhsa_user_sgpr_dispatch_id 0
		.amdhsa_user_sgpr_kernarg_preload_length 0
		.amdhsa_user_sgpr_kernarg_preload_offset 0
		.amdhsa_user_sgpr_private_segment_size 0
		.amdhsa_wavefront_size32 1
		.amdhsa_uses_dynamic_stack 0
		.amdhsa_enable_private_segment 0
		.amdhsa_system_sgpr_workgroup_id_x 1
		.amdhsa_system_sgpr_workgroup_id_y 0
		.amdhsa_system_sgpr_workgroup_id_z 0
		.amdhsa_system_sgpr_workgroup_info 0
		.amdhsa_system_vgpr_workitem_id 0
		.amdhsa_next_free_vgpr 78
		.amdhsa_next_free_sgpr 18
		.amdhsa_named_barrier_count 0
		.amdhsa_reserve_vcc 1
		.amdhsa_float_round_mode_32 0
		.amdhsa_float_round_mode_16_64 0
		.amdhsa_float_denorm_mode_32 3
		.amdhsa_float_denorm_mode_16_64 3
		.amdhsa_fp16_overflow 0
		.amdhsa_memory_ordered 1
		.amdhsa_forward_progress 1
		.amdhsa_inst_pref_size 38
		.amdhsa_round_robin_scheduling 0
		.amdhsa_exception_fp_ieee_invalid_op 0
		.amdhsa_exception_fp_denorm_src 0
		.amdhsa_exception_fp_ieee_div_zero 0
		.amdhsa_exception_fp_ieee_overflow 0
		.amdhsa_exception_fp_ieee_underflow 0
		.amdhsa_exception_fp_ieee_inexact 0
		.amdhsa_exception_int_div_zero 0
	.end_amdhsa_kernel
	.section	.text._ZN9rocsparseL18bsrxmvn_4x4_kernelILj128ELj32EfliDF16_DF16_fEEvT3_20rocsparse_direction_NS_24const_host_device_scalarIT1_EES1_PKS1_PKT2_SA_S7_PKT4_PKT5_S5_PT6_21rocsparse_index_base_b,"axG",@progbits,_ZN9rocsparseL18bsrxmvn_4x4_kernelILj128ELj32EfliDF16_DF16_fEEvT3_20rocsparse_direction_NS_24const_host_device_scalarIT1_EES1_PKS1_PKT2_SA_S7_PKT4_PKT5_S5_PT6_21rocsparse_index_base_b,comdat
.Lfunc_end98:
	.size	_ZN9rocsparseL18bsrxmvn_4x4_kernelILj128ELj32EfliDF16_DF16_fEEvT3_20rocsparse_direction_NS_24const_host_device_scalarIT1_EES1_PKS1_PKT2_SA_S7_PKT4_PKT5_S5_PT6_21rocsparse_index_base_b, .Lfunc_end98-_ZN9rocsparseL18bsrxmvn_4x4_kernelILj128ELj32EfliDF16_DF16_fEEvT3_20rocsparse_direction_NS_24const_host_device_scalarIT1_EES1_PKS1_PKT2_SA_S7_PKT4_PKT5_S5_PT6_21rocsparse_index_base_b
                                        ; -- End function
	.set _ZN9rocsparseL18bsrxmvn_4x4_kernelILj128ELj32EfliDF16_DF16_fEEvT3_20rocsparse_direction_NS_24const_host_device_scalarIT1_EES1_PKS1_PKT2_SA_S7_PKT4_PKT5_S5_PT6_21rocsparse_index_base_b.num_vgpr, 78
	.set _ZN9rocsparseL18bsrxmvn_4x4_kernelILj128ELj32EfliDF16_DF16_fEEvT3_20rocsparse_direction_NS_24const_host_device_scalarIT1_EES1_PKS1_PKT2_SA_S7_PKT4_PKT5_S5_PT6_21rocsparse_index_base_b.num_agpr, 0
	.set _ZN9rocsparseL18bsrxmvn_4x4_kernelILj128ELj32EfliDF16_DF16_fEEvT3_20rocsparse_direction_NS_24const_host_device_scalarIT1_EES1_PKS1_PKT2_SA_S7_PKT4_PKT5_S5_PT6_21rocsparse_index_base_b.numbered_sgpr, 18
	.set _ZN9rocsparseL18bsrxmvn_4x4_kernelILj128ELj32EfliDF16_DF16_fEEvT3_20rocsparse_direction_NS_24const_host_device_scalarIT1_EES1_PKS1_PKT2_SA_S7_PKT4_PKT5_S5_PT6_21rocsparse_index_base_b.num_named_barrier, 0
	.set _ZN9rocsparseL18bsrxmvn_4x4_kernelILj128ELj32EfliDF16_DF16_fEEvT3_20rocsparse_direction_NS_24const_host_device_scalarIT1_EES1_PKS1_PKT2_SA_S7_PKT4_PKT5_S5_PT6_21rocsparse_index_base_b.private_seg_size, 0
	.set _ZN9rocsparseL18bsrxmvn_4x4_kernelILj128ELj32EfliDF16_DF16_fEEvT3_20rocsparse_direction_NS_24const_host_device_scalarIT1_EES1_PKS1_PKT2_SA_S7_PKT4_PKT5_S5_PT6_21rocsparse_index_base_b.uses_vcc, 1
	.set _ZN9rocsparseL18bsrxmvn_4x4_kernelILj128ELj32EfliDF16_DF16_fEEvT3_20rocsparse_direction_NS_24const_host_device_scalarIT1_EES1_PKS1_PKT2_SA_S7_PKT4_PKT5_S5_PT6_21rocsparse_index_base_b.uses_flat_scratch, 0
	.set _ZN9rocsparseL18bsrxmvn_4x4_kernelILj128ELj32EfliDF16_DF16_fEEvT3_20rocsparse_direction_NS_24const_host_device_scalarIT1_EES1_PKS1_PKT2_SA_S7_PKT4_PKT5_S5_PT6_21rocsparse_index_base_b.has_dyn_sized_stack, 0
	.set _ZN9rocsparseL18bsrxmvn_4x4_kernelILj128ELj32EfliDF16_DF16_fEEvT3_20rocsparse_direction_NS_24const_host_device_scalarIT1_EES1_PKS1_PKT2_SA_S7_PKT4_PKT5_S5_PT6_21rocsparse_index_base_b.has_recursion, 0
	.set _ZN9rocsparseL18bsrxmvn_4x4_kernelILj128ELj32EfliDF16_DF16_fEEvT3_20rocsparse_direction_NS_24const_host_device_scalarIT1_EES1_PKS1_PKT2_SA_S7_PKT4_PKT5_S5_PT6_21rocsparse_index_base_b.has_indirect_call, 0
	.section	.AMDGPU.csdata,"",@progbits
; Kernel info:
; codeLenInByte = 4812
; TotalNumSgprs: 20
; NumVgprs: 78
; ScratchSize: 0
; MemoryBound: 0
; FloatMode: 240
; IeeeMode: 1
; LDSByteSize: 0 bytes/workgroup (compile time only)
; SGPRBlocks: 0
; VGPRBlocks: 4
; NumSGPRsForWavesPerEU: 20
; NumVGPRsForWavesPerEU: 78
; NamedBarCnt: 0
; Occupancy: 12
; WaveLimiterHint : 1
; COMPUTE_PGM_RSRC2:SCRATCH_EN: 0
; COMPUTE_PGM_RSRC2:USER_SGPR: 2
; COMPUTE_PGM_RSRC2:TRAP_HANDLER: 0
; COMPUTE_PGM_RSRC2:TGID_X_EN: 1
; COMPUTE_PGM_RSRC2:TGID_Y_EN: 0
; COMPUTE_PGM_RSRC2:TGID_Z_EN: 0
; COMPUTE_PGM_RSRC2:TIDIG_COMP_CNT: 0
	.section	.text._ZN9rocsparseL18bsrxmvn_4x4_kernelILj128ELj64EfliDF16_DF16_fEEvT3_20rocsparse_direction_NS_24const_host_device_scalarIT1_EES1_PKS1_PKT2_SA_S7_PKT4_PKT5_S5_PT6_21rocsparse_index_base_b,"axG",@progbits,_ZN9rocsparseL18bsrxmvn_4x4_kernelILj128ELj64EfliDF16_DF16_fEEvT3_20rocsparse_direction_NS_24const_host_device_scalarIT1_EES1_PKS1_PKT2_SA_S7_PKT4_PKT5_S5_PT6_21rocsparse_index_base_b,comdat
	.globl	_ZN9rocsparseL18bsrxmvn_4x4_kernelILj128ELj64EfliDF16_DF16_fEEvT3_20rocsparse_direction_NS_24const_host_device_scalarIT1_EES1_PKS1_PKT2_SA_S7_PKT4_PKT5_S5_PT6_21rocsparse_index_base_b ; -- Begin function _ZN9rocsparseL18bsrxmvn_4x4_kernelILj128ELj64EfliDF16_DF16_fEEvT3_20rocsparse_direction_NS_24const_host_device_scalarIT1_EES1_PKS1_PKT2_SA_S7_PKT4_PKT5_S5_PT6_21rocsparse_index_base_b
	.p2align	8
	.type	_ZN9rocsparseL18bsrxmvn_4x4_kernelILj128ELj64EfliDF16_DF16_fEEvT3_20rocsparse_direction_NS_24const_host_device_scalarIT1_EES1_PKS1_PKT2_SA_S7_PKT4_PKT5_S5_PT6_21rocsparse_index_base_b,@function
_ZN9rocsparseL18bsrxmvn_4x4_kernelILj128ELj64EfliDF16_DF16_fEEvT3_20rocsparse_direction_NS_24const_host_device_scalarIT1_EES1_PKS1_PKT2_SA_S7_PKT4_PKT5_S5_PT6_21rocsparse_index_base_b: ; @_ZN9rocsparseL18bsrxmvn_4x4_kernelILj128ELj64EfliDF16_DF16_fEEvT3_20rocsparse_direction_NS_24const_host_device_scalarIT1_EES1_PKS1_PKT2_SA_S7_PKT4_PKT5_S5_PT6_21rocsparse_index_base_b
; %bb.0:
	s_clause 0x2
	s_load_b64 s[16:17], s[0:1], 0x58
	s_load_b64 s[12:13], s[0:1], 0x8
	;; [unrolled: 1-line block ×3, first 2 shown]
	s_wait_kmcnt 0x0
	s_bitcmp1_b32 s17, 0
	s_cselect_b32 s2, -1, 0
	s_delay_alu instid0(SALU_CYCLE_1)
	s_and_b32 vcc_lo, exec_lo, s2
	s_xor_b32 s2, s2, -1
	s_cbranch_vccnz .LBB99_2
; %bb.1:
	s_load_b32 s12, s[12:13], 0x0
.LBB99_2:
	s_and_not1_b32 vcc_lo, exec_lo, s2
	s_cbranch_vccnz .LBB99_4
; %bb.3:
	s_load_b32 s14, s[14:15], 0x0
.LBB99_4:
	s_wait_kmcnt 0x0
	s_cmp_neq_f32 s12, 0
	s_mov_b32 s6, 0
	s_cselect_b32 s2, -1, 0
	s_cmp_neq_f32 s14, 1.0
	s_cselect_b32 s3, -1, 0
	s_delay_alu instid0(SALU_CYCLE_1) | instskip(NEXT) | instid1(SALU_CYCLE_1)
	s_or_b32 s2, s2, s3
	s_and_not1_b32 vcc_lo, exec_lo, s2
	s_cbranch_vccnz .LBB99_10
; %bb.5:
	s_clause 0x1
	s_load_b64 s[4:5], s[0:1], 0x18
	s_load_b64 s[2:3], s[0:1], 0x0
	s_bfe_u32 s7, ttmp6, 0x4000c
	s_and_b32 s8, ttmp6, 15
	s_add_co_i32 s7, s7, 1
	s_getreg_b32 s9, hwreg(HW_REG_IB_STS2, 6, 4)
	s_mul_i32 s7, ttmp9, s7
	v_lshrrev_b32_e32 v1, 6, v0
	s_add_co_i32 s8, s8, s7
	s_cmp_eq_u32 s9, 0
	s_cselect_b32 s7, ttmp9, s8
	s_delay_alu instid0(VALU_DEP_1) | instid1(SALU_CYCLE_1)
	v_lshl_or_b32 v2, s7, 1, v1
	s_wait_kmcnt 0x0
	s_cmp_lg_u64 s[4:5], 0
	s_cbranch_scc0 .LBB99_11
; %bb.6:
	s_load_b32 s6, s[0:1], 0x10
	s_mov_b32 s7, 0
                                        ; implicit-def: $vgpr1
	s_wait_kmcnt 0x0
	v_cmp_gt_i32_e32 vcc_lo, s6, v2
	s_mov_b32 s6, 0
	s_and_saveexec_b32 s8, vcc_lo
	s_delay_alu instid0(SALU_CYCLE_1)
	s_xor_b32 s8, exec_lo, s8
	s_cbranch_execz .LBB99_8
; %bb.7:
	global_load_b32 v1, v2, s[4:5] scale_offset
	s_mov_b32 s6, exec_lo
	s_wait_loadcnt 0x0
	v_subrev_nc_u32_e32 v1, s16, v1
.LBB99_8:
	s_or_b32 exec_lo, exec_lo, s8
	s_delay_alu instid0(SALU_CYCLE_1)
	s_and_b32 vcc_lo, exec_lo, s7
	s_cbranch_vccz .LBB99_12
.LBB99_9:
	v_cmp_gt_i32_e32 vcc_lo, s2, v2
	s_and_not1_b32 s2, s6, exec_lo
	s_and_b32 s4, vcc_lo, exec_lo
	s_delay_alu instid0(SALU_CYCLE_1) | instskip(NEXT) | instid1(SALU_CYCLE_1)
	s_or_b32 s6, s2, s4
	s_and_saveexec_b32 s2, s6
	s_cbranch_execnz .LBB99_13
.LBB99_10:
	s_sendmsg sendmsg(MSG_DEALLOC_VGPRS)
	s_endpgm
.LBB99_11:
                                        ; implicit-def: $vgpr1
	s_cbranch_execnz .LBB99_9
.LBB99_12:
	s_delay_alu instid0(VALU_DEP_1)
	v_mov_b32_e32 v2, v1
	s_and_saveexec_b32 s2, s6
	s_cbranch_execz .LBB99_10
.LBB99_13:
	s_load_b256 s[4:11], s[0:1], 0x20
	s_mov_b32 s17, 0
	v_dual_mov_b32 v1, 0 :: v_dual_bitop2_b32 v0, 63, v0 bitop3:0x40
	s_wait_kmcnt 0x0
	s_cmp_eq_u64 s[6:7], 0
	global_load_b64 v[12:13], v2, s[4:5] scale_offset
	s_cselect_b32 vcc_lo, -1, 0
	v_ashrrev_i32_e32 v3, 31, v2
	s_cmp_eq_u32 s3, 1
	s_delay_alu instid0(VALU_DEP_1) | instskip(NEXT) | instid1(VALU_DEP_1)
	v_lshlrev_b64_e32 v[4:5], 3, v[2:3]
	v_add_nc_u64_e32 v[6:7], s[4:5], v[4:5]
	v_add_nc_u64_e32 v[4:5], s[6:7], v[4:5]
	s_wait_xcnt 0x0
	s_load_b64 s[4:5], s[0:1], 0x40
	s_delay_alu instid0(VALU_DEP_2) | instskip(NEXT) | instid1(VALU_DEP_1)
	v_add_nc_u64_e32 v[6:7], 8, v[6:7]
	v_dual_cndmask_b32 v5, v5, v7 :: v_dual_cndmask_b32 v4, v4, v6
	global_load_b64 v[6:7], v[4:5], off
	s_wait_loadcnt 0x1
	s_wait_xcnt 0x0
	v_sub_nc_u64_e64 v[4:5], v[12:13], s[16:17]
	s_delay_alu instid0(VALU_DEP_1) | instskip(NEXT) | instid1(VALU_DEP_1)
	v_add_nc_u64_e32 v[4:5], v[4:5], v[0:1]
	v_lshlrev_b64_e32 v[8:9], 5, v[4:5]
	s_delay_alu instid0(VALU_DEP_1) | instskip(SKIP_2) | instid1(VALU_DEP_1)
	v_add_nc_u64_e32 v[8:9], s[10:11], v[8:9]
	s_wait_loadcnt 0x0
	v_sub_nc_u64_e64 v[6:7], v[6:7], s[16:17]
	v_cmp_lt_i64_e64 s2, v[4:5], v[6:7]
	s_cbranch_scc1 .LBB99_25
; %bb.14:
	v_dual_mov_b32 v19, v1 :: v_dual_mov_b32 v18, v1
	v_dual_mov_b32 v11, v1 :: v_dual_mov_b32 v10, v1
	s_and_saveexec_b32 s3, s2
	s_cbranch_execz .LBB99_24
; %bb.15:
	v_dual_mov_b32 v11, v1 :: v_dual_bitop2_b32 v10, 64, v0 bitop3:0x54
	v_sub_nc_u64_e32 v[14:15], s[16:17], v[0:1]
	v_not_b32_e32 v17, v13
	v_not_b32_e32 v16, v12
	v_mov_b32_e32 v18, 0
	v_sub_nc_u64_e64 v[10:11], v[10:11], s[16:17]
	v_mov_b64_e32 v[20:21], 0
	s_delay_alu instid0(VALU_DEP_4) | instskip(SKIP_1) | instid1(VALU_DEP_4)
	v_add_nc_u64_e32 v[14:15], v[14:15], v[16:17]
	v_mov_b64_e32 v[16:17], v[8:9]
	v_add_nc_u64_e32 v[10:11], v[10:11], v[12:13]
	s_delay_alu instid0(VALU_DEP_1) | instskip(NEXT) | instid1(VALU_DEP_1)
	v_max_i64 v[10:11], v[10:11], v[6:7]
	v_add_nc_u64_e32 v[22:23], v[14:15], v[10:11]
	v_mov_b32_e32 v15, v18
	v_mov_b64_e32 v[10:11], 0
	s_delay_alu instid0(VALU_DEP_3) | instskip(NEXT) | instid1(VALU_DEP_1)
	v_and_b32_e32 v14, 0xc0, v22
	v_cmp_ne_u64_e32 vcc_lo, 0xc0, v[14:15]
	v_mov_b64_e32 v[14:15], v[4:5]
	s_and_saveexec_b32 s6, vcc_lo
	s_cbranch_execz .LBB99_19
; %bb.16:
	v_dual_lshrrev_b32 v3, 6, v22 :: v_dual_mov_b32 v11, v18
	v_mov_b64_e32 v[16:17], v[8:9]
	v_mov_b64_e32 v[14:15], v[4:5]
	v_lshl_add_u64 v[20:21], v[4:5], 2, s[8:9]
	s_delay_alu instid0(VALU_DEP_4) | instskip(SKIP_1) | instid1(VALU_DEP_1)
	v_dual_add_nc_u32 v3, 1, v3 :: v_dual_mov_b32 v19, v18
	s_mov_b32 s7, 0
	v_and_b32_e32 v10, 3, v3
	s_delay_alu instid0(VALU_DEP_1)
	v_sub_nc_u64_e32 v[24:25], 0, v[10:11]
	v_mov_b32_e32 v10, v18
.LBB99_17:                              ; =>This Inner Loop Header: Depth=1
	global_load_b32 v3, v[20:21], off
	global_load_b128 v[26:29], v[16:17], off
	v_add_nc_u64_e32 v[24:25], 1, v[24:25]
	v_add_nc_u64_e32 v[14:15], 64, v[14:15]
	s_wait_xcnt 0x1
	v_add_nc_u64_e32 v[20:21], 0x100, v[20:21]
	s_delay_alu instid0(VALU_DEP_3)
	v_cmp_eq_u64_e32 vcc_lo, 0, v[24:25]
	s_or_b32 s7, vcc_lo, s7
	s_wait_loadcnt 0x1
	v_subrev_nc_u32_e32 v3, s16, v3
	s_wait_loadcnt 0x0
	v_dual_lshrrev_b32 v38, 16, v28 :: v_dual_lshrrev_b32 v40, 16, v26
	v_lshrrev_b32_e32 v43, 16, v29
	v_cvt_f32_f16_e32 v29, v29
	v_lshlrev_b32_e32 v30, 2, v3
	s_delay_alu instid0(VALU_DEP_4) | instskip(SKIP_1) | instid1(VALU_DEP_3)
	v_cvt_f32_f16_e32 v39, v38
	v_cvt_f32_f16_e32 v38, v40
	v_dual_lshrrev_b32 v3, 16, v27 :: v_dual_ashrrev_i32 v31, 31, v30
	s_wait_kmcnt 0x0
	s_delay_alu instid0(VALU_DEP_1)
	v_lshl_add_u64 v[34:35], v[30:31], 1, s[4:5]
	global_load_b128 v[30:33], v[16:17], off offset:16
	global_load_b64 v[36:37], v[34:35], off
	s_wait_xcnt 0x0
	v_cvt_f32_f16_e32 v35, v28
	v_cvt_f32_f16_e32 v34, v26
	;; [unrolled: 1-line block ×3, first 2 shown]
	v_add_nc_u64_e32 v[16:17], 0x800, v[16:17]
	s_wait_loadcnt 0x1
	v_cvt_f32_f16_e32 v27, v32
	v_cvt_f32_f16_e32 v26, v30
	v_dual_lshrrev_b32 v41, 16, v32 :: v_dual_lshrrev_b32 v42, 16, v30
	v_cvt_f32_f16_e32 v30, v3
	s_wait_loadcnt 0x0
	v_lshrrev_b32_e32 v3, 16, v36
	v_cvt_f32_f16_e32 v36, v36
	v_cvt_f32_f16_e32 v41, v41
	;; [unrolled: 1-line block ×3, first 2 shown]
	v_dual_lshrrev_b32 v44, 16, v31 :: v_dual_lshrrev_b32 v45, 16, v33
	v_cvt_f32_f16_e32 v42, v3
	v_pk_fma_f32 v[10:11], v[34:35], v[36:37], v[10:11] op_sel_hi:[1,0,1]
	v_pk_fma_f32 v[18:19], v[26:27], v[36:37], v[18:19] op_sel_hi:[1,0,1]
	v_cvt_f32_f16_e32 v33, v33
	v_cvt_f32_f16_e32 v32, v31
	v_lshrrev_b32_e32 v3, 16, v37
	v_cvt_f32_f16_e32 v26, v37
	v_pk_fma_f32 v[10:11], v[38:39], v[42:43], v[10:11] op_sel_hi:[1,0,1]
	v_pk_fma_f32 v[18:19], v[40:41], v[42:43], v[18:19] op_sel_hi:[1,0,1]
	v_cvt_f32_f16_e32 v31, v43
	v_cvt_f32_f16_e32 v34, v44
	;; [unrolled: 1-line block ×4, first 2 shown]
	v_pk_fma_f32 v[10:11], v[28:29], v[26:27], v[10:11] op_sel_hi:[1,0,1]
	v_pk_fma_f32 v[18:19], v[32:33], v[26:27], v[18:19] op_sel_hi:[1,0,1]
	s_delay_alu instid0(VALU_DEP_2) | instskip(NEXT) | instid1(VALU_DEP_2)
	v_pk_fma_f32 v[10:11], v[30:31], v[36:37], v[10:11] op_sel_hi:[1,0,1]
	v_pk_fma_f32 v[18:19], v[34:35], v[36:37], v[18:19] op_sel_hi:[1,0,1]
	s_and_not1_b32 exec_lo, exec_lo, s7
	s_cbranch_execnz .LBB99_17
; %bb.18:
	s_or_b32 exec_lo, exec_lo, s7
	s_delay_alu instid0(VALU_DEP_1)
	v_mov_b64_e32 v[20:21], v[18:19]
.LBB99_19:
	s_or_b32 exec_lo, exec_lo, s6
	s_delay_alu instid0(SALU_CYCLE_1)
	s_mov_b32 s6, exec_lo
	v_cmpx_lt_u64_e32 0xbf, v[22:23]
	s_cbranch_execz .LBB99_23
; %bb.20:
	v_lshl_add_u64 v[18:19], v[14:15], 2, s[8:9]
	s_mov_b32 s7, 0
	s_delay_alu instid0(VALU_DEP_1)
	v_add_nc_u64_e32 v[18:19], 0x200, v[18:19]
.LBB99_21:                              ; =>This Inner Loop Header: Depth=1
	global_load_b32 v3, v[18:19], off offset:-512
	s_clause 0x3
	global_load_b128 v[22:25], v[16:17], off
	global_load_b128 v[26:29], v[16:17], off offset:16
	global_load_b128 v[30:33], v[16:17], off offset:2048
	;; [unrolled: 1-line block ×3, first 2 shown]
	s_clause 0x2
	global_load_b32 v52, v[18:19], off offset:-256
	global_load_b32 v53, v[18:19], off
	global_load_b32 v54, v[18:19], off offset:256
	s_clause 0x1
	global_load_b128 v[38:41], v[16:17], off offset:2064
	global_load_b128 v[42:45], v[16:17], off offset:4112
	v_add_nc_u64_e32 v[14:15], 0x100, v[14:15]
	s_wait_xcnt 0x2
	v_add_nc_u64_e32 v[18:19], 0x400, v[18:19]
	s_delay_alu instid0(VALU_DEP_2)
	v_cmp_ge_i64_e32 vcc_lo, v[14:15], v[6:7]
	s_or_b32 s7, vcc_lo, s7
	s_wait_loadcnt 0x9
	v_subrev_nc_u32_e32 v3, s16, v3
	s_wait_loadcnt 0x8
	v_dual_lshrrev_b32 v62, 16, v23 :: v_dual_lshrrev_b32 v63, 16, v25
	v_cvt_f32_f16_e32 v47, v24
	v_dual_lshrrev_b32 v64, 16, v24 :: v_dual_lshrrev_b32 v65, 16, v22
	v_cvt_f32_f16_e32 v24, v23
	s_wait_loadcnt 0x7
	v_dual_lshrrev_b32 v66, 16, v27 :: v_dual_lshrrev_b32 v67, 16, v29
	v_cvt_f32_f16_e32 v23, v28
	v_dual_lshrrev_b32 v68, 16, v28 :: v_dual_lshrrev_b32 v69, 16, v26
	v_cvt_f32_f16_e32 v28, v27
	s_wait_loadcnt 0x6
	v_cvt_f32_f16_e32 v51, v33
	v_dual_lshrrev_b32 v72, 16, v31 :: v_dual_lshrrev_b32 v73, 16, v33
	s_wait_loadcnt 0x5
	v_cvt_f32_f16_e32 v33, v37
	v_dual_lshrrev_b32 v76, 16, v35 :: v_dual_lshrrev_b32 v77, 16, v37
	s_wait_loadcnt 0x4
	v_subrev_nc_u32_e32 v27, s16, v52
	s_wait_loadcnt 0x2
	v_subrev_nc_u32_e32 v37, s16, v54
	v_cvt_f32_f16_e32 v46, v22
	v_cvt_f32_f16_e32 v22, v26
	;; [unrolled: 1-line block ×3, first 2 shown]
	v_dual_lshrrev_b32 v70, 16, v30 :: v_dual_lshrrev_b32 v71, 16, v32
	v_cvt_f32_f16_e32 v32, v35
	v_subrev_nc_u32_e32 v35, s16, v53
	v_dual_lshlrev_b32 v26, 2, v3 :: v_dual_lshlrev_b32 v52, 2, v37
	v_cvt_f32_f16_e32 v48, v30
	v_cvt_f32_f16_e32 v30, v34
	v_dual_lshrrev_b32 v74, 16, v34 :: v_dual_lshrrev_b32 v75, 16, v36
	s_delay_alu instid0(VALU_DEP_4) | instskip(SKIP_2) | instid1(VALU_DEP_3)
	v_dual_lshlrev_b32 v34, 2, v27 :: v_dual_ashrrev_i32 v27, 31, v26
	v_cvt_f32_f16_e32 v50, v31
	v_cvt_f32_f16_e32 v31, v36
	v_dual_lshlrev_b32 v36, 2, v35 :: v_dual_ashrrev_i32 v35, 31, v34
	v_ashrrev_i32_e32 v53, 31, v52
	s_wait_kmcnt 0x0
	v_lshl_add_u64 v[26:27], v[26:27], 1, s[4:5]
	v_cvt_f32_f16_e32 v25, v25
	v_ashrrev_i32_e32 v37, 31, v36
	v_lshl_add_u64 v[34:35], v[34:35], 1, s[4:5]
	v_lshl_add_u64 v[52:53], v[52:53], 1, s[4:5]
	v_cvt_f32_f16_e32 v29, v29
	s_delay_alu instid0(VALU_DEP_4)
	v_lshl_add_u64 v[36:37], v[36:37], 1, s[4:5]
	s_clause 0x3
	global_load_b64 v[54:55], v[26:27], off
	global_load_b64 v[56:57], v[34:35], off
	;; [unrolled: 1-line block ×4, first 2 shown]
	s_wait_xcnt 0x2
	v_cvt_f32_f16_e32 v35, v64
	v_cvt_f32_f16_e32 v34, v65
	s_wait_xcnt 0x1
	v_cvt_f32_f16_e32 v37, v68
	v_cvt_f32_f16_e32 v36, v69
	s_wait_loadcnt 0x4
	v_dual_lshrrev_b32 v65, 16, v43 :: v_dual_lshrrev_b32 v64, 16, v44
	s_wait_xcnt 0x0
	v_lshrrev_b32_e32 v52, 16, v40
	s_wait_loadcnt 0x3
	v_cvt_f32_f16_e32 v26, v54
	v_lshrrev_b32_e32 v3, 16, v54
	s_delay_alu instid0(VALU_DEP_2) | instskip(SKIP_3) | instid1(VALU_DEP_1)
	v_pk_fma_f32 v[10:11], v[46:47], v[26:27], v[10:11] op_sel_hi:[1,0,1]
	v_pk_fma_f32 v[26:27], v[22:23], v[26:27], v[20:21] op_sel_hi:[1,0,1]
	global_load_b128 v[20:23], v[16:17], off offset:6144
	v_cvt_f32_f16_e32 v46, v3
	v_pk_fma_f32 v[10:11], v[34:35], v[46:47], v[10:11] op_sel_hi:[1,0,1]
	v_pk_fma_f32 v[34:35], v[36:37], v[46:47], v[26:27] op_sel_hi:[1,0,1]
	v_cvt_f32_f16_e32 v36, v55
	v_lshrrev_b32_e32 v46, 16, v55
	v_lshrrev_b32_e32 v55, 16, v39
	s_delay_alu instid0(VALU_DEP_3)
	v_pk_fma_f32 v[10:11], v[24:25], v[36:37], v[10:11] op_sel_hi:[1,0,1]
	global_load_b128 v[24:27], v[16:17], off offset:6160
	v_pk_fma_f32 v[28:29], v[28:29], v[36:37], v[34:35] op_sel_hi:[1,0,1]
	v_cvt_f32_f16_e32 v46, v46
	s_wait_xcnt 0x0
	v_add_nc_u64_e32 v[16:17], 0x2000, v[16:17]
	s_wait_loadcnt 0x1
	v_lshrrev_b32_e32 v54, 16, v20
	v_cvt_f32_f16_e32 v34, v21
	v_cvt_f32_f16_e32 v37, v22
	;; [unrolled: 1-line block ×4, first 2 shown]
	v_dual_lshrrev_b32 v3, 16, v21 :: v_dual_lshrrev_b32 v47, 16, v23
	v_lshrrev_b32_e32 v53, 16, v22
	v_cvt_f32_f16_e32 v20, v62
	v_cvt_f32_f16_e32 v21, v63
	;; [unrolled: 1-line block ×4, first 2 shown]
	v_dual_lshrrev_b32 v63, 16, v42 :: v_dual_lshrrev_b32 v62, 16, v41
	s_delay_alu instid0(VALU_DEP_4)
	v_pk_fma_f32 v[10:11], v[20:21], v[46:47], v[10:11] op_sel_hi:[1,0,1]
	v_cvt_f32_f16_e32 v21, v40
	v_cvt_f32_f16_e32 v20, v38
	v_pk_fma_f32 v[22:23], v[22:23], v[46:47], v[28:29] op_sel_hi:[1,0,1]
	v_lshrrev_b32_e32 v46, 16, v38
	v_cvt_f32_f16_e32 v38, v56
	v_cvt_f32_f16_e32 v40, v42
	s_wait_loadcnt 0x0
	v_dual_lshrrev_b32 v42, 16, v56 :: v_dual_lshrrev_b32 v56, 16, v25
	v_cvt_f32_f16_e32 v28, v39
	v_pk_fma_f32 v[10:11], v[48:49], v[38:39], v[10:11] op_sel_hi:[1,0,1]
	v_pk_fma_f32 v[20:21], v[20:21], v[38:39], v[22:23] op_sel_hi:[1,0,1]
	v_cvt_f32_f16_e32 v39, v71
	v_cvt_f32_f16_e32 v38, v70
	;; [unrolled: 1-line block ×4, first 2 shown]
	v_lshrrev_b32_e32 v69, 16, v24
	v_cvt_f32_f16_e32 v22, v43
	v_dual_lshrrev_b32 v67, 16, v27 :: v_dual_lshrrev_b32 v68, 16, v26
	v_pk_fma_f32 v[10:11], v[38:39], v[42:43], v[10:11] op_sel_hi:[1,0,1]
	v_cvt_f32_f16_e32 v39, v52
	v_cvt_f32_f16_e32 v38, v46
	v_lshrrev_b32_e32 v52, 16, v57
	v_cvt_f32_f16_e32 v46, v57
	v_cvt_f32_f16_e32 v41, v44
	;; [unrolled: 1-line block ×3, first 2 shown]
	v_pk_fma_f32 v[20:21], v[38:39], v[42:43], v[20:21] op_sel_hi:[1,0,1]
	v_cvt_f32_f16_e32 v38, v25
	v_cvt_f32_f16_e32 v43, v26
	;; [unrolled: 1-line block ×9, first 2 shown]
	v_pk_fma_f32 v[10:11], v[50:51], v[46:47], v[10:11] op_sel_hi:[1,0,1]
	v_pk_fma_f32 v[20:21], v[28:29], v[46:47], v[20:21] op_sel_hi:[1,0,1]
	v_cvt_f32_f16_e32 v29, v53
	v_lshrrev_b32_e32 v46, 16, v58
	v_cvt_f32_f16_e32 v28, v58
	v_pk_fma_f32 v[10:11], v[24:25], v[52:53], v[10:11] op_sel_hi:[1,0,1]
	v_pk_fma_f32 v[20:21], v[26:27], v[52:53], v[20:21] op_sel_hi:[1,0,1]
	v_lshrrev_b32_e32 v66, 16, v45
	v_cvt_f32_f16_e32 v45, v75
	v_cvt_f32_f16_e32 v44, v74
	;; [unrolled: 1-line block ×4, first 2 shown]
	v_pk_fma_f32 v[10:11], v[30:31], v[28:29], v[10:11] op_sel_hi:[1,0,1]
	v_pk_fma_f32 v[20:21], v[40:41], v[28:29], v[20:21] op_sel_hi:[1,0,1]
	v_lshrrev_b32_e32 v27, 16, v59
	v_cvt_f32_f16_e32 v26, v46
	v_cvt_f32_f16_e32 v30, v59
	;; [unrolled: 1-line block ×5, first 2 shown]
	v_pk_fma_f32 v[10:11], v[44:45], v[26:27], v[10:11] op_sel_hi:[1,0,1]
	v_pk_fma_f32 v[20:21], v[24:25], v[26:27], v[20:21] op_sel_hi:[1,0,1]
	v_cvt_f32_f16_e32 v25, v66
	v_cvt_f32_f16_e32 v24, v65
	;; [unrolled: 1-line block ×3, first 2 shown]
	v_pk_fma_f32 v[10:11], v[32:33], v[30:31], v[10:11] op_sel_hi:[1,0,1]
	v_pk_fma_f32 v[20:21], v[22:23], v[30:31], v[20:21] op_sel_hi:[1,0,1]
	v_lshrrev_b32_e32 v27, 16, v60
	v_cvt_f32_f16_e32 v23, v47
	v_cvt_f32_f16_e32 v22, v60
	;; [unrolled: 1-line block ×3, first 2 shown]
	s_delay_alu instid0(VALU_DEP_4) | instskip(SKIP_3) | instid1(VALU_DEP_4)
	v_pk_fma_f32 v[10:11], v[48:49], v[26:27], v[10:11] op_sel_hi:[1,0,1]
	v_pk_fma_f32 v[20:21], v[24:25], v[26:27], v[20:21] op_sel_hi:[1,0,1]
	v_cvt_f32_f16_e32 v25, v68
	v_cvt_f32_f16_e32 v24, v69
	v_pk_fma_f32 v[10:11], v[36:37], v[22:23], v[10:11] op_sel_hi:[1,0,1]
	s_delay_alu instid0(VALU_DEP_4) | instskip(SKIP_3) | instid1(VALU_DEP_1)
	v_pk_fma_f32 v[20:21], v[42:43], v[22:23], v[20:21] op_sel_hi:[1,0,1]
	v_cvt_f32_f16_e32 v22, v3
	v_lshrrev_b32_e32 v3, 16, v61
	v_cvt_f32_f16_e32 v26, v27
	v_pk_fma_f32 v[10:11], v[28:29], v[26:27], v[10:11] op_sel_hi:[1,0,1]
	v_pk_fma_f32 v[20:21], v[24:25], v[26:27], v[20:21] op_sel_hi:[1,0,1]
	v_cvt_f32_f16_e32 v25, v67
	v_cvt_f32_f16_e32 v24, v56
	;; [unrolled: 1-line block ×3, first 2 shown]
	v_pk_fma_f32 v[10:11], v[34:35], v[30:31], v[10:11] op_sel_hi:[1,0,1]
	v_pk_fma_f32 v[20:21], v[38:39], v[30:31], v[20:21] op_sel_hi:[1,0,1]
	s_delay_alu instid0(VALU_DEP_2) | instskip(NEXT) | instid1(VALU_DEP_2)
	v_pk_fma_f32 v[10:11], v[22:23], v[26:27], v[10:11] op_sel_hi:[1,0,1]
	v_pk_fma_f32 v[20:21], v[24:25], v[26:27], v[20:21] op_sel_hi:[1,0,1]
	s_and_not1_b32 exec_lo, exec_lo, s7
	s_cbranch_execnz .LBB99_21
; %bb.22:
	s_or_b32 exec_lo, exec_lo, s7
	s_delay_alu instid0(VALU_DEP_1)
	v_dual_mov_b32 v19, v21 :: v_dual_mov_b32 v18, v20
.LBB99_23:
	s_or_b32 exec_lo, exec_lo, s6
.LBB99_24:
	s_delay_alu instid0(SALU_CYCLE_1)
	s_or_b32 exec_lo, exec_lo, s3
	s_cbranch_execz .LBB99_26
	s_branch .LBB99_37
.LBB99_25:
                                        ; implicit-def: $vgpr19
                                        ; implicit-def: $vgpr11
.LBB99_26:
	v_dual_mov_b32 v19, 0 :: v_dual_mov_b32 v18, 0
	v_dual_mov_b32 v11, 0 :: v_dual_mov_b32 v10, 0
	s_and_saveexec_b32 s3, s2
	s_cbranch_execz .LBB99_36
; %bb.27:
	v_dual_mov_b32 v11, v1 :: v_dual_bitop2_b32 v10, 64, v0 bitop3:0x54
	v_sub_nc_u64_e32 v[14:15], s[16:17], v[0:1]
	v_mov_b32_e32 v18, 0
	s_delay_alu instid0(VALU_DEP_3) | instskip(NEXT) | instid1(VALU_DEP_1)
	v_sub_nc_u64_e64 v[10:11], v[10:11], s[16:17]
	v_add_nc_u64_e32 v[10:11], v[10:11], v[12:13]
	v_not_b32_e32 v13, v13
	v_not_b32_e32 v12, v12
	s_delay_alu instid0(VALU_DEP_1) | instskip(NEXT) | instid1(VALU_DEP_4)
	v_add_nc_u64_e32 v[12:13], v[14:15], v[12:13]
	v_max_i64 v[10:11], v[10:11], v[6:7]
	v_mov_b32_e32 v15, v18
	s_delay_alu instid0(VALU_DEP_2) | instskip(SKIP_1) | instid1(VALU_DEP_2)
	v_add_nc_u64_e32 v[12:13], v[12:13], v[10:11]
	v_mov_b64_e32 v[10:11], 0
	v_and_b32_e32 v14, 0xc0, v12
	s_delay_alu instid0(VALU_DEP_1)
	v_cmp_ne_u64_e32 vcc_lo, 0xc0, v[14:15]
	v_mov_b64_e32 v[14:15], 0
	s_and_saveexec_b32 s2, vcc_lo
	s_cbranch_execz .LBB99_31
; %bb.28:
	v_dual_lshrrev_b32 v1, 6, v12 :: v_dual_mov_b32 v11, v18
	v_lshl_add_u64 v[14:15], v[4:5], 2, s[8:9]
	s_mov_b32 s6, 0
	s_delay_alu instid0(VALU_DEP_2) | instskip(NEXT) | instid1(VALU_DEP_1)
	v_dual_mov_b32 v19, v18 :: v_dual_add_nc_u32 v1, 1, v1
	v_and_b32_e32 v10, 3, v1
	s_delay_alu instid0(VALU_DEP_1)
	v_sub_nc_u64_e32 v[16:17], 0, v[10:11]
	v_mov_b32_e32 v10, v18
.LBB99_29:                              ; =>This Inner Loop Header: Depth=1
	global_load_b32 v1, v[14:15], off
	global_load_b128 v[20:23], v[8:9], off
	v_add_nc_u64_e32 v[16:17], 1, v[16:17]
	v_add_nc_u64_e32 v[4:5], 64, v[4:5]
	s_wait_xcnt 0x1
	v_add_nc_u64_e32 v[14:15], 0x100, v[14:15]
	s_delay_alu instid0(VALU_DEP_3)
	v_cmp_eq_u64_e32 vcc_lo, 0, v[16:17]
	s_or_b32 s6, vcc_lo, s6
	s_wait_loadcnt 0x1
	v_subrev_nc_u32_e32 v1, s16, v1
	s_wait_loadcnt 0x0
	v_cvt_f32_f16_e32 v32, v23
	v_lshrrev_b32_e32 v3, 16, v22
	v_cvt_f32_f16_e32 v22, v22
	v_dual_lshlrev_b32 v24, 2, v1 :: v_dual_lshrrev_b32 v1, 16, v20
	v_cvt_f32_f16_e32 v20, v20
	s_delay_alu instid0(VALU_DEP_2) | instskip(SKIP_1) | instid1(VALU_DEP_1)
	v_ashrrev_i32_e32 v25, 31, v24
	s_wait_kmcnt 0x0
	v_lshl_add_u64 v[28:29], v[24:25], 1, s[4:5]
	global_load_b64 v[30:31], v[28:29], off
	global_load_b128 v[24:27], v[8:9], off offset:16
	s_wait_xcnt 0x1
	v_cvt_f32_f16_e32 v28, v21
	v_lshrrev_b32_e32 v35, 16, v23
	v_cvt_f32_f16_e32 v23, v3
	s_wait_xcnt 0x0
	v_add_nc_u64_e32 v[8:9], 0x800, v[8:9]
	v_lshrrev_b32_e32 v29, 16, v21
	v_cvt_f32_f16_e32 v21, v1
	s_delay_alu instid0(VALU_DEP_2)
	v_cvt_f32_f16_e32 v29, v29
	s_wait_loadcnt 0x0
	v_dual_lshrrev_b32 v1, 16, v30 :: v_dual_lshrrev_b32 v33, 16, v24
	v_cvt_f32_f16_e32 v30, v30
	v_lshrrev_b32_e32 v37, 16, v25
	v_cvt_f32_f16_e32 v34, v25
	v_dual_lshrrev_b32 v39, 16, v26 :: v_dual_lshrrev_b32 v40, 16, v27
	v_cvt_f32_f16_e32 v25, v33
	v_cvt_f32_f16_e32 v33, v35
	;; [unrolled: 1-line block ×3, first 2 shown]
	v_pk_fma_f32 v[10:11], v[20:21], v[30:31], v[10:11] op_sel_hi:[1,0,1]
	v_pk_fma_f32 v[18:19], v[28:29], v[30:31], v[18:19] op_sel_hi:[1,0,1]
	v_cvt_f32_f16_e32 v24, v24
	v_cvt_f32_f16_e32 v35, v37
	v_lshrrev_b32_e32 v1, 16, v31
	v_cvt_f32_f16_e32 v20, v31
	v_pk_fma_f32 v[10:11], v[22:23], v[38:39], v[10:11] op_sel_hi:[1,0,1]
	v_pk_fma_f32 v[18:19], v[32:33], v[38:39], v[18:19] op_sel_hi:[1,0,1]
	v_cvt_f32_f16_e32 v26, v26
	v_cvt_f32_f16_e32 v36, v27
	;; [unrolled: 1-line block ×5, first 2 shown]
	v_pk_fma_f32 v[10:11], v[24:25], v[20:21], v[10:11] op_sel_hi:[1,0,1]
	v_pk_fma_f32 v[18:19], v[34:35], v[20:21], v[18:19] op_sel_hi:[1,0,1]
	s_delay_alu instid0(VALU_DEP_2) | instskip(NEXT) | instid1(VALU_DEP_2)
	v_pk_fma_f32 v[10:11], v[26:27], v[22:23], v[10:11] op_sel_hi:[1,0,1]
	v_pk_fma_f32 v[18:19], v[36:37], v[22:23], v[18:19] op_sel_hi:[1,0,1]
	s_and_not1_b32 exec_lo, exec_lo, s6
	s_cbranch_execnz .LBB99_29
; %bb.30:
	s_or_b32 exec_lo, exec_lo, s6
	s_delay_alu instid0(VALU_DEP_1)
	v_mov_b64_e32 v[14:15], v[18:19]
.LBB99_31:
	s_or_b32 exec_lo, exec_lo, s2
	s_delay_alu instid0(SALU_CYCLE_1)
	s_mov_b32 s2, exec_lo
	v_cmpx_lt_u64_e32 0xbf, v[12:13]
	s_cbranch_execz .LBB99_35
; %bb.32:
	v_lshl_add_u64 v[12:13], v[4:5], 2, s[8:9]
	s_mov_b32 s6, 0
	s_delay_alu instid0(VALU_DEP_1)
	v_add_nc_u64_e32 v[12:13], 0x200, v[12:13]
.LBB99_33:                              ; =>This Inner Loop Header: Depth=1
	global_load_b32 v1, v[12:13], off offset:-512
	s_clause 0x1
	global_load_b128 v[16:19], v[8:9], off
	global_load_b128 v[20:23], v[8:9], off offset:16
	s_clause 0x2
	global_load_b32 v3, v[12:13], off offset:-256
	global_load_b32 v41, v[12:13], off
	global_load_b32 v43, v[12:13], off offset:256
	s_clause 0x3
	global_load_b128 v[24:27], v[8:9], off offset:2048
	global_load_b128 v[28:31], v[8:9], off offset:2064
	;; [unrolled: 1-line block ×4, first 2 shown]
	v_add_nc_u64_e32 v[4:5], 0x100, v[4:5]
	s_wait_xcnt 0x4
	v_add_nc_u64_e32 v[12:13], 0x400, v[12:13]
	s_delay_alu instid0(VALU_DEP_2)
	v_cmp_ge_i64_e32 vcc_lo, v[4:5], v[6:7]
	s_or_b32 s6, vcc_lo, s6
	s_wait_loadcnt 0x9
	v_subrev_nc_u32_e32 v1, s16, v1
	s_wait_loadcnt 0x8
	v_dual_lshrrev_b32 v45, 16, v16 :: v_dual_lshrrev_b32 v47, 16, v18
	s_wait_loadcnt 0x6
	v_subrev_nc_u32_e32 v3, s16, v3
	v_dual_lshrrev_b32 v52, 16, v19 :: v_dual_lshrrev_b32 v64, 16, v21
	v_cvt_f32_f16_e32 v44, v19
	s_wait_loadcnt 0x5
	v_subrev_nc_u32_e32 v19, s16, v41
	v_dual_lshrrev_b32 v65, 16, v22 :: v_dual_lshrrev_b32 v66, 16, v23
	v_cvt_f32_f16_e32 v50, v23
	s_wait_loadcnt 0x4
	v_subrev_nc_u32_e32 v23, s16, v43
	v_cvt_f32_f16_e32 v40, v18
	v_lshlrev_b32_e32 v18, 2, v1
	v_cvt_f32_f16_e32 v48, v22
	v_dual_lshlrev_b32 v22, 2, v3 :: v_dual_lshrrev_b32 v49, 16, v20
	v_lshrrev_b32_e32 v51, 16, v17
	v_cvt_f32_f16_e32 v42, v20
	v_cvt_f32_f16_e32 v20, v17
	;; [unrolled: 1-line block ×4, first 2 shown]
	v_dual_lshlrev_b32 v52, 2, v19 :: v_dual_ashrrev_i32 v19, 31, v18
	v_dual_lshlrev_b32 v54, 2, v23 :: v_dual_ashrrev_i32 v23, 31, v22
	v_cvt_f32_f16_e32 v16, v16
	s_delay_alu instid0(VALU_DEP_3)
	v_ashrrev_i32_e32 v53, 31, v52
	s_wait_kmcnt 0x0
	v_lshl_add_u64 v[18:19], v[18:19], 1, s[4:5]
	v_ashrrev_i32_e32 v55, 31, v54
	v_lshl_add_u64 v[22:23], v[22:23], 1, s[4:5]
	v_cvt_f32_f16_e32 v46, v21
	v_lshl_add_u64 v[52:53], v[52:53], 1, s[4:5]
	v_cvt_f32_f16_e32 v21, v51
	v_lshl_add_u64 v[54:55], v[54:55], 1, s[4:5]
	s_clause 0x3
	global_load_b64 v[56:57], v[18:19], off
	global_load_b64 v[58:59], v[22:23], off
	;; [unrolled: 1-line block ×4, first 2 shown]
	v_cvt_f32_f16_e32 v41, v47
	v_cvt_f32_f16_e32 v43, v49
	v_cvt_f32_f16_e32 v47, v64
	v_cvt_f32_f16_e32 v49, v65
	v_cvt_f32_f16_e32 v51, v66
	s_wait_loadcnt 0x7
	v_lshrrev_b32_e32 v3, 16, v26
	v_cvt_f32_f16_e32 v26, v26
	s_wait_loadcnt 0x3
	s_wait_xcnt 0x2
	v_cvt_f32_f16_e32 v22, v56
	v_lshrrev_b32_e32 v1, 16, v56
	s_delay_alu instid0(VALU_DEP_2)
	v_pk_fma_f32 v[10:11], v[16:17], v[22:23], v[10:11] op_sel_hi:[1,0,1]
	global_load_b128 v[16:19], v[8:9], off offset:6144
	v_pk_fma_f32 v[14:15], v[20:21], v[22:23], v[14:15] op_sel_hi:[1,0,1]
	global_load_b128 v[20:23], v[8:9], off offset:6160
	s_wait_xcnt 0x3
	v_cvt_f32_f16_e32 v52, v1
	v_lshrrev_b32_e32 v1, 16, v24
	v_cvt_f32_f16_e32 v24, v24
	s_wait_xcnt 0x0
	v_add_nc_u64_e32 v[8:9], 0x2000, v[8:9]
	v_pk_fma_f32 v[10:11], v[40:41], v[52:53], v[10:11] op_sel_hi:[1,0,1]
	v_pk_fma_f32 v[14:15], v[44:45], v[52:53], v[14:15] op_sel_hi:[1,0,1]
	v_cvt_f32_f16_e32 v40, v57
	v_lshrrev_b32_e32 v45, 16, v28
	s_wait_loadcnt 0x4
	v_cvt_f32_f16_e32 v44, v58
	v_cvt_f32_f16_e32 v28, v28
	v_lshrrev_b32_e32 v52, 16, v35
	v_pk_fma_f32 v[10:11], v[42:43], v[40:41], v[10:11] op_sel_hi:[1,0,1]
	v_pk_fma_f32 v[14:15], v[46:47], v[40:41], v[14:15] op_sel_hi:[1,0,1]
	v_dual_lshrrev_b32 v40, 16, v57 :: v_dual_lshrrev_b32 v47, 16, v30
	v_lshrrev_b32_e32 v43, 16, v27
	v_cvt_f32_f16_e32 v42, v27
	v_cvt_f32_f16_e32 v27, v3
	s_delay_alu instid0(VALU_DEP_4) | instskip(SKIP_2) | instid1(VALU_DEP_3)
	v_cvt_f32_f16_e32 v40, v40
	v_dual_lshrrev_b32 v3, 16, v58 :: v_dual_lshrrev_b32 v53, 16, v39
	v_cvt_f32_f16_e32 v30, v30
	v_pk_fma_f32 v[10:11], v[48:49], v[40:41], v[10:11] op_sel_hi:[1,0,1]
	v_dual_lshrrev_b32 v49, 16, v32 :: v_dual_lshrrev_b32 v41, 16, v25
	v_cvt_f32_f16_e32 v32, v32
	s_delay_alu instid0(VALU_DEP_2)
	v_pk_fma_f32 v[14:15], v[50:51], v[40:41], v[14:15] op_sel_hi:[1,0,1]
	v_cvt_f32_f16_e32 v40, v25
	v_cvt_f32_f16_e32 v25, v1
	;; [unrolled: 1-line block ×3, first 2 shown]
	v_dual_lshrrev_b32 v51, 16, v36 :: v_dual_lshrrev_b32 v50, 16, v34
	v_cvt_f32_f16_e32 v43, v43
	s_delay_alu instid0(VALU_DEP_4) | instskip(NEXT) | instid1(VALU_DEP_4)
	v_pk_fma_f32 v[10:11], v[24:25], v[44:45], v[10:11] op_sel_hi:[1,0,1]
	v_pk_fma_f32 v[14:15], v[40:41], v[44:45], v[14:15] op_sel_hi:[1,0,1]
	v_cvt_f32_f16_e32 v44, v3
	v_cvt_f32_f16_e32 v24, v34
	v_dual_lshrrev_b32 v1, 16, v29 :: v_dual_lshrrev_b32 v25, 16, v31
	v_cvt_f32_f16_e32 v34, v29
	s_delay_alu instid0(VALU_DEP_4)
	v_pk_fma_f32 v[10:11], v[26:27], v[44:45], v[10:11] op_sel_hi:[1,0,1]
	v_pk_fma_f32 v[14:15], v[42:43], v[44:45], v[14:15] op_sel_hi:[1,0,1]
	v_cvt_f32_f16_e32 v29, v45
	v_cvt_f32_f16_e32 v44, v59
	;; [unrolled: 1-line block ×5, first 2 shown]
	v_dual_lshrrev_b32 v3, 16, v38 :: v_dual_lshrrev_b32 v43, 16, v33
	v_pk_fma_f32 v[10:11], v[28:29], v[44:45], v[10:11] op_sel_hi:[1,0,1]
	v_cvt_f32_f16_e32 v31, v47
	v_cvt_f32_f16_e32 v41, v25
	;; [unrolled: 1-line block ×6, first 2 shown]
	s_wait_loadcnt 0x3
	v_lshrrev_b32_e32 v3, 16, v60
	v_cvt_f32_f16_e32 v25, v50
	v_cvt_f32_f16_e32 v27, v51
	;; [unrolled: 1-line block ×4, first 2 shown]
	s_wait_loadcnt 0x1
	v_dual_lshrrev_b32 v45, 16, v16 :: v_dual_lshrrev_b32 v54, 16, v17
	v_dual_lshrrev_b32 v1, 16, v18 :: v_dual_lshrrev_b32 v55, 16, v19
	v_cvt_f32_f16_e32 v46, v19
	s_delay_alu instid0(VALU_DEP_3)
	v_pk_fma_f32 v[14:15], v[34:35], v[44:45], v[14:15] op_sel_hi:[1,0,1]
	v_cvt_f32_f16_e32 v44, v17
	v_dual_lshrrev_b32 v17, 16, v59 :: v_dual_lshrrev_b32 v35, 16, v37
	v_cvt_f32_f16_e32 v34, v37
	v_cvt_f32_f16_e32 v37, v43
	;; [unrolled: 1-line block ×3, first 2 shown]
	s_delay_alu instid0(VALU_DEP_4)
	v_cvt_f32_f16_e32 v48, v17
	v_cvt_f32_f16_e32 v19, v1
	v_lshrrev_b32_e32 v1, 16, v62
	v_cvt_f32_f16_e32 v35, v35
	v_cvt_f32_f16_e32 v39, v53
	v_pk_fma_f32 v[10:11], v[30:31], v[48:49], v[10:11] op_sel_hi:[1,0,1]
	v_pk_fma_f32 v[14:15], v[40:41], v[48:49], v[14:15] op_sel_hi:[1,0,1]
	v_cvt_f32_f16_e32 v48, v60
	v_cvt_f32_f16_e32 v16, v16
	;; [unrolled: 1-line block ×5, first 2 shown]
	v_pk_fma_f32 v[10:11], v[32:33], v[48:49], v[10:11] op_sel_hi:[1,0,1]
	v_cvt_f32_f16_e32 v32, v3
	v_pk_fma_f32 v[14:15], v[36:37], v[48:49], v[14:15] op_sel_hi:[1,0,1]
	v_lshrrev_b32_e32 v3, 16, v61
	v_cvt_f32_f16_e32 v36, v61
	s_wait_loadcnt 0x0
	v_lshrrev_b32_e32 v31, 16, v20
	v_pk_fma_f32 v[10:11], v[24:25], v[32:33], v[10:11] op_sel_hi:[1,0,1]
	v_pk_fma_f32 v[14:15], v[42:43], v[32:33], v[14:15] op_sel_hi:[1,0,1]
	v_cvt_f32_f16_e32 v24, v3
	v_lshrrev_b32_e32 v41, 16, v21
	v_cvt_f32_f16_e32 v47, v55
	v_pk_fma_f32 v[10:11], v[26:27], v[36:37], v[10:11] op_sel_hi:[1,0,1]
	v_pk_fma_f32 v[14:15], v[34:35], v[36:37], v[14:15] op_sel_hi:[1,0,1]
	v_cvt_f32_f16_e32 v26, v62
	v_dual_lshrrev_b32 v56, 16, v22 :: v_dual_lshrrev_b32 v57, 16, v23
	s_delay_alu instid0(VALU_DEP_4) | instskip(NEXT) | instid1(VALU_DEP_4)
	v_pk_fma_f32 v[10:11], v[28:29], v[24:25], v[10:11] op_sel_hi:[1,0,1]
	v_pk_fma_f32 v[14:15], v[38:39], v[24:25], v[14:15] op_sel_hi:[1,0,1]
	v_cvt_f32_f16_e32 v24, v1
	v_cvt_f32_f16_e32 v20, v20
	;; [unrolled: 1-line block ×3, first 2 shown]
	v_pk_fma_f32 v[10:11], v[16:17], v[26:27], v[10:11] op_sel_hi:[1,0,1]
	v_pk_fma_f32 v[14:15], v[44:45], v[26:27], v[14:15] op_sel_hi:[1,0,1]
	v_cvt_f32_f16_e32 v21, v31
	v_cvt_f32_f16_e32 v31, v41
	v_lshrrev_b32_e32 v1, 16, v63
	v_cvt_f32_f16_e32 v16, v63
	v_pk_fma_f32 v[10:11], v[18:19], v[24:25], v[10:11] op_sel_hi:[1,0,1]
	v_pk_fma_f32 v[14:15], v[46:47], v[24:25], v[14:15] op_sel_hi:[1,0,1]
	v_cvt_f32_f16_e32 v22, v22
	v_cvt_f32_f16_e32 v40, v23
	;; [unrolled: 1-line block ×5, first 2 shown]
	v_pk_fma_f32 v[10:11], v[20:21], v[16:17], v[10:11] op_sel_hi:[1,0,1]
	v_pk_fma_f32 v[14:15], v[30:31], v[16:17], v[14:15] op_sel_hi:[1,0,1]
	s_delay_alu instid0(VALU_DEP_2) | instskip(NEXT) | instid1(VALU_DEP_2)
	v_pk_fma_f32 v[10:11], v[22:23], v[18:19], v[10:11] op_sel_hi:[1,0,1]
	v_pk_fma_f32 v[14:15], v[40:41], v[18:19], v[14:15] op_sel_hi:[1,0,1]
	s_and_not1_b32 exec_lo, exec_lo, s6
	s_cbranch_execnz .LBB99_33
; %bb.34:
	s_or_b32 exec_lo, exec_lo, s6
	s_delay_alu instid0(VALU_DEP_1)
	v_dual_mov_b32 v19, v15 :: v_dual_mov_b32 v18, v14
.LBB99_35:
	s_or_b32 exec_lo, exec_lo, s2
.LBB99_36:
	s_delay_alu instid0(SALU_CYCLE_1)
	s_or_b32 exec_lo, exec_lo, s3
.LBB99_37:
	v_mbcnt_lo_u32_b32 v1, -1, 0
	s_mov_b32 s2, -1
	s_delay_alu instid0(VALU_DEP_1) | instskip(NEXT) | instid1(VALU_DEP_1)
	v_or_b32_e32 v3, 32, v1
	v_cmp_gt_i32_e32 vcc_lo, 32, v3
	v_cndmask_b32_e32 v3, v1, v3, vcc_lo
	s_delay_alu instid0(VALU_DEP_1)
	v_lshlrev_b32_e32 v3, 2, v3
	ds_bpermute_b32 v4, v3, v10
	ds_bpermute_b32 v5, v3, v11
	ds_bpermute_b32 v6, v3, v18
	ds_bpermute_b32 v7, v3, v19
	v_xor_b32_e32 v3, 16, v1
	s_delay_alu instid0(VALU_DEP_1) | instskip(SKIP_1) | instid1(VALU_DEP_1)
	v_cmp_gt_i32_e32 vcc_lo, 32, v3
	v_cndmask_b32_e32 v3, v1, v3, vcc_lo
	v_lshlrev_b32_e32 v3, 2, v3
	s_wait_dscnt 0x2
	v_pk_add_f32 v[4:5], v[10:11], v[4:5]
	s_wait_dscnt 0x0
	v_pk_add_f32 v[6:7], v[18:19], v[6:7]
	ds_bpermute_b32 v8, v3, v4
	ds_bpermute_b32 v9, v3, v5
	ds_bpermute_b32 v10, v3, v6
	ds_bpermute_b32 v11, v3, v7
	v_xor_b32_e32 v3, 8, v1
	s_delay_alu instid0(VALU_DEP_1) | instskip(SKIP_1) | instid1(VALU_DEP_1)
	v_cmp_gt_i32_e32 vcc_lo, 32, v3
	v_cndmask_b32_e32 v3, v1, v3, vcc_lo
	v_lshlrev_b32_e32 v3, 2, v3
	s_wait_dscnt 0x2
	v_pk_add_f32 v[4:5], v[4:5], v[8:9]
	s_wait_dscnt 0x0
	v_pk_add_f32 v[6:7], v[6:7], v[10:11]
	;; [unrolled: 13-line block ×4, first 2 shown]
	ds_bpermute_b32 v8, v3, v4
	ds_bpermute_b32 v9, v3, v5
	;; [unrolled: 1-line block ×4, first 2 shown]
	v_xor_b32_e32 v3, 1, v1
	s_delay_alu instid0(VALU_DEP_1) | instskip(SKIP_2) | instid1(VALU_DEP_2)
	v_cmp_gt_i32_e32 vcc_lo, 32, v3
	v_cndmask_b32_e32 v1, v1, v3, vcc_lo
	v_cmp_eq_u32_e32 vcc_lo, 63, v0
	v_lshlrev_b32_e32 v1, 2, v1
	s_wait_dscnt 0x2
	v_pk_add_f32 v[4:5], v[4:5], v[8:9]
	s_wait_dscnt 0x0
	v_pk_add_f32 v[6:7], v[6:7], v[10:11]
	ds_bpermute_b32 v10, v1, v4
	ds_bpermute_b32 v11, v1, v5
	;; [unrolled: 1-line block ×4, first 2 shown]
	s_and_b32 exec_lo, exec_lo, vcc_lo
	s_cbranch_execz .LBB99_10
; %bb.38:
	s_load_b64 s[0:1], s[0:1], 0x50
	s_wait_dscnt 0x2
	v_pk_add_f32 v[4:5], v[4:5], v[10:11]
	s_wait_dscnt 0x0
	v_pk_add_f32 v[0:1], v[6:7], v[8:9]
	v_lshlrev_b32_e32 v2, 2, v2
	s_cmp_eq_f32 s14, 0
	s_cbranch_scc0 .LBB99_40
; %bb.39:
	s_delay_alu instid0(VALU_DEP_1)
	v_ashrrev_i32_e32 v3, 31, v2
	v_pk_mul_f32 v[6:7], s[12:13], v[4:5] op_sel_hi:[0,1]
	v_pk_mul_f32 v[8:9], s[12:13], v[0:1] op_sel_hi:[0,1]
	s_mov_b32 s2, 0
	s_wait_kmcnt 0x0
	v_lshl_add_u64 v[10:11], v[2:3], 2, s[0:1]
	global_store_b128 v[10:11], v[6:9], off
.LBB99_40:
	s_and_not1_b32 vcc_lo, exec_lo, s2
	s_cbranch_vccnz .LBB99_10
; %bb.41:
	v_ashrrev_i32_e32 v3, 31, v2
	s_wait_kmcnt 0x0
	s_delay_alu instid0(VALU_DEP_1)
	v_lshl_add_u64 v[10:11], v[2:3], 2, s[0:1]
	v_pk_mul_f32 v[2:3], s[12:13], v[4:5] op_sel_hi:[0,1]
	v_pk_mul_f32 v[4:5], s[12:13], v[0:1] op_sel_hi:[0,1]
	global_load_b128 v[6:9], v[10:11], off
	s_wait_loadcnt 0x0
	v_pk_fma_f32 v[0:1], s[14:15], v[6:7], v[2:3] op_sel_hi:[0,1,1]
	v_pk_fma_f32 v[2:3], s[14:15], v[8:9], v[4:5] op_sel_hi:[0,1,1]
	global_store_b128 v[10:11], v[0:3], off
	s_sendmsg sendmsg(MSG_DEALLOC_VGPRS)
	s_endpgm
	.section	.rodata,"a",@progbits
	.p2align	6, 0x0
	.amdhsa_kernel _ZN9rocsparseL18bsrxmvn_4x4_kernelILj128ELj64EfliDF16_DF16_fEEvT3_20rocsparse_direction_NS_24const_host_device_scalarIT1_EES1_PKS1_PKT2_SA_S7_PKT4_PKT5_S5_PT6_21rocsparse_index_base_b
		.amdhsa_group_segment_fixed_size 0
		.amdhsa_private_segment_fixed_size 0
		.amdhsa_kernarg_size 96
		.amdhsa_user_sgpr_count 2
		.amdhsa_user_sgpr_dispatch_ptr 0
		.amdhsa_user_sgpr_queue_ptr 0
		.amdhsa_user_sgpr_kernarg_segment_ptr 1
		.amdhsa_user_sgpr_dispatch_id 0
		.amdhsa_user_sgpr_kernarg_preload_length 0
		.amdhsa_user_sgpr_kernarg_preload_offset 0
		.amdhsa_user_sgpr_private_segment_size 0
		.amdhsa_wavefront_size32 1
		.amdhsa_uses_dynamic_stack 0
		.amdhsa_enable_private_segment 0
		.amdhsa_system_sgpr_workgroup_id_x 1
		.amdhsa_system_sgpr_workgroup_id_y 0
		.amdhsa_system_sgpr_workgroup_id_z 0
		.amdhsa_system_sgpr_workgroup_info 0
		.amdhsa_system_vgpr_workitem_id 0
		.amdhsa_next_free_vgpr 78
		.amdhsa_next_free_sgpr 18
		.amdhsa_named_barrier_count 0
		.amdhsa_reserve_vcc 1
		.amdhsa_float_round_mode_32 0
		.amdhsa_float_round_mode_16_64 0
		.amdhsa_float_denorm_mode_32 3
		.amdhsa_float_denorm_mode_16_64 3
		.amdhsa_fp16_overflow 0
		.amdhsa_memory_ordered 1
		.amdhsa_forward_progress 1
		.amdhsa_inst_pref_size 39
		.amdhsa_round_robin_scheduling 0
		.amdhsa_exception_fp_ieee_invalid_op 0
		.amdhsa_exception_fp_denorm_src 0
		.amdhsa_exception_fp_ieee_div_zero 0
		.amdhsa_exception_fp_ieee_overflow 0
		.amdhsa_exception_fp_ieee_underflow 0
		.amdhsa_exception_fp_ieee_inexact 0
		.amdhsa_exception_int_div_zero 0
	.end_amdhsa_kernel
	.section	.text._ZN9rocsparseL18bsrxmvn_4x4_kernelILj128ELj64EfliDF16_DF16_fEEvT3_20rocsparse_direction_NS_24const_host_device_scalarIT1_EES1_PKS1_PKT2_SA_S7_PKT4_PKT5_S5_PT6_21rocsparse_index_base_b,"axG",@progbits,_ZN9rocsparseL18bsrxmvn_4x4_kernelILj128ELj64EfliDF16_DF16_fEEvT3_20rocsparse_direction_NS_24const_host_device_scalarIT1_EES1_PKS1_PKT2_SA_S7_PKT4_PKT5_S5_PT6_21rocsparse_index_base_b,comdat
.Lfunc_end99:
	.size	_ZN9rocsparseL18bsrxmvn_4x4_kernelILj128ELj64EfliDF16_DF16_fEEvT3_20rocsparse_direction_NS_24const_host_device_scalarIT1_EES1_PKS1_PKT2_SA_S7_PKT4_PKT5_S5_PT6_21rocsparse_index_base_b, .Lfunc_end99-_ZN9rocsparseL18bsrxmvn_4x4_kernelILj128ELj64EfliDF16_DF16_fEEvT3_20rocsparse_direction_NS_24const_host_device_scalarIT1_EES1_PKS1_PKT2_SA_S7_PKT4_PKT5_S5_PT6_21rocsparse_index_base_b
                                        ; -- End function
	.set _ZN9rocsparseL18bsrxmvn_4x4_kernelILj128ELj64EfliDF16_DF16_fEEvT3_20rocsparse_direction_NS_24const_host_device_scalarIT1_EES1_PKS1_PKT2_SA_S7_PKT4_PKT5_S5_PT6_21rocsparse_index_base_b.num_vgpr, 78
	.set _ZN9rocsparseL18bsrxmvn_4x4_kernelILj128ELj64EfliDF16_DF16_fEEvT3_20rocsparse_direction_NS_24const_host_device_scalarIT1_EES1_PKS1_PKT2_SA_S7_PKT4_PKT5_S5_PT6_21rocsparse_index_base_b.num_agpr, 0
	.set _ZN9rocsparseL18bsrxmvn_4x4_kernelILj128ELj64EfliDF16_DF16_fEEvT3_20rocsparse_direction_NS_24const_host_device_scalarIT1_EES1_PKS1_PKT2_SA_S7_PKT4_PKT5_S5_PT6_21rocsparse_index_base_b.numbered_sgpr, 18
	.set _ZN9rocsparseL18bsrxmvn_4x4_kernelILj128ELj64EfliDF16_DF16_fEEvT3_20rocsparse_direction_NS_24const_host_device_scalarIT1_EES1_PKS1_PKT2_SA_S7_PKT4_PKT5_S5_PT6_21rocsparse_index_base_b.num_named_barrier, 0
	.set _ZN9rocsparseL18bsrxmvn_4x4_kernelILj128ELj64EfliDF16_DF16_fEEvT3_20rocsparse_direction_NS_24const_host_device_scalarIT1_EES1_PKS1_PKT2_SA_S7_PKT4_PKT5_S5_PT6_21rocsparse_index_base_b.private_seg_size, 0
	.set _ZN9rocsparseL18bsrxmvn_4x4_kernelILj128ELj64EfliDF16_DF16_fEEvT3_20rocsparse_direction_NS_24const_host_device_scalarIT1_EES1_PKS1_PKT2_SA_S7_PKT4_PKT5_S5_PT6_21rocsparse_index_base_b.uses_vcc, 1
	.set _ZN9rocsparseL18bsrxmvn_4x4_kernelILj128ELj64EfliDF16_DF16_fEEvT3_20rocsparse_direction_NS_24const_host_device_scalarIT1_EES1_PKS1_PKT2_SA_S7_PKT4_PKT5_S5_PT6_21rocsparse_index_base_b.uses_flat_scratch, 0
	.set _ZN9rocsparseL18bsrxmvn_4x4_kernelILj128ELj64EfliDF16_DF16_fEEvT3_20rocsparse_direction_NS_24const_host_device_scalarIT1_EES1_PKS1_PKT2_SA_S7_PKT4_PKT5_S5_PT6_21rocsparse_index_base_b.has_dyn_sized_stack, 0
	.set _ZN9rocsparseL18bsrxmvn_4x4_kernelILj128ELj64EfliDF16_DF16_fEEvT3_20rocsparse_direction_NS_24const_host_device_scalarIT1_EES1_PKS1_PKT2_SA_S7_PKT4_PKT5_S5_PT6_21rocsparse_index_base_b.has_recursion, 0
	.set _ZN9rocsparseL18bsrxmvn_4x4_kernelILj128ELj64EfliDF16_DF16_fEEvT3_20rocsparse_direction_NS_24const_host_device_scalarIT1_EES1_PKS1_PKT2_SA_S7_PKT4_PKT5_S5_PT6_21rocsparse_index_base_b.has_indirect_call, 0
	.section	.AMDGPU.csdata,"",@progbits
; Kernel info:
; codeLenInByte = 4904
; TotalNumSgprs: 20
; NumVgprs: 78
; ScratchSize: 0
; MemoryBound: 0
; FloatMode: 240
; IeeeMode: 1
; LDSByteSize: 0 bytes/workgroup (compile time only)
; SGPRBlocks: 0
; VGPRBlocks: 4
; NumSGPRsForWavesPerEU: 20
; NumVGPRsForWavesPerEU: 78
; NamedBarCnt: 0
; Occupancy: 12
; WaveLimiterHint : 1
; COMPUTE_PGM_RSRC2:SCRATCH_EN: 0
; COMPUTE_PGM_RSRC2:USER_SGPR: 2
; COMPUTE_PGM_RSRC2:TRAP_HANDLER: 0
; COMPUTE_PGM_RSRC2:TGID_X_EN: 1
; COMPUTE_PGM_RSRC2:TGID_Y_EN: 0
; COMPUTE_PGM_RSRC2:TGID_Z_EN: 0
; COMPUTE_PGM_RSRC2:TIDIG_COMP_CNT: 0
	.section	.text._ZN9rocsparseL18bsrxmvn_4x4_kernelILj128ELj4EfllDF16_DF16_fEEvT3_20rocsparse_direction_NS_24const_host_device_scalarIT1_EES1_PKS1_PKT2_SA_S7_PKT4_PKT5_S5_PT6_21rocsparse_index_base_b,"axG",@progbits,_ZN9rocsparseL18bsrxmvn_4x4_kernelILj128ELj4EfllDF16_DF16_fEEvT3_20rocsparse_direction_NS_24const_host_device_scalarIT1_EES1_PKS1_PKT2_SA_S7_PKT4_PKT5_S5_PT6_21rocsparse_index_base_b,comdat
	.globl	_ZN9rocsparseL18bsrxmvn_4x4_kernelILj128ELj4EfllDF16_DF16_fEEvT3_20rocsparse_direction_NS_24const_host_device_scalarIT1_EES1_PKS1_PKT2_SA_S7_PKT4_PKT5_S5_PT6_21rocsparse_index_base_b ; -- Begin function _ZN9rocsparseL18bsrxmvn_4x4_kernelILj128ELj4EfllDF16_DF16_fEEvT3_20rocsparse_direction_NS_24const_host_device_scalarIT1_EES1_PKS1_PKT2_SA_S7_PKT4_PKT5_S5_PT6_21rocsparse_index_base_b
	.p2align	8
	.type	_ZN9rocsparseL18bsrxmvn_4x4_kernelILj128ELj4EfllDF16_DF16_fEEvT3_20rocsparse_direction_NS_24const_host_device_scalarIT1_EES1_PKS1_PKT2_SA_S7_PKT4_PKT5_S5_PT6_21rocsparse_index_base_b,@function
_ZN9rocsparseL18bsrxmvn_4x4_kernelILj128ELj4EfllDF16_DF16_fEEvT3_20rocsparse_direction_NS_24const_host_device_scalarIT1_EES1_PKS1_PKT2_SA_S7_PKT4_PKT5_S5_PT6_21rocsparse_index_base_b: ; @_ZN9rocsparseL18bsrxmvn_4x4_kernelILj128ELj4EfllDF16_DF16_fEEvT3_20rocsparse_direction_NS_24const_host_device_scalarIT1_EES1_PKS1_PKT2_SA_S7_PKT4_PKT5_S5_PT6_21rocsparse_index_base_b
; %bb.0:
	s_clause 0x2
	s_load_b64 s[2:3], s[0:1], 0x60
	s_load_b128 s[12:15], s[0:1], 0x10
	s_load_b64 s[16:17], s[0:1], 0x50
	s_wait_kmcnt 0x0
	s_bitcmp1_b32 s3, 0
	s_cselect_b32 s3, -1, 0
	s_delay_alu instid0(SALU_CYCLE_1)
	s_and_b32 vcc_lo, exec_lo, s3
	s_xor_b32 s3, s3, -1
	s_cbranch_vccnz .LBB100_2
; %bb.1:
	s_load_b32 s12, s[12:13], 0x0
.LBB100_2:
	s_and_not1_b32 vcc_lo, exec_lo, s3
	s_cbranch_vccnz .LBB100_4
; %bb.3:
	s_load_b32 s16, s[16:17], 0x0
.LBB100_4:
	s_wait_kmcnt 0x0
	s_cmp_neq_f32 s12, 0
	s_mov_b32 s6, 0
	s_cselect_b32 s3, -1, 0
	s_cmp_neq_f32 s16, 1.0
	s_cselect_b32 s4, -1, 0
	s_delay_alu instid0(SALU_CYCLE_1) | instskip(NEXT) | instid1(SALU_CYCLE_1)
	s_or_b32 s3, s3, s4
	s_and_not1_b32 vcc_lo, exec_lo, s3
	s_cbranch_vccnz .LBB100_10
; %bb.5:
	s_load_b64 s[4:5], s[0:1], 0x20
	s_bfe_u32 s3, ttmp6, 0x4000c
	s_and_b32 s7, ttmp6, 15
	s_add_co_i32 s3, s3, 1
	s_getreg_b32 s8, hwreg(HW_REG_IB_STS2, 6, 4)
	s_mul_i32 s3, ttmp9, s3
	v_dual_lshrrev_b32 v1, 2, v0 :: v_dual_mov_b32 v7, 0
	s_add_co_i32 s7, s7, s3
	s_cmp_eq_u32 s8, 0
	s_cselect_b32 s3, ttmp9, s7
	s_delay_alu instid0(VALU_DEP_1) | instid1(SALU_CYCLE_1)
	v_lshl_or_b32 v6, s3, 5, v1
	s_wait_kmcnt 0x0
	s_cmp_lg_u64 s[4:5], 0
	s_cbranch_scc0 .LBB100_11
; %bb.6:
	s_mov_b32 s7, 0
                                        ; implicit-def: $vgpr2_vgpr3
                                        ; implicit-def: $vgpr4_vgpr5
	s_mov_b32 s3, exec_lo
	v_cmpx_gt_i64_e64 s[14:15], v[6:7]
	s_xor_b32 s8, exec_lo, s3
	s_cbranch_execz .LBB100_8
; %bb.7:
	v_lshl_add_u64 v[2:3], v[6:7], 3, s[4:5]
	s_mov_b32 s3, 0
	s_mov_b32 s6, exec_lo
	v_mov_b64_e32 v[4:5], s[2:3]
	global_load_b64 v[2:3], v[2:3], off
	s_wait_loadcnt 0x0
	v_sub_nc_u64_e64 v[2:3], v[2:3], s[2:3]
.LBB100_8:
	s_or_b32 exec_lo, exec_lo, s8
	s_delay_alu instid0(SALU_CYCLE_1)
	s_and_b32 vcc_lo, exec_lo, s7
	s_cbranch_vccnz .LBB100_12
.LBB100_9:
	s_and_saveexec_b32 s2, s6
	s_cbranch_execnz .LBB100_15
.LBB100_10:
	s_sendmsg sendmsg(MSG_DEALLOC_VGPRS)
	s_endpgm
.LBB100_11:
                                        ; implicit-def: $vgpr2_vgpr3
                                        ; implicit-def: $vgpr4_vgpr5
	s_cbranch_execz .LBB100_9
.LBB100_12:
	s_load_b64 s[4:5], s[0:1], 0x0
	s_wait_kmcnt 0x0
	v_cmp_gt_i64_e32 vcc_lo, s[4:5], v[6:7]
	s_and_saveexec_b32 s4, vcc_lo
; %bb.13:
	s_mov_b32 s3, 0
	s_or_b32 s6, s6, exec_lo
; %bb.14:
	s_or_b32 exec_lo, exec_lo, s4
	v_mov_b64_e32 v[4:5], s[2:3]
	v_mov_b64_e32 v[2:3], v[6:7]
	s_and_saveexec_b32 s2, s6
	s_cbranch_execz .LBB100_10
.LBB100_15:
	s_load_b256 s[4:11], s[0:1], 0x28
	s_delay_alu instid0(VALU_DEP_1) | instskip(SKIP_3) | instid1(VALU_DEP_2)
	v_lshlrev_b64_e32 v[6:7], 3, v[2:3]
	v_dual_mov_b32 v1, 0 :: v_dual_bitop2_b32 v0, 3, v0 bitop3:0x40
	s_load_b32 s3, s[0:1], 0x8
	s_wait_kmcnt 0x0
	v_add_nc_u64_e32 v[8:9], s[4:5], v[6:7]
	v_add_nc_u64_e32 v[6:7], s[6:7], v[6:7]
	s_cmp_eq_u64 s[6:7], 0
	s_load_b64 s[4:5], s[0:1], 0x48
	s_cselect_b32 vcc_lo, -1, 0
	s_cmp_eq_u32 s3, 1
	global_load_b64 v[16:17], v[8:9], off
	s_wait_xcnt 0x0
	v_add_nc_u64_e32 v[8:9], 8, v[8:9]
	s_delay_alu instid0(VALU_DEP_1) | instskip(SKIP_4) | instid1(VALU_DEP_1)
	v_dual_cndmask_b32 v7, v7, v9 :: v_dual_cndmask_b32 v6, v6, v8
	global_load_b64 v[8:9], v[6:7], off
	s_wait_loadcnt 0x1
	s_wait_xcnt 0x0
	v_sub_nc_u64_e32 v[6:7], v[16:17], v[4:5]
	v_add_nc_u64_e32 v[6:7], v[6:7], v[0:1]
	s_wait_loadcnt 0x0
	v_sub_nc_u64_e32 v[8:9], v[8:9], v[4:5]
	s_delay_alu instid0(VALU_DEP_2) | instskip(NEXT) | instid1(VALU_DEP_2)
	v_lshlrev_b64_e32 v[10:11], 5, v[6:7]
	v_cmp_lt_i64_e64 s2, v[6:7], v[8:9]
	s_delay_alu instid0(VALU_DEP_2)
	v_add_nc_u64_e32 v[10:11], s[10:11], v[10:11]
	s_cbranch_scc1 .LBB100_27
; %bb.16:
	v_dual_mov_b32 v15, v1 :: v_dual_mov_b32 v14, v1
	v_dual_mov_b32 v13, v1 :: v_dual_mov_b32 v12, v1
	s_and_saveexec_b32 s3, s2
	s_cbranch_execz .LBB100_26
; %bb.17:
	v_dual_mov_b32 v13, v1 :: v_dual_bitop2_b32 v12, 4, v0 bitop3:0x54
	v_sub_nc_u64_e32 v[14:15], v[4:5], v[0:1]
	v_not_b32_e32 v19, v17
	v_not_b32_e32 v18, v16
	v_mov_b64_e32 v[20:21], v[10:11]
	v_sub_nc_u64_e32 v[12:13], v[12:13], v[4:5]
	s_delay_alu instid0(VALU_DEP_3) | instskip(SKIP_1) | instid1(VALU_DEP_3)
	v_add_nc_u64_e32 v[14:15], v[14:15], v[18:19]
	v_mov_b64_e32 v[18:19], v[6:7]
	v_add_nc_u64_e32 v[12:13], v[12:13], v[16:17]
	s_delay_alu instid0(VALU_DEP_1) | instskip(NEXT) | instid1(VALU_DEP_1)
	v_max_i64 v[12:13], v[12:13], v[8:9]
	v_add_nc_u64_e32 v[22:23], v[14:15], v[12:13]
	s_delay_alu instid0(VALU_DEP_1) | instskip(NEXT) | instid1(VALU_DEP_1)
	v_dual_mov_b32 v13, 0 :: v_dual_bitop2_b32 v12, 12, v22 bitop3:0x40
	v_dual_mov_b32 v14, v13 :: v_dual_mov_b32 v15, v13
	s_delay_alu instid0(VALU_DEP_2)
	v_cmp_ne_u64_e32 vcc_lo, 12, v[12:13]
	v_mov_b32_e32 v12, v13
	s_and_saveexec_b32 s6, vcc_lo
	s_cbranch_execz .LBB100_21
; %bb.18:
	v_dual_mov_b32 v13, 0 :: v_dual_lshrrev_b32 v12, 2, v22
	v_mov_b64_e32 v[20:21], v[10:11]
	v_mov_b64_e32 v[18:19], v[6:7]
	v_lshl_add_u64 v[24:25], v[6:7], 3, s[8:9]
	s_delay_alu instid0(VALU_DEP_4) | instskip(SKIP_1) | instid1(VALU_DEP_1)
	v_dual_add_nc_u32 v12, 1, v12 :: v_dual_mov_b32 v14, v13
	s_mov_b32 s7, 0
	v_dual_mov_b32 v15, v13 :: v_dual_bitop2_b32 v12, 3, v12 bitop3:0x40
	s_delay_alu instid0(VALU_DEP_1)
	v_sub_nc_u64_e32 v[26:27], 0, v[12:13]
	v_mov_b32_e32 v12, v13
.LBB100_19:                             ; =>This Inner Loop Header: Depth=1
	global_load_b64 v[32:33], v[24:25], off
	global_load_b128 v[28:31], v[20:21], off
	v_add_nc_u64_e32 v[26:27], 1, v[26:27]
	v_add_nc_u64_e32 v[18:19], 4, v[18:19]
	s_wait_xcnt 0x1
	v_add_nc_u64_e32 v[24:25], 32, v[24:25]
	s_delay_alu instid0(VALU_DEP_3)
	v_cmp_eq_u64_e32 vcc_lo, 0, v[26:27]
	s_or_b32 s7, vcc_lo, s7
	s_wait_loadcnt 0x1
	v_sub_nc_u64_e32 v[32:33], v[32:33], v[4:5]
	s_wait_loadcnt 0x0
	v_dual_lshrrev_b32 v44, 16, v29 :: v_dual_lshrrev_b32 v45, 16, v31
	v_dual_lshrrev_b32 v42, 16, v28 :: v_dual_lshrrev_b32 v43, 16, v30
	v_cvt_f32_f16_e32 v41, v31
	v_cvt_f32_f16_e32 v40, v29
	s_wait_kmcnt 0x0
	v_lshl_add_u64 v[36:37], v[32:33], 3, s[4:5]
	global_load_b128 v[32:35], v[20:21], off offset:16
	global_load_b64 v[38:39], v[36:37], off
	s_wait_xcnt 0x0
	v_cvt_f32_f16_e32 v37, v30
	v_cvt_f32_f16_e32 v36, v28
	v_add_nc_u64_e32 v[20:21], 0x80, v[20:21]
	s_wait_loadcnt 0x1
	v_cvt_f32_f16_e32 v29, v34
	v_cvt_f32_f16_e32 v28, v32
	v_dual_lshrrev_b32 v46, 16, v32 :: v_dual_lshrrev_b32 v47, 16, v34
	v_cvt_f32_f16_e32 v31, v35
	v_dual_lshrrev_b32 v48, 16, v33 :: v_dual_lshrrev_b32 v49, 16, v35
	v_cvt_f32_f16_e32 v35, v45
	s_wait_loadcnt 0x0
	v_lshrrev_b32_e32 v45, 16, v38
	v_cvt_f32_f16_e32 v34, v38
	v_cvt_f32_f16_e32 v30, v33
	;; [unrolled: 1-line block ×6, first 2 shown]
	v_pk_fma_f32 v[12:13], v[36:37], v[34:35], v[12:13] op_sel_hi:[1,0,1]
	v_pk_fma_f32 v[14:15], v[28:29], v[34:35], v[14:15] op_sel_hi:[1,0,1]
	v_lshrrev_b32_e32 v29, 16, v39
	v_cvt_f32_f16_e32 v38, v45
	v_cvt_f32_f16_e32 v28, v39
	;; [unrolled: 1-line block ×3, first 2 shown]
	s_delay_alu instid0(VALU_DEP_4) | instskip(NEXT) | instid1(VALU_DEP_4)
	v_cvt_f32_f16_e32 v36, v29
	v_pk_fma_f32 v[12:13], v[32:33], v[38:39], v[12:13] op_sel_hi:[1,0,1]
	v_pk_fma_f32 v[14:15], v[42:43], v[38:39], v[14:15] op_sel_hi:[1,0,1]
	v_cvt_f32_f16_e32 v33, v49
	v_cvt_f32_f16_e32 v32, v48
	s_delay_alu instid0(VALU_DEP_4) | instskip(NEXT) | instid1(VALU_DEP_4)
	v_pk_fma_f32 v[12:13], v[40:41], v[28:29], v[12:13] op_sel_hi:[1,0,1]
	v_pk_fma_f32 v[14:15], v[30:31], v[28:29], v[14:15] op_sel_hi:[1,0,1]
	s_delay_alu instid0(VALU_DEP_2) | instskip(NEXT) | instid1(VALU_DEP_2)
	v_pk_fma_f32 v[12:13], v[34:35], v[36:37], v[12:13] op_sel_hi:[1,0,1]
	v_pk_fma_f32 v[14:15], v[32:33], v[36:37], v[14:15] op_sel_hi:[1,0,1]
	s_and_not1_b32 exec_lo, exec_lo, s7
	s_cbranch_execnz .LBB100_19
; %bb.20:
	s_or_b32 exec_lo, exec_lo, s7
.LBB100_21:
	s_delay_alu instid0(SALU_CYCLE_1) | instskip(NEXT) | instid1(SALU_CYCLE_1)
	s_or_b32 exec_lo, exec_lo, s6
	s_mov_b32 s6, exec_lo
	v_cmpx_lt_u64_e32 11, v[22:23]
	s_cbranch_execz .LBB100_25
; %bb.22:
	v_lshl_add_u64 v[22:23], v[18:19], 3, s[8:9]
	s_mov_b32 s7, 0
	s_delay_alu instid0(VALU_DEP_1)
	v_add_nc_u64_e32 v[22:23], 64, v[22:23]
.LBB100_23:                             ; =>This Inner Loop Header: Depth=1
	s_clause 0x1
	global_load_b128 v[24:27], v[20:21], off offset:256
	global_load_b128 v[28:31], v[20:21], off
	global_load_b64 v[48:49], v[22:23], off offset:-64
	global_load_b128 v[32:35], v[20:21], off offset:16
	s_clause 0x2
	global_load_b64 v[50:51], v[22:23], off offset:-32
	global_load_b64 v[52:53], v[22:23], off
	global_load_b64 v[54:55], v[22:23], off offset:32
	s_clause 0x2
	global_load_b128 v[36:39], v[20:21], off offset:272
	global_load_b128 v[40:43], v[20:21], off offset:128
	;; [unrolled: 1-line block ×3, first 2 shown]
	v_add_nc_u64_e32 v[18:19], 16, v[18:19]
	s_wait_xcnt 0x3
	v_add_nc_u64_e32 v[22:23], 0x80, v[22:23]
	s_delay_alu instid0(VALU_DEP_2)
	v_cmp_ge_i64_e32 vcc_lo, v[18:19], v[8:9]
	s_or_b32 s7, vcc_lo, s7
	s_wait_loadcnt 0x9
	v_dual_lshrrev_b32 v68, 16, v25 :: v_dual_lshrrev_b32 v69, 16, v27
	s_wait_loadcnt 0x7
	v_sub_nc_u64_e32 v[48:49], v[48:49], v[4:5]
	v_cvt_f32_f16_e32 v57, v30
	v_dual_lshrrev_b32 v70, 16, v28 :: v_dual_lshrrev_b32 v71, 16, v30
	v_cvt_f32_f16_e32 v59, v31
	v_dual_lshrrev_b32 v72, 16, v29 :: v_dual_lshrrev_b32 v73, 16, v31
	s_wait_loadcnt 0x5
	v_sub_nc_u64_e32 v[30:31], v[50:51], v[4:5]
	s_wait_loadcnt 0x4
	v_sub_nc_u64_e32 v[50:51], v[52:53], v[4:5]
	;; [unrolled: 2-line block ×3, first 2 shown]
	s_wait_kmcnt 0x0
	v_lshl_add_u64 v[48:49], v[48:49], 3, s[4:5]
	v_cvt_f32_f16_e32 v56, v28
	v_cvt_f32_f16_e32 v58, v29
	;; [unrolled: 1-line block ×3, first 2 shown]
	v_lshl_add_u64 v[30:31], v[30:31], 3, s[4:5]
	v_lshl_add_u64 v[50:51], v[50:51], 3, s[4:5]
	;; [unrolled: 1-line block ×3, first 2 shown]
	s_clause 0x3
	global_load_b64 v[60:61], v[48:49], off
	global_load_b64 v[62:63], v[30:31], off
	;; [unrolled: 1-line block ×4, first 2 shown]
	v_cvt_f32_f16_e32 v28, v32
	s_wait_loadcnt 0x5
	s_wait_xcnt 0x1
	v_dual_lshrrev_b32 v32, 16, v32 :: v_dual_lshrrev_b32 v51, 16, v42
	v_dual_lshrrev_b32 v74, 16, v33 :: v_dual_lshrrev_b32 v75, 16, v35
	s_wait_xcnt 0x0
	v_dual_lshrrev_b32 v50, 16, v40 :: v_dual_lshrrev_b32 v52, 16, v41
	v_lshrrev_b32_e32 v53, 16, v43
	v_cvt_f32_f16_e32 v55, v27
	v_cvt_f32_f16_e32 v27, v71
	;; [unrolled: 1-line block ×7, first 2 shown]
	v_lshrrev_b32_e32 v76, 16, v36
	v_cvt_f32_f16_e32 v48, v40
	s_wait_loadcnt 0x4
	v_cvt_f32_f16_e32 v40, v44
	v_lshrrev_b32_e32 v34, 16, v34
	v_lshrrev_b32_e32 v71, 16, v38
	s_wait_loadcnt 0x3
	v_cvt_f32_f16_e32 v30, v60
	v_lshrrev_b32_e32 v36, 16, v61
	s_delay_alu instid0(VALU_DEP_2)
	v_pk_fma_f32 v[12:13], v[56:57], v[30:31], v[12:13] op_sel_hi:[1,0,1]
	v_lshrrev_b32_e32 v57, 16, v24
	v_pk_fma_f32 v[14:15], v[28:29], v[30:31], v[14:15] op_sel_hi:[1,0,1]
	v_cvt_f32_f16_e32 v30, v24
	v_cvt_f32_f16_e32 v24, v33
	;; [unrolled: 1-line block ×3, first 2 shown]
	v_lshrrev_b32_e32 v34, 16, v60
	v_cvt_f32_f16_e32 v28, v41
	v_cvt_f32_f16_e32 v31, v26
	v_lshrrev_b32_e32 v56, 16, v26
	v_cvt_f32_f16_e32 v26, v70
	v_cvt_f32_f16_e32 v41, v46
	v_lshrrev_b32_e32 v46, 16, v46
	v_cvt_f32_f16_e32 v34, v34
	v_cvt_f32_f16_e32 v36, v36
	v_cvt_f32_f16_e32 v29, v43
	v_cvt_f32_f16_e32 v43, v38
	v_dual_lshrrev_b32 v60, 16, v44 :: v_dual_lshrrev_b32 v70, 16, v45
	v_pk_fma_f32 v[12:13], v[26:27], v[34:35], v[12:13] op_sel_hi:[1,0,1]
	v_pk_fma_f32 v[14:15], v[32:33], v[34:35], v[14:15] op_sel_hi:[1,0,1]
	v_cvt_f32_f16_e32 v26, v61
	v_cvt_f32_f16_e32 v35, v39
	;; [unrolled: 1-line block ×3, first 2 shown]
	v_lshrrev_b32_e32 v47, 16, v47
	v_cvt_f32_f16_e32 v34, v37
	v_pk_fma_f32 v[12:13], v[58:59], v[26:27], v[12:13] op_sel_hi:[1,0,1]
	v_pk_fma_f32 v[24:25], v[24:25], v[26:27], v[14:15] op_sel_hi:[1,0,1]
	v_cvt_f32_f16_e32 v15, v73
	v_cvt_f32_f16_e32 v14, v72
	v_lshrrev_b32_e32 v59, 16, v39
	v_cvt_f32_f16_e32 v27, v75
	v_cvt_f32_f16_e32 v26, v74
	v_lshrrev_b32_e32 v58, 16, v37
	v_pk_fma_f32 v[38:39], v[14:15], v[36:37], v[12:13] op_sel_hi:[1,0,1]
	global_load_b128 v[12:15], v[20:21], off offset:384
	s_wait_loadcnt 0x3
	v_cvt_f32_f16_e32 v44, v62
	v_pk_fma_f32 v[36:37], v[26:27], v[36:37], v[24:25] op_sel_hi:[1,0,1]
	global_load_b128 v[24:27], v[20:21], off offset:400
	v_cvt_f32_f16_e32 v32, v45
	s_wait_xcnt 0x0
	v_add_nc_u64_e32 v[20:21], 0x200, v[20:21]
	v_pk_fma_f32 v[38:39], v[48:49], v[44:45], v[38:39] op_sel_hi:[1,0,1]
	v_pk_fma_f32 v[36:37], v[40:41], v[44:45], v[36:37] op_sel_hi:[1,0,1]
	v_cvt_f32_f16_e32 v49, v71
	v_cvt_f32_f16_e32 v48, v76
	s_wait_loadcnt 0x1
	v_cvt_f32_f16_e32 v41, v14
	v_dual_lshrrev_b32 v61, 16, v12 :: v_dual_lshrrev_b32 v72, 16, v14
	v_lshrrev_b32_e32 v14, 16, v62
	v_cvt_f32_f16_e32 v40, v12
	v_cvt_f32_f16_e32 v44, v13
	v_dual_lshrrev_b32 v73, 16, v13 :: v_dual_lshrrev_b32 v74, 16, v15
	v_cvt_f32_f16_e32 v13, v51
	v_cvt_f32_f16_e32 v12, v50
	s_wait_loadcnt 0x0
	v_lshrrev_b32_e32 v51, 16, v24
	v_cvt_f32_f16_e32 v14, v14
	v_cvt_f32_f16_e32 v45, v15
	v_dual_lshrrev_b32 v62, 16, v25 :: v_dual_lshrrev_b32 v75, 16, v27
	s_delay_alu instid0(VALU_DEP_3) | instskip(SKIP_4) | instid1(VALU_DEP_3)
	v_pk_fma_f32 v[12:13], v[12:13], v[14:15], v[38:39] op_sel_hi:[1,0,1]
	v_cvt_f32_f16_e32 v39, v46
	v_cvt_f32_f16_e32 v38, v60
	v_lshrrev_b32_e32 v60, 16, v26
	v_cvt_f32_f16_e32 v46, v57
	v_pk_fma_f32 v[14:15], v[38:39], v[14:15], v[36:37] op_sel_hi:[1,0,1]
	v_cvt_f32_f16_e32 v36, v24
	v_cvt_f32_f16_e32 v24, v63
	;; [unrolled: 1-line block ×6, first 2 shown]
	v_pk_fma_f32 v[12:13], v[28:29], v[24:25], v[12:13] op_sel_hi:[1,0,1]
	v_lshrrev_b32_e32 v25, 16, v63
	v_cvt_f32_f16_e32 v26, v52
	v_cvt_f32_f16_e32 v29, v47
	;; [unrolled: 1-line block ×5, first 2 shown]
	v_pk_fma_f32 v[14:15], v[32:33], v[24:25], v[14:15] op_sel_hi:[1,0,1]
	v_cvt_f32_f16_e32 v32, v64
	v_lshrrev_b32_e32 v33, 16, v64
	v_cvt_f32_f16_e32 v25, v69
	v_pk_fma_f32 v[12:13], v[26:27], v[50:51], v[12:13] op_sel_hi:[1,0,1]
	v_pk_fma_f32 v[14:15], v[28:29], v[50:51], v[14:15] op_sel_hi:[1,0,1]
	v_cvt_f32_f16_e32 v24, v68
	v_cvt_f32_f16_e32 v28, v33
	;; [unrolled: 1-line block ×3, first 2 shown]
	v_pk_fma_f32 v[12:13], v[30:31], v[32:33], v[12:13] op_sel_hi:[1,0,1]
	v_pk_fma_f32 v[14:15], v[42:43], v[32:33], v[14:15] op_sel_hi:[1,0,1]
	v_lshrrev_b32_e32 v31, 16, v65
	v_cvt_f32_f16_e32 v30, v65
	v_lshrrev_b32_e32 v33, 16, v66
	v_pk_fma_f32 v[12:13], v[46:47], v[28:29], v[12:13] op_sel_hi:[1,0,1]
	v_pk_fma_f32 v[14:15], v[48:49], v[28:29], v[14:15] op_sel_hi:[1,0,1]
	v_cvt_f32_f16_e32 v29, v59
	v_cvt_f32_f16_e32 v28, v58
	;; [unrolled: 1-line block ×3, first 2 shown]
	v_pk_fma_f32 v[12:13], v[54:55], v[30:31], v[12:13] op_sel_hi:[1,0,1]
	v_pk_fma_f32 v[14:15], v[34:35], v[30:31], v[14:15] op_sel_hi:[1,0,1]
	v_cvt_f32_f16_e32 v31, v74
	v_cvt_f32_f16_e32 v30, v66
	;; [unrolled: 1-line block ×3, first 2 shown]
	s_delay_alu instid0(VALU_DEP_4)
	v_pk_fma_f32 v[14:15], v[28:29], v[32:33], v[14:15] op_sel_hi:[1,0,1]
	v_lshrrev_b32_e32 v29, 16, v67
	v_pk_fma_f32 v[12:13], v[24:25], v[32:33], v[12:13] op_sel_hi:[1,0,1]
	v_cvt_f32_f16_e32 v25, v60
	v_cvt_f32_f16_e32 v24, v51
	;; [unrolled: 1-line block ×3, first 2 shown]
	v_pk_fma_f32 v[14:15], v[36:37], v[30:31], v[14:15] op_sel_hi:[1,0,1]
	v_pk_fma_f32 v[12:13], v[40:41], v[30:31], v[12:13] op_sel_hi:[1,0,1]
	v_cvt_f32_f16_e32 v32, v67
	v_cvt_f32_f16_e32 v30, v73
	s_delay_alu instid0(VALU_DEP_4) | instskip(NEXT) | instid1(VALU_DEP_4)
	v_pk_fma_f32 v[14:15], v[24:25], v[28:29], v[14:15] op_sel_hi:[1,0,1]
	v_pk_fma_f32 v[12:13], v[26:27], v[28:29], v[12:13] op_sel_hi:[1,0,1]
	v_cvt_f32_f16_e32 v25, v75
	v_cvt_f32_f16_e32 v24, v62
	v_cvt_f32_f16_e32 v26, v29
	v_pk_fma_f32 v[14:15], v[38:39], v[32:33], v[14:15] op_sel_hi:[1,0,1]
	v_pk_fma_f32 v[12:13], v[44:45], v[32:33], v[12:13] op_sel_hi:[1,0,1]
	s_delay_alu instid0(VALU_DEP_2) | instskip(NEXT) | instid1(VALU_DEP_2)
	v_pk_fma_f32 v[14:15], v[24:25], v[26:27], v[14:15] op_sel_hi:[1,0,1]
	v_pk_fma_f32 v[12:13], v[30:31], v[26:27], v[12:13] op_sel_hi:[1,0,1]
	s_and_not1_b32 exec_lo, exec_lo, s7
	s_cbranch_execnz .LBB100_23
; %bb.24:
	s_or_b32 exec_lo, exec_lo, s7
.LBB100_25:
	s_delay_alu instid0(SALU_CYCLE_1)
	s_or_b32 exec_lo, exec_lo, s6
.LBB100_26:
	s_delay_alu instid0(SALU_CYCLE_1)
	s_or_b32 exec_lo, exec_lo, s3
	s_cbranch_execz .LBB100_28
	s_branch .LBB100_39
.LBB100_27:
                                        ; implicit-def: $vgpr15
                                        ; implicit-def: $vgpr13
.LBB100_28:
	v_dual_mov_b32 v15, 0 :: v_dual_mov_b32 v14, 0
	v_dual_mov_b32 v13, 0 :: v_dual_mov_b32 v12, 0
	s_and_saveexec_b32 s3, s2
	s_cbranch_execz .LBB100_38
; %bb.29:
	v_dual_mov_b32 v13, v1 :: v_dual_bitop2_b32 v12, 4, v0 bitop3:0x54
	v_sub_nc_u64_e32 v[14:15], v[4:5], v[0:1]
	s_delay_alu instid0(VALU_DEP_2) | instskip(NEXT) | instid1(VALU_DEP_1)
	v_sub_nc_u64_e32 v[12:13], v[12:13], v[4:5]
	v_add_nc_u64_e32 v[12:13], v[12:13], v[16:17]
	v_not_b32_e32 v17, v17
	v_not_b32_e32 v16, v16
	s_delay_alu instid0(VALU_DEP_1) | instskip(NEXT) | instid1(VALU_DEP_4)
	v_add_nc_u64_e32 v[14:15], v[14:15], v[16:17]
	v_max_i64 v[12:13], v[12:13], v[8:9]
	s_delay_alu instid0(VALU_DEP_1) | instskip(NEXT) | instid1(VALU_DEP_1)
	v_add_nc_u64_e32 v[16:17], v[14:15], v[12:13]
	v_dual_mov_b32 v13, 0 :: v_dual_bitop2_b32 v12, 12, v16 bitop3:0x40
	s_delay_alu instid0(VALU_DEP_1) | instskip(NEXT) | instid1(VALU_DEP_2)
	v_dual_mov_b32 v15, v13 :: v_dual_mov_b32 v14, v13
	v_cmp_ne_u64_e32 vcc_lo, 12, v[12:13]
	v_mov_b32_e32 v12, v13
	s_and_saveexec_b32 s2, vcc_lo
	s_cbranch_execz .LBB100_33
; %bb.30:
	v_dual_lshrrev_b32 v1, 2, v16 :: v_dual_mov_b32 v13, 0
	v_lshl_add_u64 v[18:19], v[6:7], 3, s[8:9]
	s_mov_b32 s6, 0
	s_delay_alu instid0(VALU_DEP_2) | instskip(NEXT) | instid1(VALU_DEP_1)
	v_dual_add_nc_u32 v1, 1, v1 :: v_dual_mov_b32 v15, v13
	v_dual_mov_b32 v14, v13 :: v_dual_bitop2_b32 v12, 3, v1 bitop3:0x40
	s_delay_alu instid0(VALU_DEP_1)
	v_sub_nc_u64_e32 v[20:21], 0, v[12:13]
	v_mov_b32_e32 v12, v13
.LBB100_31:                             ; =>This Inner Loop Header: Depth=1
	global_load_b64 v[26:27], v[18:19], off
	global_load_b128 v[22:25], v[10:11], off
	v_add_nc_u64_e32 v[20:21], 1, v[20:21]
	v_add_nc_u64_e32 v[6:7], 4, v[6:7]
	s_wait_xcnt 0x1
	v_add_nc_u64_e32 v[18:19], 32, v[18:19]
	s_delay_alu instid0(VALU_DEP_3)
	v_cmp_eq_u64_e32 vcc_lo, 0, v[20:21]
	s_or_b32 s6, vcc_lo, s6
	s_wait_loadcnt 0x1
	v_sub_nc_u64_e32 v[26:27], v[26:27], v[4:5]
	s_wait_loadcnt 0x0
	v_dual_lshrrev_b32 v1, 16, v22 :: v_dual_lshrrev_b32 v37, 16, v23
	v_lshrrev_b32_e32 v40, 16, v25
	v_cvt_f32_f16_e32 v22, v22
	v_cvt_f32_f16_e32 v34, v25
	s_wait_kmcnt 0x0
	v_lshl_add_u64 v[30:31], v[26:27], 3, s[4:5]
	global_load_b64 v[32:33], v[30:31], off
	global_load_b128 v[26:29], v[10:11], off offset:16
	s_wait_xcnt 0x1
	v_lshrrev_b32_e32 v31, 16, v24
	v_cvt_f32_f16_e32 v30, v23
	v_cvt_f32_f16_e32 v23, v1
	;; [unrolled: 1-line block ×3, first 2 shown]
	s_wait_xcnt 0x0
	v_add_nc_u64_e32 v[10:11], 0x80, v[10:11]
	v_cvt_f32_f16_e32 v25, v31
	v_cvt_f32_f16_e32 v31, v37
	s_wait_loadcnt 0x0
	v_dual_lshrrev_b32 v1, 16, v32 :: v_dual_lshrrev_b32 v35, 16, v26
	v_lshrrev_b32_e32 v39, 16, v28
	v_cvt_f32_f16_e32 v32, v32
	v_dual_lshrrev_b32 v41, 16, v27 :: v_dual_lshrrev_b32 v42, 16, v29
	v_cvt_f32_f16_e32 v36, v27
	v_cvt_f32_f16_e32 v27, v35
	;; [unrolled: 1-line block ×4, first 2 shown]
	v_pk_fma_f32 v[12:13], v[22:23], v[32:33], v[12:13] op_sel_hi:[1,0,1]
	v_pk_fma_f32 v[14:15], v[30:31], v[32:33], v[14:15] op_sel_hi:[1,0,1]
	v_cvt_f32_f16_e32 v26, v26
	v_cvt_f32_f16_e32 v37, v41
	v_lshrrev_b32_e32 v1, 16, v33
	v_cvt_f32_f16_e32 v22, v33
	v_pk_fma_f32 v[12:13], v[24:25], v[40:41], v[12:13] op_sel_hi:[1,0,1]
	v_pk_fma_f32 v[14:15], v[34:35], v[40:41], v[14:15] op_sel_hi:[1,0,1]
	v_cvt_f32_f16_e32 v28, v28
	v_cvt_f32_f16_e32 v38, v29
	v_cvt_f32_f16_e32 v29, v39
	v_cvt_f32_f16_e32 v39, v42
	v_cvt_f32_f16_e32 v24, v1
	v_pk_fma_f32 v[12:13], v[26:27], v[22:23], v[12:13] op_sel_hi:[1,0,1]
	v_pk_fma_f32 v[14:15], v[36:37], v[22:23], v[14:15] op_sel_hi:[1,0,1]
	s_delay_alu instid0(VALU_DEP_2) | instskip(NEXT) | instid1(VALU_DEP_2)
	v_pk_fma_f32 v[12:13], v[28:29], v[24:25], v[12:13] op_sel_hi:[1,0,1]
	v_pk_fma_f32 v[14:15], v[38:39], v[24:25], v[14:15] op_sel_hi:[1,0,1]
	s_and_not1_b32 exec_lo, exec_lo, s6
	s_cbranch_execnz .LBB100_31
; %bb.32:
	s_or_b32 exec_lo, exec_lo, s6
.LBB100_33:
	s_delay_alu instid0(SALU_CYCLE_1) | instskip(NEXT) | instid1(SALU_CYCLE_1)
	s_or_b32 exec_lo, exec_lo, s2
	s_mov_b32 s2, exec_lo
	v_cmpx_lt_u64_e32 11, v[16:17]
	s_cbranch_execz .LBB100_37
; %bb.34:
	v_lshl_add_u64 v[16:17], v[6:7], 3, s[8:9]
	s_mov_b32 s6, 0
	s_delay_alu instid0(VALU_DEP_1)
	v_add_nc_u64_e32 v[16:17], 64, v[16:17]
.LBB100_35:                             ; =>This Inner Loop Header: Depth=1
	s_clause 0x2
	global_load_b64 v[34:35], v[16:17], off offset:-64
	global_load_b64 v[36:37], v[16:17], off offset:-32
	global_load_b64 v[38:39], v[16:17], off
	s_clause 0x2
	global_load_b128 v[18:21], v[10:11], off
	global_load_b128 v[22:25], v[10:11], off offset:16
	global_load_b128 v[26:29], v[10:11], off offset:128
	global_load_b64 v[40:41], v[16:17], off offset:32
	global_load_b128 v[30:33], v[10:11], off offset:144
	v_add_nc_u64_e32 v[6:7], 16, v[6:7]
	s_wait_xcnt 0x1
	v_add_nc_u64_e32 v[16:17], 0x80, v[16:17]
	s_delay_alu instid0(VALU_DEP_2)
	v_cmp_ge_i64_e32 vcc_lo, v[6:7], v[8:9]
	s_or_b32 s6, vcc_lo, s6
	s_wait_loadcnt 0x7
	v_sub_nc_u64_e32 v[34:35], v[34:35], v[4:5]
	s_wait_loadcnt 0x6
	v_sub_nc_u64_e32 v[36:37], v[36:37], v[4:5]
	;; [unrolled: 2-line block ×3, first 2 shown]
	s_wait_loadcnt 0x4
	v_dual_lshrrev_b32 v1, 16, v18 :: v_dual_lshrrev_b32 v45, 16, v20
	v_cvt_f32_f16_e32 v18, v18
	s_wait_loadcnt 0x1
	v_sub_nc_u64_e32 v[40:41], v[40:41], v[4:5]
	s_wait_kmcnt 0x0
	v_lshl_add_u64 v[34:35], v[34:35], 3, s[4:5]
	v_lshl_add_u64 v[36:37], v[36:37], 3, s[4:5]
	;; [unrolled: 1-line block ×3, first 2 shown]
	v_dual_lshrrev_b32 v43, 16, v19 :: v_dual_lshrrev_b32 v58, 16, v21
	v_cvt_f32_f16_e32 v42, v19
	v_lshl_add_u64 v[40:41], v[40:41], 3, s[4:5]
	v_cvt_f32_f16_e32 v19, v1
	s_clause 0x3
	global_load_b64 v[50:51], v[34:35], off
	global_load_b64 v[52:53], v[36:37], off
	;; [unrolled: 1-line block ×4, first 2 shown]
	v_cvt_f32_f16_e32 v20, v20
	v_dual_lshrrev_b32 v47, 16, v22 :: v_dual_lshrrev_b32 v49, 16, v24
	v_cvt_f32_f16_e32 v44, v21
	v_cvt_f32_f16_e32 v43, v43
	v_cvt_f32_f16_e32 v21, v45
	v_cvt_f32_f16_e32 v22, v22
	v_dual_lshrrev_b32 v61, 16, v23 :: v_dual_lshrrev_b32 v62, 16, v25
	v_cvt_f32_f16_e32 v46, v23
	v_cvt_f32_f16_e32 v45, v58
	;; [unrolled: 1-line block ×3, first 2 shown]
	s_delay_alu instid0(VALU_DEP_4)
	v_cvt_f32_f16_e32 v47, v61
	v_cvt_f32_f16_e32 v24, v24
	v_dual_lshrrev_b32 v59, 16, v26 :: v_dual_lshrrev_b32 v60, 16, v28
	v_cvt_f32_f16_e32 v48, v25
	v_cvt_f32_f16_e32 v25, v49
	;; [unrolled: 1-line block ×5, first 2 shown]
	s_wait_loadcnt 0x4
	s_wait_xcnt 0x0
	v_dual_lshrrev_b32 v1, 16, v30 :: v_dual_lshrrev_b32 v41, 16, v32
	v_cvt_f32_f16_e32 v36, v29
	v_dual_lshrrev_b32 v39, 16, v31 :: v_dual_lshrrev_b32 v63, 16, v33
	v_cvt_f32_f16_e32 v30, v30
	v_cvt_f32_f16_e32 v38, v31
	;; [unrolled: 1-line block ×3, first 2 shown]
	s_delay_alu instid0(VALU_DEP_4)
	v_cvt_f32_f16_e32 v39, v39
	v_cvt_f32_f16_e32 v32, v32
	;; [unrolled: 1-line block ×5, first 2 shown]
	v_lshrrev_b32_e32 v37, 16, v29
	v_cvt_f32_f16_e32 v29, v60
	s_delay_alu instid0(VALU_DEP_2) | instskip(SKIP_2) | instid1(VALU_DEP_1)
	v_cvt_f32_f16_e32 v37, v37
	s_wait_loadcnt 0x3
	v_cvt_f32_f16_e32 v34, v50
	v_pk_fma_f32 v[12:13], v[18:19], v[34:35], v[12:13] op_sel_hi:[1,0,1]
	v_lshrrev_b32_e32 v18, 16, v50
	v_pk_fma_f32 v[14:15], v[42:43], v[34:35], v[14:15] op_sel_hi:[1,0,1]
	v_lshrrev_b32_e32 v35, 16, v27
	v_cvt_f32_f16_e32 v34, v27
	v_cvt_f32_f16_e32 v27, v59
	;; [unrolled: 1-line block ×3, first 2 shown]
	s_delay_alu instid0(VALU_DEP_4) | instskip(NEXT) | instid1(VALU_DEP_2)
	v_cvt_f32_f16_e32 v35, v35
	v_pk_fma_f32 v[12:13], v[20:21], v[18:19], v[12:13] op_sel_hi:[1,0,1]
	v_cvt_f32_f16_e32 v20, v51
	v_pk_fma_f32 v[18:19], v[44:45], v[18:19], v[14:15] op_sel_hi:[1,0,1]
	s_delay_alu instid0(VALU_DEP_2)
	v_pk_fma_f32 v[22:23], v[22:23], v[20:21], v[12:13] op_sel_hi:[1,0,1]
	global_load_b128 v[12:15], v[10:11], off offset:256
	v_pk_fma_f32 v[42:43], v[46:47], v[20:21], v[18:19] op_sel_hi:[1,0,1]
	global_load_b128 v[18:21], v[10:11], off offset:272
	s_wait_loadcnt 0x1
	v_lshrrev_b32_e32 v45, 16, v12
	v_cvt_f32_f16_e32 v44, v12
	v_dual_lshrrev_b32 v12, 16, v51 :: v_dual_lshrrev_b32 v47, 16, v14
	v_dual_lshrrev_b32 v61, 16, v13 :: v_dual_lshrrev_b32 v64, 16, v15
	v_cvt_f32_f16_e32 v46, v14
	s_delay_alu instid0(VALU_DEP_3)
	v_cvt_f32_f16_e32 v12, v12
	v_cvt_f32_f16_e32 v58, v15
	;; [unrolled: 1-line block ×5, first 2 shown]
	v_pk_fma_f32 v[14:15], v[24:25], v[12:13], v[22:23] op_sel_hi:[1,0,1]
	v_cvt_f32_f16_e32 v24, v52
	v_pk_fma_f32 v[22:23], v[48:49], v[12:13], v[42:43] op_sel_hi:[1,0,1]
	v_cvt_f32_f16_e32 v47, v47
	s_wait_loadcnt 0x0
	v_lshrrev_b32_e32 v1, 16, v20
	v_cvt_f32_f16_e32 v20, v20
	v_pk_fma_f32 v[26:27], v[26:27], v[24:25], v[14:15] op_sel_hi:[1,0,1]
	global_load_b128 v[12:15], v[10:11], off offset:384
	v_pk_fma_f32 v[34:35], v[34:35], v[24:25], v[22:23] op_sel_hi:[1,0,1]
	v_lshrrev_b32_e32 v22, 16, v52
	v_cvt_f32_f16_e32 v59, v64
	s_delay_alu instid0(VALU_DEP_2)
	v_cvt_f32_f16_e32 v42, v22
	global_load_b128 v[22:25], v[10:11], off offset:400
	s_wait_xcnt 0x0
	v_add_nc_u64_e32 v[10:11], 0x200, v[10:11]
	v_pk_fma_f32 v[26:27], v[28:29], v[42:43], v[26:27] op_sel_hi:[1,0,1]
	v_pk_fma_f32 v[28:29], v[36:37], v[42:43], v[34:35] op_sel_hi:[1,0,1]
	v_lshrrev_b32_e32 v35, 16, v18
	v_cvt_f32_f16_e32 v34, v53
	v_lshrrev_b32_e32 v37, 16, v19
	v_cvt_f32_f16_e32 v42, v54
	v_cvt_f32_f16_e32 v18, v18
	s_delay_alu instid0(VALU_DEP_4)
	v_pk_fma_f32 v[26:27], v[30:31], v[34:35], v[26:27] op_sel_hi:[1,0,1]
	v_cvt_f32_f16_e32 v30, v19
	v_pk_fma_f32 v[28:29], v[38:39], v[34:35], v[28:29] op_sel_hi:[1,0,1]
	v_lshrrev_b32_e32 v39, 16, v21
	v_cvt_f32_f16_e32 v34, v21
	v_cvt_f32_f16_e32 v21, v1
	v_lshrrev_b32_e32 v1, 16, v54
	v_cvt_f32_f16_e32 v31, v37
	v_lshrrev_b32_e32 v19, 16, v53
	s_delay_alu instid0(VALU_DEP_1) | instskip(SKIP_1) | instid1(VALU_DEP_2)
	v_cvt_f32_f16_e32 v36, v19
	v_cvt_f32_f16_e32 v19, v35
	v_pk_fma_f32 v[26:27], v[32:33], v[36:37], v[26:27] op_sel_hi:[1,0,1]
	v_pk_fma_f32 v[28:29], v[40:41], v[36:37], v[28:29] op_sel_hi:[1,0,1]
	s_wait_loadcnt 0x1
	v_dual_lshrrev_b32 v48, 16, v14 :: v_dual_lshrrev_b32 v43, 16, v12
	v_dual_lshrrev_b32 v33, 16, v13 :: v_dual_lshrrev_b32 v41, 16, v15
	v_cvt_f32_f16_e32 v35, v39
	v_cvt_f32_f16_e32 v12, v12
	;; [unrolled: 1-line block ×4, first 2 shown]
	v_pk_fma_f32 v[26:27], v[44:45], v[42:43], v[26:27] op_sel_hi:[1,0,1]
	v_pk_fma_f32 v[28:29], v[50:51], v[42:43], v[28:29] op_sel_hi:[1,0,1]
	v_cvt_f32_f16_e32 v42, v1
	v_lshrrev_b32_e32 v1, 16, v55
	v_cvt_f32_f16_e32 v44, v55
	v_cvt_f32_f16_e32 v33, v33
	;; [unrolled: 1-line block ×3, first 2 shown]
	v_pk_fma_f32 v[26:27], v[46:47], v[42:43], v[26:27] op_sel_hi:[1,0,1]
	v_pk_fma_f32 v[28:29], v[58:59], v[42:43], v[28:29] op_sel_hi:[1,0,1]
	v_cvt_f32_f16_e32 v42, v1
	v_lshrrev_b32_e32 v1, 16, v56
	v_cvt_f32_f16_e32 v36, v15
	v_pk_fma_f32 v[18:19], v[18:19], v[44:45], v[26:27] op_sel_hi:[1,0,1]
	v_pk_fma_f32 v[26:27], v[30:31], v[44:45], v[28:29] op_sel_hi:[1,0,1]
	v_cvt_f32_f16_e32 v28, v56
	s_wait_loadcnt 0x0
	v_dual_lshrrev_b32 v49, 16, v22 :: v_dual_lshrrev_b32 v52, 16, v24
	v_pk_fma_f32 v[18:19], v[20:21], v[42:43], v[18:19] op_sel_hi:[1,0,1]
	v_pk_fma_f32 v[20:21], v[34:35], v[42:43], v[26:27] op_sel_hi:[1,0,1]
	v_dual_lshrrev_b32 v53, 16, v23 :: v_dual_lshrrev_b32 v60, 16, v25
	v_cvt_f32_f16_e32 v15, v48
	v_cvt_f32_f16_e32 v37, v41
	;; [unrolled: 1-line block ×3, first 2 shown]
	v_pk_fma_f32 v[12:13], v[12:13], v[28:29], v[18:19] op_sel_hi:[1,0,1]
	v_pk_fma_f32 v[18:19], v[32:33], v[28:29], v[20:21] op_sel_hi:[1,0,1]
	v_cvt_f32_f16_e32 v22, v22
	v_cvt_f32_f16_e32 v38, v23
	v_cvt_f32_f16_e32 v23, v49
	v_cvt_f32_f16_e32 v39, v53
	v_lshrrev_b32_e32 v1, 16, v57
	v_cvt_f32_f16_e32 v20, v57
	v_pk_fma_f32 v[12:13], v[14:15], v[26:27], v[12:13] op_sel_hi:[1,0,1]
	v_pk_fma_f32 v[14:15], v[36:37], v[26:27], v[18:19] op_sel_hi:[1,0,1]
	v_cvt_f32_f16_e32 v24, v24
	v_cvt_f32_f16_e32 v40, v25
	;; [unrolled: 1-line block ×5, first 2 shown]
	v_pk_fma_f32 v[12:13], v[22:23], v[20:21], v[12:13] op_sel_hi:[1,0,1]
	v_pk_fma_f32 v[14:15], v[38:39], v[20:21], v[14:15] op_sel_hi:[1,0,1]
	s_delay_alu instid0(VALU_DEP_2) | instskip(NEXT) | instid1(VALU_DEP_2)
	v_pk_fma_f32 v[12:13], v[24:25], v[18:19], v[12:13] op_sel_hi:[1,0,1]
	v_pk_fma_f32 v[14:15], v[40:41], v[18:19], v[14:15] op_sel_hi:[1,0,1]
	s_and_not1_b32 exec_lo, exec_lo, s6
	s_cbranch_execnz .LBB100_35
; %bb.36:
	s_or_b32 exec_lo, exec_lo, s6
.LBB100_37:
	s_delay_alu instid0(SALU_CYCLE_1)
	s_or_b32 exec_lo, exec_lo, s2
.LBB100_38:
	s_delay_alu instid0(SALU_CYCLE_1)
	s_or_b32 exec_lo, exec_lo, s3
.LBB100_39:
	v_mbcnt_lo_u32_b32 v1, -1, 0
	s_mov_b32 s2, -1
	s_delay_alu instid0(VALU_DEP_1) | instskip(SKIP_1) | instid1(VALU_DEP_1)
	v_xor_b32_e32 v8, 1, v1
	v_xor_b32_e32 v4, 2, v1
	v_cmp_gt_i32_e32 vcc_lo, 32, v4
	v_cndmask_b32_e32 v4, v1, v4, vcc_lo
	s_delay_alu instid0(VALU_DEP_4) | instskip(SKIP_2) | instid1(VALU_DEP_2)
	v_cmp_gt_i32_e32 vcc_lo, 32, v8
	v_cndmask_b32_e32 v1, v1, v8, vcc_lo
	v_cmp_eq_u32_e32 vcc_lo, 3, v0
	v_dual_lshlrev_b32 v1, 2, v1 :: v_dual_lshlrev_b32 v7, 2, v4
	ds_bpermute_b32 v4, v7, v12
	ds_bpermute_b32 v5, v7, v13
	;; [unrolled: 1-line block ×4, first 2 shown]
	s_wait_dscnt 0x2
	v_pk_add_f32 v[4:5], v[12:13], v[4:5]
	s_wait_dscnt 0x0
	v_pk_add_f32 v[8:9], v[14:15], v[6:7]
	ds_bpermute_b32 v6, v1, v4
	ds_bpermute_b32 v7, v1, v5
	;; [unrolled: 1-line block ×4, first 2 shown]
	s_and_b32 exec_lo, exec_lo, vcc_lo
	s_cbranch_execz .LBB100_10
; %bb.40:
	s_load_b64 s[0:1], s[0:1], 0x58
	s_wait_dscnt 0x2
	v_pk_add_f32 v[6:7], v[4:5], v[6:7]
	s_wait_dscnt 0x0
	v_pk_add_f32 v[4:5], v[8:9], v[10:11]
	s_cmp_eq_f32 s16, 0
	s_wait_kmcnt 0x0
	v_lshl_add_u64 v[0:1], v[2:3], 4, s[0:1]
	s_cbranch_scc0 .LBB100_42
; %bb.41:
	v_pk_mul_f32 v[8:9], s[12:13], v[6:7] op_sel_hi:[0,1]
	v_pk_mul_f32 v[10:11], s[12:13], v[4:5] op_sel_hi:[0,1]
	s_mov_b32 s2, 0
	global_store_b128 v[0:1], v[8:11], off
.LBB100_42:
	s_and_not1_b32 vcc_lo, exec_lo, s2
	s_cbranch_vccnz .LBB100_10
; %bb.43:
	global_load_b128 v[8:11], v[0:1], off
	v_pk_mul_f32 v[2:3], s[12:13], v[6:7] op_sel_hi:[0,1]
	v_pk_mul_f32 v[4:5], s[12:13], v[4:5] op_sel_hi:[0,1]
	s_wait_loadcnt 0x0
	s_delay_alu instid0(VALU_DEP_2) | instskip(NEXT) | instid1(VALU_DEP_2)
	v_pk_fma_f32 v[2:3], s[16:17], v[8:9], v[2:3] op_sel_hi:[0,1,1]
	v_pk_fma_f32 v[4:5], s[16:17], v[10:11], v[4:5] op_sel_hi:[0,1,1]
	global_store_b128 v[0:1], v[2:5], off
	s_sendmsg sendmsg(MSG_DEALLOC_VGPRS)
	s_endpgm
	.section	.rodata,"a",@progbits
	.p2align	6, 0x0
	.amdhsa_kernel _ZN9rocsparseL18bsrxmvn_4x4_kernelILj128ELj4EfllDF16_DF16_fEEvT3_20rocsparse_direction_NS_24const_host_device_scalarIT1_EES1_PKS1_PKT2_SA_S7_PKT4_PKT5_S5_PT6_21rocsparse_index_base_b
		.amdhsa_group_segment_fixed_size 0
		.amdhsa_private_segment_fixed_size 0
		.amdhsa_kernarg_size 104
		.amdhsa_user_sgpr_count 2
		.amdhsa_user_sgpr_dispatch_ptr 0
		.amdhsa_user_sgpr_queue_ptr 0
		.amdhsa_user_sgpr_kernarg_segment_ptr 1
		.amdhsa_user_sgpr_dispatch_id 0
		.amdhsa_user_sgpr_kernarg_preload_length 0
		.amdhsa_user_sgpr_kernarg_preload_offset 0
		.amdhsa_user_sgpr_private_segment_size 0
		.amdhsa_wavefront_size32 1
		.amdhsa_uses_dynamic_stack 0
		.amdhsa_enable_private_segment 0
		.amdhsa_system_sgpr_workgroup_id_x 1
		.amdhsa_system_sgpr_workgroup_id_y 0
		.amdhsa_system_sgpr_workgroup_id_z 0
		.amdhsa_system_sgpr_workgroup_info 0
		.amdhsa_system_vgpr_workitem_id 0
		.amdhsa_next_free_vgpr 77
		.amdhsa_next_free_sgpr 18
		.amdhsa_named_barrier_count 0
		.amdhsa_reserve_vcc 1
		.amdhsa_float_round_mode_32 0
		.amdhsa_float_round_mode_16_64 0
		.amdhsa_float_denorm_mode_32 3
		.amdhsa_float_denorm_mode_16_64 3
		.amdhsa_fp16_overflow 0
		.amdhsa_memory_ordered 1
		.amdhsa_forward_progress 1
		.amdhsa_inst_pref_size 35
		.amdhsa_round_robin_scheduling 0
		.amdhsa_exception_fp_ieee_invalid_op 0
		.amdhsa_exception_fp_denorm_src 0
		.amdhsa_exception_fp_ieee_div_zero 0
		.amdhsa_exception_fp_ieee_overflow 0
		.amdhsa_exception_fp_ieee_underflow 0
		.amdhsa_exception_fp_ieee_inexact 0
		.amdhsa_exception_int_div_zero 0
	.end_amdhsa_kernel
	.section	.text._ZN9rocsparseL18bsrxmvn_4x4_kernelILj128ELj4EfllDF16_DF16_fEEvT3_20rocsparse_direction_NS_24const_host_device_scalarIT1_EES1_PKS1_PKT2_SA_S7_PKT4_PKT5_S5_PT6_21rocsparse_index_base_b,"axG",@progbits,_ZN9rocsparseL18bsrxmvn_4x4_kernelILj128ELj4EfllDF16_DF16_fEEvT3_20rocsparse_direction_NS_24const_host_device_scalarIT1_EES1_PKS1_PKT2_SA_S7_PKT4_PKT5_S5_PT6_21rocsparse_index_base_b,comdat
.Lfunc_end100:
	.size	_ZN9rocsparseL18bsrxmvn_4x4_kernelILj128ELj4EfllDF16_DF16_fEEvT3_20rocsparse_direction_NS_24const_host_device_scalarIT1_EES1_PKS1_PKT2_SA_S7_PKT4_PKT5_S5_PT6_21rocsparse_index_base_b, .Lfunc_end100-_ZN9rocsparseL18bsrxmvn_4x4_kernelILj128ELj4EfllDF16_DF16_fEEvT3_20rocsparse_direction_NS_24const_host_device_scalarIT1_EES1_PKS1_PKT2_SA_S7_PKT4_PKT5_S5_PT6_21rocsparse_index_base_b
                                        ; -- End function
	.set _ZN9rocsparseL18bsrxmvn_4x4_kernelILj128ELj4EfllDF16_DF16_fEEvT3_20rocsparse_direction_NS_24const_host_device_scalarIT1_EES1_PKS1_PKT2_SA_S7_PKT4_PKT5_S5_PT6_21rocsparse_index_base_b.num_vgpr, 77
	.set _ZN9rocsparseL18bsrxmvn_4x4_kernelILj128ELj4EfllDF16_DF16_fEEvT3_20rocsparse_direction_NS_24const_host_device_scalarIT1_EES1_PKS1_PKT2_SA_S7_PKT4_PKT5_S5_PT6_21rocsparse_index_base_b.num_agpr, 0
	.set _ZN9rocsparseL18bsrxmvn_4x4_kernelILj128ELj4EfllDF16_DF16_fEEvT3_20rocsparse_direction_NS_24const_host_device_scalarIT1_EES1_PKS1_PKT2_SA_S7_PKT4_PKT5_S5_PT6_21rocsparse_index_base_b.numbered_sgpr, 18
	.set _ZN9rocsparseL18bsrxmvn_4x4_kernelILj128ELj4EfllDF16_DF16_fEEvT3_20rocsparse_direction_NS_24const_host_device_scalarIT1_EES1_PKS1_PKT2_SA_S7_PKT4_PKT5_S5_PT6_21rocsparse_index_base_b.num_named_barrier, 0
	.set _ZN9rocsparseL18bsrxmvn_4x4_kernelILj128ELj4EfllDF16_DF16_fEEvT3_20rocsparse_direction_NS_24const_host_device_scalarIT1_EES1_PKS1_PKT2_SA_S7_PKT4_PKT5_S5_PT6_21rocsparse_index_base_b.private_seg_size, 0
	.set _ZN9rocsparseL18bsrxmvn_4x4_kernelILj128ELj4EfllDF16_DF16_fEEvT3_20rocsparse_direction_NS_24const_host_device_scalarIT1_EES1_PKS1_PKT2_SA_S7_PKT4_PKT5_S5_PT6_21rocsparse_index_base_b.uses_vcc, 1
	.set _ZN9rocsparseL18bsrxmvn_4x4_kernelILj128ELj4EfllDF16_DF16_fEEvT3_20rocsparse_direction_NS_24const_host_device_scalarIT1_EES1_PKS1_PKT2_SA_S7_PKT4_PKT5_S5_PT6_21rocsparse_index_base_b.uses_flat_scratch, 0
	.set _ZN9rocsparseL18bsrxmvn_4x4_kernelILj128ELj4EfllDF16_DF16_fEEvT3_20rocsparse_direction_NS_24const_host_device_scalarIT1_EES1_PKS1_PKT2_SA_S7_PKT4_PKT5_S5_PT6_21rocsparse_index_base_b.has_dyn_sized_stack, 0
	.set _ZN9rocsparseL18bsrxmvn_4x4_kernelILj128ELj4EfllDF16_DF16_fEEvT3_20rocsparse_direction_NS_24const_host_device_scalarIT1_EES1_PKS1_PKT2_SA_S7_PKT4_PKT5_S5_PT6_21rocsparse_index_base_b.has_recursion, 0
	.set _ZN9rocsparseL18bsrxmvn_4x4_kernelILj128ELj4EfllDF16_DF16_fEEvT3_20rocsparse_direction_NS_24const_host_device_scalarIT1_EES1_PKS1_PKT2_SA_S7_PKT4_PKT5_S5_PT6_21rocsparse_index_base_b.has_indirect_call, 0
	.section	.AMDGPU.csdata,"",@progbits
; Kernel info:
; codeLenInByte = 4364
; TotalNumSgprs: 20
; NumVgprs: 77
; ScratchSize: 0
; MemoryBound: 0
; FloatMode: 240
; IeeeMode: 1
; LDSByteSize: 0 bytes/workgroup (compile time only)
; SGPRBlocks: 0
; VGPRBlocks: 4
; NumSGPRsForWavesPerEU: 20
; NumVGPRsForWavesPerEU: 77
; NamedBarCnt: 0
; Occupancy: 12
; WaveLimiterHint : 1
; COMPUTE_PGM_RSRC2:SCRATCH_EN: 0
; COMPUTE_PGM_RSRC2:USER_SGPR: 2
; COMPUTE_PGM_RSRC2:TRAP_HANDLER: 0
; COMPUTE_PGM_RSRC2:TGID_X_EN: 1
; COMPUTE_PGM_RSRC2:TGID_Y_EN: 0
; COMPUTE_PGM_RSRC2:TGID_Z_EN: 0
; COMPUTE_PGM_RSRC2:TIDIG_COMP_CNT: 0
	.section	.text._ZN9rocsparseL18bsrxmvn_4x4_kernelILj128ELj8EfllDF16_DF16_fEEvT3_20rocsparse_direction_NS_24const_host_device_scalarIT1_EES1_PKS1_PKT2_SA_S7_PKT4_PKT5_S5_PT6_21rocsparse_index_base_b,"axG",@progbits,_ZN9rocsparseL18bsrxmvn_4x4_kernelILj128ELj8EfllDF16_DF16_fEEvT3_20rocsparse_direction_NS_24const_host_device_scalarIT1_EES1_PKS1_PKT2_SA_S7_PKT4_PKT5_S5_PT6_21rocsparse_index_base_b,comdat
	.globl	_ZN9rocsparseL18bsrxmvn_4x4_kernelILj128ELj8EfllDF16_DF16_fEEvT3_20rocsparse_direction_NS_24const_host_device_scalarIT1_EES1_PKS1_PKT2_SA_S7_PKT4_PKT5_S5_PT6_21rocsparse_index_base_b ; -- Begin function _ZN9rocsparseL18bsrxmvn_4x4_kernelILj128ELj8EfllDF16_DF16_fEEvT3_20rocsparse_direction_NS_24const_host_device_scalarIT1_EES1_PKS1_PKT2_SA_S7_PKT4_PKT5_S5_PT6_21rocsparse_index_base_b
	.p2align	8
	.type	_ZN9rocsparseL18bsrxmvn_4x4_kernelILj128ELj8EfllDF16_DF16_fEEvT3_20rocsparse_direction_NS_24const_host_device_scalarIT1_EES1_PKS1_PKT2_SA_S7_PKT4_PKT5_S5_PT6_21rocsparse_index_base_b,@function
_ZN9rocsparseL18bsrxmvn_4x4_kernelILj128ELj8EfllDF16_DF16_fEEvT3_20rocsparse_direction_NS_24const_host_device_scalarIT1_EES1_PKS1_PKT2_SA_S7_PKT4_PKT5_S5_PT6_21rocsparse_index_base_b: ; @_ZN9rocsparseL18bsrxmvn_4x4_kernelILj128ELj8EfllDF16_DF16_fEEvT3_20rocsparse_direction_NS_24const_host_device_scalarIT1_EES1_PKS1_PKT2_SA_S7_PKT4_PKT5_S5_PT6_21rocsparse_index_base_b
; %bb.0:
	s_clause 0x2
	s_load_b64 s[2:3], s[0:1], 0x60
	s_load_b128 s[12:15], s[0:1], 0x10
	s_load_b64 s[16:17], s[0:1], 0x50
	s_wait_kmcnt 0x0
	s_bitcmp1_b32 s3, 0
	s_cselect_b32 s3, -1, 0
	s_delay_alu instid0(SALU_CYCLE_1)
	s_and_b32 vcc_lo, exec_lo, s3
	s_xor_b32 s3, s3, -1
	s_cbranch_vccnz .LBB101_2
; %bb.1:
	s_load_b32 s12, s[12:13], 0x0
.LBB101_2:
	s_and_not1_b32 vcc_lo, exec_lo, s3
	s_cbranch_vccnz .LBB101_4
; %bb.3:
	s_load_b32 s16, s[16:17], 0x0
.LBB101_4:
	s_wait_kmcnt 0x0
	s_cmp_neq_f32 s12, 0
	s_mov_b32 s6, 0
	s_cselect_b32 s3, -1, 0
	s_cmp_neq_f32 s16, 1.0
	s_cselect_b32 s4, -1, 0
	s_delay_alu instid0(SALU_CYCLE_1) | instskip(NEXT) | instid1(SALU_CYCLE_1)
	s_or_b32 s3, s3, s4
	s_and_not1_b32 vcc_lo, exec_lo, s3
	s_cbranch_vccnz .LBB101_10
; %bb.5:
	s_load_b64 s[4:5], s[0:1], 0x20
	s_bfe_u32 s3, ttmp6, 0x4000c
	s_and_b32 s7, ttmp6, 15
	s_add_co_i32 s3, s3, 1
	s_getreg_b32 s8, hwreg(HW_REG_IB_STS2, 6, 4)
	s_mul_i32 s3, ttmp9, s3
	v_dual_lshrrev_b32 v1, 3, v0 :: v_dual_mov_b32 v7, 0
	s_add_co_i32 s7, s7, s3
	s_cmp_eq_u32 s8, 0
	s_cselect_b32 s3, ttmp9, s7
	s_delay_alu instid0(VALU_DEP_1) | instid1(SALU_CYCLE_1)
	v_lshl_or_b32 v6, s3, 4, v1
	s_wait_kmcnt 0x0
	s_cmp_lg_u64 s[4:5], 0
	s_cbranch_scc0 .LBB101_11
; %bb.6:
	s_mov_b32 s7, 0
                                        ; implicit-def: $vgpr2_vgpr3
                                        ; implicit-def: $vgpr4_vgpr5
	s_mov_b32 s3, exec_lo
	v_cmpx_gt_i64_e64 s[14:15], v[6:7]
	s_xor_b32 s8, exec_lo, s3
	s_cbranch_execz .LBB101_8
; %bb.7:
	v_lshl_add_u64 v[2:3], v[6:7], 3, s[4:5]
	s_mov_b32 s3, 0
	s_mov_b32 s6, exec_lo
	v_mov_b64_e32 v[4:5], s[2:3]
	global_load_b64 v[2:3], v[2:3], off
	s_wait_loadcnt 0x0
	v_sub_nc_u64_e64 v[2:3], v[2:3], s[2:3]
.LBB101_8:
	s_or_b32 exec_lo, exec_lo, s8
	s_delay_alu instid0(SALU_CYCLE_1)
	s_and_b32 vcc_lo, exec_lo, s7
	s_cbranch_vccnz .LBB101_12
.LBB101_9:
	s_and_saveexec_b32 s2, s6
	s_cbranch_execnz .LBB101_15
.LBB101_10:
	s_sendmsg sendmsg(MSG_DEALLOC_VGPRS)
	s_endpgm
.LBB101_11:
                                        ; implicit-def: $vgpr2_vgpr3
                                        ; implicit-def: $vgpr4_vgpr5
	s_cbranch_execz .LBB101_9
.LBB101_12:
	s_load_b64 s[4:5], s[0:1], 0x0
	s_wait_kmcnt 0x0
	v_cmp_gt_i64_e32 vcc_lo, s[4:5], v[6:7]
	s_and_saveexec_b32 s4, vcc_lo
; %bb.13:
	s_mov_b32 s3, 0
	s_or_b32 s6, s6, exec_lo
; %bb.14:
	s_or_b32 exec_lo, exec_lo, s4
	v_mov_b64_e32 v[4:5], s[2:3]
	v_mov_b64_e32 v[2:3], v[6:7]
	s_and_saveexec_b32 s2, s6
	s_cbranch_execz .LBB101_10
.LBB101_15:
	s_load_b256 s[4:11], s[0:1], 0x28
	s_delay_alu instid0(VALU_DEP_1) | instskip(SKIP_3) | instid1(VALU_DEP_2)
	v_lshlrev_b64_e32 v[6:7], 3, v[2:3]
	v_dual_mov_b32 v1, 0 :: v_dual_bitop2_b32 v0, 7, v0 bitop3:0x40
	s_load_b32 s3, s[0:1], 0x8
	s_wait_kmcnt 0x0
	v_add_nc_u64_e32 v[8:9], s[4:5], v[6:7]
	v_add_nc_u64_e32 v[6:7], s[6:7], v[6:7]
	s_cmp_eq_u64 s[6:7], 0
	s_load_b64 s[4:5], s[0:1], 0x48
	s_cselect_b32 vcc_lo, -1, 0
	s_cmp_eq_u32 s3, 1
	global_load_b64 v[16:17], v[8:9], off
	s_wait_xcnt 0x0
	v_add_nc_u64_e32 v[8:9], 8, v[8:9]
	s_delay_alu instid0(VALU_DEP_1) | instskip(SKIP_4) | instid1(VALU_DEP_1)
	v_dual_cndmask_b32 v7, v7, v9 :: v_dual_cndmask_b32 v6, v6, v8
	global_load_b64 v[8:9], v[6:7], off
	s_wait_loadcnt 0x1
	s_wait_xcnt 0x0
	v_sub_nc_u64_e32 v[6:7], v[16:17], v[4:5]
	v_add_nc_u64_e32 v[6:7], v[6:7], v[0:1]
	s_wait_loadcnt 0x0
	v_sub_nc_u64_e32 v[8:9], v[8:9], v[4:5]
	s_delay_alu instid0(VALU_DEP_2) | instskip(NEXT) | instid1(VALU_DEP_2)
	v_lshlrev_b64_e32 v[10:11], 5, v[6:7]
	v_cmp_lt_i64_e64 s2, v[6:7], v[8:9]
	s_delay_alu instid0(VALU_DEP_2)
	v_add_nc_u64_e32 v[10:11], s[10:11], v[10:11]
	s_cbranch_scc1 .LBB101_27
; %bb.16:
	v_dual_mov_b32 v13, v1 :: v_dual_mov_b32 v12, v1
	v_dual_mov_b32 v15, v1 :: v_dual_mov_b32 v14, v1
	s_and_saveexec_b32 s3, s2
	s_cbranch_execz .LBB101_26
; %bb.17:
	v_dual_mov_b32 v13, v1 :: v_dual_bitop2_b32 v12, 8, v0 bitop3:0x54
	v_sub_nc_u64_e32 v[14:15], v[4:5], v[0:1]
	v_not_b32_e32 v19, v17
	v_not_b32_e32 v18, v16
	v_mov_b64_e32 v[20:21], v[10:11]
	v_sub_nc_u64_e32 v[12:13], v[12:13], v[4:5]
	s_delay_alu instid0(VALU_DEP_3) | instskip(SKIP_1) | instid1(VALU_DEP_3)
	v_add_nc_u64_e32 v[14:15], v[14:15], v[18:19]
	v_mov_b64_e32 v[18:19], v[6:7]
	v_add_nc_u64_e32 v[12:13], v[12:13], v[16:17]
	s_delay_alu instid0(VALU_DEP_1) | instskip(NEXT) | instid1(VALU_DEP_1)
	v_max_i64 v[12:13], v[12:13], v[8:9]
	v_add_nc_u64_e32 v[22:23], v[14:15], v[12:13]
	s_delay_alu instid0(VALU_DEP_1) | instskip(NEXT) | instid1(VALU_DEP_1)
	v_dual_mov_b32 v15, 0 :: v_dual_bitop2_b32 v14, 24, v22 bitop3:0x40
	v_dual_mov_b32 v12, v15 :: v_dual_mov_b32 v13, v15
	s_delay_alu instid0(VALU_DEP_2)
	v_cmp_ne_u64_e32 vcc_lo, 24, v[14:15]
	v_mov_b32_e32 v14, v15
	s_and_saveexec_b32 s6, vcc_lo
	s_cbranch_execz .LBB101_21
; %bb.18:
	v_dual_mov_b32 v13, 0 :: v_dual_lshrrev_b32 v12, 3, v22
	v_mov_b64_e32 v[20:21], v[10:11]
	v_mov_b64_e32 v[18:19], v[6:7]
	v_lshl_add_u64 v[24:25], v[6:7], 3, s[8:9]
	s_delay_alu instid0(VALU_DEP_4) | instskip(SKIP_1) | instid1(VALU_DEP_1)
	v_dual_mov_b32 v15, v13 :: v_dual_add_nc_u32 v12, 1, v12
	s_mov_b32 s7, 0
	v_dual_mov_b32 v14, v13 :: v_dual_bitop2_b32 v12, 3, v12 bitop3:0x40
	s_delay_alu instid0(VALU_DEP_1)
	v_sub_nc_u64_e32 v[26:27], 0, v[12:13]
	v_mov_b32_e32 v12, v13
.LBB101_19:                             ; =>This Inner Loop Header: Depth=1
	global_load_b64 v[32:33], v[24:25], off
	global_load_b128 v[28:31], v[20:21], off
	v_add_nc_u64_e32 v[26:27], 1, v[26:27]
	v_add_nc_u64_e32 v[18:19], 8, v[18:19]
	s_wait_xcnt 0x1
	v_add_nc_u64_e32 v[24:25], 64, v[24:25]
	s_delay_alu instid0(VALU_DEP_3)
	v_cmp_eq_u64_e32 vcc_lo, 0, v[26:27]
	s_or_b32 s7, vcc_lo, s7
	s_wait_loadcnt 0x1
	v_sub_nc_u64_e32 v[32:33], v[32:33], v[4:5]
	s_wait_loadcnt 0x0
	v_dual_lshrrev_b32 v40, 16, v28 :: v_dual_lshrrev_b32 v45, 16, v29
	v_dual_lshrrev_b32 v41, 16, v30 :: v_dual_lshrrev_b32 v42, 16, v31
	v_cvt_f32_f16_e32 v31, v31
	s_wait_kmcnt 0x0
	s_delay_alu instid0(VALU_DEP_4)
	v_lshl_add_u64 v[36:37], v[32:33], 3, s[4:5]
	global_load_b128 v[32:35], v[20:21], off offset:16
	global_load_b64 v[38:39], v[36:37], off
	s_wait_xcnt 0x0
	v_cvt_f32_f16_e32 v36, v28
	v_cvt_f32_f16_e32 v37, v30
	v_cvt_f32_f16_e32 v30, v29
	v_add_nc_u64_e32 v[20:21], 0x100, v[20:21]
	s_wait_loadcnt 0x1
	v_dual_lshrrev_b32 v44, 16, v32 :: v_dual_lshrrev_b32 v46, 16, v33
	v_dual_lshrrev_b32 v43, 16, v34 :: v_dual_lshrrev_b32 v47, 16, v35
	v_cvt_f32_f16_e32 v28, v32
	v_cvt_f32_f16_e32 v29, v34
	;; [unrolled: 1-line block ×3, first 2 shown]
	s_wait_loadcnt 0x0
	v_lshrrev_b32_e32 v40, 16, v38
	v_cvt_f32_f16_e32 v38, v38
	v_cvt_f32_f16_e32 v34, v33
	;; [unrolled: 1-line block ×6, first 2 shown]
	v_pk_fma_f32 v[14:15], v[36:37], v[38:39], v[14:15] op_sel_hi:[1,0,1]
	v_pk_fma_f32 v[12:13], v[28:29], v[38:39], v[12:13] op_sel_hi:[1,0,1]
	v_lshrrev_b32_e32 v29, 16, v39
	v_cvt_f32_f16_e32 v44, v40
	v_cvt_f32_f16_e32 v35, v35
	;; [unrolled: 1-line block ×5, first 2 shown]
	v_pk_fma_f32 v[14:15], v[32:33], v[44:45], v[14:15] op_sel_hi:[1,0,1]
	v_pk_fma_f32 v[12:13], v[42:43], v[44:45], v[12:13] op_sel_hi:[1,0,1]
	v_cvt_f32_f16_e32 v33, v47
	v_cvt_f32_f16_e32 v32, v46
	s_delay_alu instid0(VALU_DEP_4) | instskip(NEXT) | instid1(VALU_DEP_4)
	v_pk_fma_f32 v[14:15], v[30:31], v[28:29], v[14:15] op_sel_hi:[1,0,1]
	v_pk_fma_f32 v[12:13], v[34:35], v[28:29], v[12:13] op_sel_hi:[1,0,1]
	s_delay_alu instid0(VALU_DEP_2) | instskip(NEXT) | instid1(VALU_DEP_2)
	v_pk_fma_f32 v[14:15], v[40:41], v[36:37], v[14:15] op_sel_hi:[1,0,1]
	v_pk_fma_f32 v[12:13], v[32:33], v[36:37], v[12:13] op_sel_hi:[1,0,1]
	s_and_not1_b32 exec_lo, exec_lo, s7
	s_cbranch_execnz .LBB101_19
; %bb.20:
	s_or_b32 exec_lo, exec_lo, s7
.LBB101_21:
	s_delay_alu instid0(SALU_CYCLE_1) | instskip(NEXT) | instid1(SALU_CYCLE_1)
	s_or_b32 exec_lo, exec_lo, s6
	s_mov_b32 s6, exec_lo
	v_cmpx_lt_u64_e32 23, v[22:23]
	s_cbranch_execz .LBB101_25
; %bb.22:
	v_lshl_add_u64 v[22:23], v[18:19], 3, s[8:9]
	s_mov_b32 s7, 0
	s_delay_alu instid0(VALU_DEP_1)
	v_add_nc_u64_e32 v[22:23], 0x80, v[22:23]
.LBB101_23:                             ; =>This Inner Loop Header: Depth=1
	s_clause 0x2
	global_load_b128 v[24:27], v[20:21], off
	global_load_b128 v[28:31], v[20:21], off offset:16
	global_load_b128 v[32:35], v[20:21], off offset:256
	s_clause 0x3
	global_load_b64 v[44:45], v[22:23], off offset:-128
	global_load_b64 v[46:47], v[22:23], off offset:-64
	global_load_b64 v[48:49], v[22:23], off
	global_load_b64 v[50:51], v[22:23], off offset:64
	s_clause 0x1
	global_load_b128 v[36:39], v[20:21], off offset:512
	global_load_b128 v[40:43], v[20:21], off offset:272
	v_add_nc_u64_e32 v[18:19], 32, v[18:19]
	s_wait_xcnt 0x2
	v_add_nc_u64_e32 v[22:23], 0x100, v[22:23]
	s_delay_alu instid0(VALU_DEP_2)
	v_cmp_ge_i64_e32 vcc_lo, v[18:19], v[8:9]
	s_or_b32 s7, vcc_lo, s7
	s_wait_loadcnt 0x8
	v_dual_lshrrev_b32 v64, 16, v24 :: v_dual_lshrrev_b32 v65, 16, v25
	s_wait_loadcnt 0x7
	v_dual_lshrrev_b32 v68, 16, v28 :: v_dual_lshrrev_b32 v69, 16, v29
	v_dual_lshrrev_b32 v70, 16, v30 :: v_dual_lshrrev_b32 v71, 16, v31
	v_cvt_f32_f16_e32 v56, v28
	v_cvt_f32_f16_e32 v57, v30
	s_wait_loadcnt 0x6
	v_cvt_f32_f16_e32 v28, v32
	v_dual_lshrrev_b32 v72, 16, v32 :: v_dual_lshrrev_b32 v73, 16, v34
	v_cvt_f32_f16_e32 v30, v33
	v_dual_lshrrev_b32 v74, 16, v33 :: v_dual_lshrrev_b32 v75, 16, v35
	s_wait_loadcnt 0x5
	v_sub_nc_u64_e32 v[32:33], v[44:45], v[4:5]
	v_cvt_f32_f16_e32 v59, v31
	v_cvt_f32_f16_e32 v58, v29
	;; [unrolled: 1-line block ×4, first 2 shown]
	s_wait_loadcnt 0x4
	v_sub_nc_u64_e32 v[34:35], v[46:47], v[4:5]
	s_wait_loadcnt 0x3
	v_sub_nc_u64_e32 v[44:45], v[48:49], v[4:5]
	s_wait_loadcnt 0x2
	v_sub_nc_u64_e32 v[46:47], v[50:51], v[4:5]
	s_wait_kmcnt 0x0
	v_lshl_add_u64 v[32:33], v[32:33], 3, s[4:5]
	v_dual_lshrrev_b32 v66, 16, v26 :: v_dual_lshrrev_b32 v67, 16, v27
	v_cvt_f32_f16_e32 v52, v24
	v_lshl_add_u64 v[34:35], v[34:35], 3, s[4:5]
	v_lshl_add_u64 v[44:45], v[44:45], 3, s[4:5]
	;; [unrolled: 1-line block ×3, first 2 shown]
	v_cvt_f32_f16_e32 v53, v26
	v_cvt_f32_f16_e32 v55, v27
	;; [unrolled: 1-line block ×3, first 2 shown]
	global_load_b128 v[24:27], v[20:21], off offset:528
	s_clause 0x3
	global_load_b64 v[48:49], v[32:33], off
	global_load_b64 v[50:51], v[34:35], off
	;; [unrolled: 1-line block ×4, first 2 shown]
	s_wait_loadcnt 0x6
	s_wait_xcnt 0x2
	v_cvt_f32_f16_e32 v35, v39
	v_cvt_f32_f16_e32 v34, v37
	s_wait_loadcnt 0x3
	v_cvt_f32_f16_e32 v32, v48
	s_wait_xcnt 0x1
	v_lshrrev_b32_e32 v44, 16, v48
	s_wait_loadcnt 0x2
	v_cvt_f32_f16_e32 v48, v50
	v_pk_fma_f32 v[14:15], v[52:53], v[32:33], v[14:15] op_sel_hi:[1,0,1]
	v_dual_lshrrev_b32 v52, 16, v37 :: v_dual_lshrrev_b32 v53, 16, v38
	v_pk_fma_f32 v[12:13], v[56:57], v[32:33], v[12:13] op_sel_hi:[1,0,1]
	v_cvt_f32_f16_e32 v33, v38
	v_cvt_f32_f16_e32 v32, v36
	v_dual_lshrrev_b32 v56, 16, v39 :: v_dual_lshrrev_b32 v57, 16, v36
	v_cvt_f32_f16_e32 v37, v66
	v_cvt_f32_f16_e32 v36, v64
	;; [unrolled: 1-line block ×4, first 2 shown]
	v_lshrrev_b32_e32 v66, 16, v42
	v_cvt_f32_f16_e32 v44, v44
	v_dual_lshrrev_b32 v64, 16, v40 :: v_dual_lshrrev_b32 v68, 16, v41
	v_lshrrev_b32_e32 v70, 16, v43
	s_delay_alu instid0(VALU_DEP_3)
	v_pk_fma_f32 v[14:15], v[36:37], v[44:45], v[14:15] op_sel_hi:[1,0,1]
	v_cvt_f32_f16_e32 v36, v40
	v_pk_fma_f32 v[12:13], v[38:39], v[44:45], v[12:13] op_sel_hi:[1,0,1]
	v_cvt_f32_f16_e32 v40, v49
	v_cvt_f32_f16_e32 v39, v43
	;; [unrolled: 1-line block ×5, first 2 shown]
	v_pk_fma_f32 v[14:15], v[54:55], v[40:41], v[14:15] op_sel_hi:[1,0,1]
	v_lshrrev_b32_e32 v55, 16, v26
	v_pk_fma_f32 v[40:41], v[58:59], v[40:41], v[12:13] op_sel_hi:[1,0,1]
	v_dual_lshrrev_b32 v59, 16, v24 :: v_dual_lshrrev_b32 v26, 16, v49
	v_cvt_f32_f16_e32 v13, v67
	v_cvt_f32_f16_e32 v12, v65
	v_lshrrev_b32_e32 v54, 16, v25
	v_cvt_f32_f16_e32 v42, v24
	v_cvt_f32_f16_e32 v26, v26
	;; [unrolled: 1-line block ×6, first 2 shown]
	s_wait_xcnt 0x0
	v_pk_fma_f32 v[46:47], v[12:13], v[26:27], v[14:15] op_sel_hi:[1,0,1]
	global_load_b128 v[12:15], v[20:21], off offset:768
	v_lshrrev_b32_e32 v58, 16, v27
	v_pk_fma_f32 v[40:41], v[24:25], v[26:27], v[40:41] op_sel_hi:[1,0,1]
	global_load_b128 v[24:27], v[20:21], off offset:784
	v_pk_fma_f32 v[28:29], v[28:29], v[48:49], v[46:47] op_sel_hi:[1,0,1]
	s_wait_xcnt 0x0
	v_add_nc_u64_e32 v[20:21], 0x400, v[20:21]
	v_pk_fma_f32 v[36:37], v[36:37], v[48:49], v[40:41] op_sel_hi:[1,0,1]
	v_cvt_f32_f16_e32 v49, v53
	v_cvt_f32_f16_e32 v48, v57
	s_wait_loadcnt 0x1
	v_cvt_f32_f16_e32 v41, v14
	v_dual_lshrrev_b32 v65, 16, v12 :: v_dual_lshrrev_b32 v67, 16, v14
	v_lshrrev_b32_e32 v14, 16, v50
	v_cvt_f32_f16_e32 v40, v12
	v_cvt_f32_f16_e32 v46, v13
	v_dual_lshrrev_b32 v69, 16, v13 :: v_dual_lshrrev_b32 v71, 16, v15
	v_cvt_f32_f16_e32 v13, v73
	v_cvt_f32_f16_e32 v12, v72
	;; [unrolled: 1-line block ×4, first 2 shown]
	s_wait_loadcnt 0x0
	v_dual_lshrrev_b32 v72, 16, v25 :: v_dual_lshrrev_b32 v73, 16, v27
	v_cvt_f32_f16_e32 v50, v52
	v_pk_fma_f32 v[12:13], v[12:13], v[14:15], v[28:29] op_sel_hi:[1,0,1]
	v_cvt_f32_f16_e32 v29, v66
	v_cvt_f32_f16_e32 v28, v64
	v_dual_lshrrev_b32 v64, 16, v24 :: v_dual_lshrrev_b32 v66, 16, v26
	s_delay_alu instid0(VALU_DEP_2)
	v_pk_fma_f32 v[14:15], v[28:29], v[14:15], v[36:37] op_sel_hi:[1,0,1]
	v_cvt_f32_f16_e32 v28, v24
	v_cvt_f32_f16_e32 v24, v51
	;; [unrolled: 1-line block ×6, first 2 shown]
	v_pk_fma_f32 v[12:13], v[30:31], v[24:25], v[12:13] op_sel_hi:[1,0,1]
	v_lshrrev_b32_e32 v25, 16, v51
	v_cvt_f32_f16_e32 v26, v74
	v_cvt_f32_f16_e32 v31, v70
	;; [unrolled: 1-line block ×5, first 2 shown]
	v_pk_fma_f32 v[14:15], v[38:39], v[24:25], v[14:15] op_sel_hi:[1,0,1]
	v_cvt_f32_f16_e32 v38, v60
	v_lshrrev_b32_e32 v25, 16, v60
	v_cvt_f32_f16_e32 v24, v54
	v_pk_fma_f32 v[12:13], v[26:27], v[52:53], v[12:13] op_sel_hi:[1,0,1]
	v_pk_fma_f32 v[14:15], v[30:31], v[52:53], v[14:15] op_sel_hi:[1,0,1]
	v_cvt_f32_f16_e32 v27, v55
	v_cvt_f32_f16_e32 v26, v59
	;; [unrolled: 1-line block ×3, first 2 shown]
	v_pk_fma_f32 v[12:13], v[32:33], v[38:39], v[12:13] op_sel_hi:[1,0,1]
	v_pk_fma_f32 v[14:15], v[42:43], v[38:39], v[14:15] op_sel_hi:[1,0,1]
	v_lshrrev_b32_e32 v31, 16, v61
	v_cvt_f32_f16_e32 v32, v61
	v_cvt_f32_f16_e32 v25, v58
	s_delay_alu instid0(VALU_DEP_3)
	v_pk_fma_f32 v[12:13], v[48:49], v[30:31], v[12:13] op_sel_hi:[1,0,1]
	v_pk_fma_f32 v[14:15], v[26:27], v[30:31], v[14:15] op_sel_hi:[1,0,1]
	v_cvt_f32_f16_e32 v30, v31
	v_cvt_f32_f16_e32 v31, v71
	v_cvt_f32_f16_e32 v27, v67
	v_pk_fma_f32 v[12:13], v[34:35], v[32:33], v[12:13] op_sel_hi:[1,0,1]
	v_pk_fma_f32 v[14:15], v[44:45], v[32:33], v[14:15] op_sel_hi:[1,0,1]
	v_lshrrev_b32_e32 v33, 16, v62
	v_cvt_f32_f16_e32 v32, v62
	v_cvt_f32_f16_e32 v26, v65
	v_pk_fma_f32 v[12:13], v[50:51], v[30:31], v[12:13] op_sel_hi:[1,0,1]
	v_pk_fma_f32 v[14:15], v[24:25], v[30:31], v[14:15] op_sel_hi:[1,0,1]
	v_cvt_f32_f16_e32 v25, v66
	v_cvt_f32_f16_e32 v24, v64
	;; [unrolled: 1-line block ×3, first 2 shown]
	s_delay_alu instid0(VALU_DEP_4) | instskip(SKIP_4) | instid1(VALU_DEP_3)
	v_pk_fma_f32 v[14:15], v[28:29], v[32:33], v[14:15] op_sel_hi:[1,0,1]
	v_lshrrev_b32_e32 v29, 16, v63
	v_cvt_f32_f16_e32 v34, v33
	v_pk_fma_f32 v[12:13], v[40:41], v[32:33], v[12:13] op_sel_hi:[1,0,1]
	v_cvt_f32_f16_e32 v28, v63
	v_pk_fma_f32 v[14:15], v[24:25], v[34:35], v[14:15] op_sel_hi:[1,0,1]
	s_delay_alu instid0(VALU_DEP_3) | instskip(SKIP_3) | instid1(VALU_DEP_4)
	v_pk_fma_f32 v[12:13], v[26:27], v[34:35], v[12:13] op_sel_hi:[1,0,1]
	v_cvt_f32_f16_e32 v25, v73
	v_cvt_f32_f16_e32 v24, v72
	;; [unrolled: 1-line block ×3, first 2 shown]
	v_pk_fma_f32 v[12:13], v[46:47], v[28:29], v[12:13] op_sel_hi:[1,0,1]
	v_pk_fma_f32 v[28:29], v[36:37], v[28:29], v[14:15] op_sel_hi:[1,0,1]
	s_delay_alu instid0(VALU_DEP_2) | instskip(NEXT) | instid1(VALU_DEP_2)
	v_pk_fma_f32 v[14:15], v[30:31], v[26:27], v[12:13] op_sel_hi:[1,0,1]
	v_pk_fma_f32 v[12:13], v[24:25], v[26:27], v[28:29] op_sel_hi:[1,0,1]
	s_and_not1_b32 exec_lo, exec_lo, s7
	s_cbranch_execnz .LBB101_23
; %bb.24:
	s_or_b32 exec_lo, exec_lo, s7
.LBB101_25:
	s_delay_alu instid0(SALU_CYCLE_1)
	s_or_b32 exec_lo, exec_lo, s6
.LBB101_26:
	s_delay_alu instid0(SALU_CYCLE_1)
	s_or_b32 exec_lo, exec_lo, s3
	s_cbranch_execz .LBB101_28
	s_branch .LBB101_39
.LBB101_27:
                                        ; implicit-def: $vgpr13
                                        ; implicit-def: $vgpr15
.LBB101_28:
	v_dual_mov_b32 v13, 0 :: v_dual_mov_b32 v12, 0
	v_dual_mov_b32 v15, 0 :: v_dual_mov_b32 v14, 0
	s_and_saveexec_b32 s3, s2
	s_cbranch_execz .LBB101_38
; %bb.29:
	v_dual_mov_b32 v13, v1 :: v_dual_bitop2_b32 v12, 8, v0 bitop3:0x54
	v_sub_nc_u64_e32 v[14:15], v[4:5], v[0:1]
	s_delay_alu instid0(VALU_DEP_2) | instskip(NEXT) | instid1(VALU_DEP_1)
	v_sub_nc_u64_e32 v[12:13], v[12:13], v[4:5]
	v_add_nc_u64_e32 v[12:13], v[12:13], v[16:17]
	v_not_b32_e32 v17, v17
	v_not_b32_e32 v16, v16
	s_delay_alu instid0(VALU_DEP_1) | instskip(NEXT) | instid1(VALU_DEP_4)
	v_add_nc_u64_e32 v[14:15], v[14:15], v[16:17]
	v_max_i64 v[12:13], v[12:13], v[8:9]
	s_delay_alu instid0(VALU_DEP_1) | instskip(NEXT) | instid1(VALU_DEP_1)
	v_add_nc_u64_e32 v[16:17], v[14:15], v[12:13]
	v_dual_mov_b32 v15, 0 :: v_dual_bitop2_b32 v14, 24, v16 bitop3:0x40
	s_delay_alu instid0(VALU_DEP_1) | instskip(NEXT) | instid1(VALU_DEP_2)
	v_dual_mov_b32 v13, v15 :: v_dual_mov_b32 v12, v15
	v_cmp_ne_u64_e32 vcc_lo, 24, v[14:15]
	v_mov_b32_e32 v14, v15
	s_and_saveexec_b32 s2, vcc_lo
	s_cbranch_execz .LBB101_33
; %bb.30:
	v_dual_lshrrev_b32 v1, 3, v16 :: v_dual_mov_b32 v13, 0
	v_lshl_add_u64 v[18:19], v[6:7], 3, s[8:9]
	s_mov_b32 s6, 0
	s_delay_alu instid0(VALU_DEP_2) | instskip(NEXT) | instid1(VALU_DEP_1)
	v_dual_mov_b32 v14, v13 :: v_dual_add_nc_u32 v1, 1, v1
	v_dual_mov_b32 v15, v13 :: v_dual_bitop2_b32 v12, 3, v1 bitop3:0x40
	s_delay_alu instid0(VALU_DEP_1)
	v_sub_nc_u64_e32 v[20:21], 0, v[12:13]
	v_mov_b32_e32 v12, v13
.LBB101_31:                             ; =>This Inner Loop Header: Depth=1
	global_load_b64 v[26:27], v[18:19], off
	global_load_b128 v[22:25], v[10:11], off
	v_add_nc_u64_e32 v[20:21], 1, v[20:21]
	v_add_nc_u64_e32 v[6:7], 8, v[6:7]
	s_wait_xcnt 0x1
	v_add_nc_u64_e32 v[18:19], 64, v[18:19]
	s_delay_alu instid0(VALU_DEP_3)
	v_cmp_eq_u64_e32 vcc_lo, 0, v[20:21]
	s_or_b32 s6, vcc_lo, s6
	s_wait_loadcnt 0x1
	v_sub_nc_u64_e32 v[26:27], v[26:27], v[4:5]
	s_wait_loadcnt 0x0
	v_lshrrev_b32_e32 v1, 16, v22
	v_cvt_f32_f16_e32 v22, v22
	v_cvt_f32_f16_e32 v34, v25
	v_lshrrev_b32_e32 v40, 16, v25
	s_wait_kmcnt 0x0
	v_lshl_add_u64 v[30:31], v[26:27], 3, s[4:5]
	global_load_b64 v[32:33], v[30:31], off
	global_load_b128 v[26:29], v[10:11], off offset:16
	s_wait_xcnt 0x1
	v_lshrrev_b32_e32 v31, 16, v23
	v_cvt_f32_f16_e32 v30, v23
	v_lshrrev_b32_e32 v35, 16, v24
	v_cvt_f32_f16_e32 v23, v1
	v_cvt_f32_f16_e32 v24, v24
	;; [unrolled: 1-line block ×3, first 2 shown]
	s_wait_xcnt 0x0
	v_add_nc_u64_e32 v[10:11], 0x100, v[10:11]
	s_wait_loadcnt 0x1
	v_lshrrev_b32_e32 v1, 16, v32
	s_wait_loadcnt 0x0
	v_lshrrev_b32_e32 v39, 16, v28
	v_cvt_f32_f16_e32 v32, v32
	v_dual_lshrrev_b32 v37, 16, v26 :: v_dual_lshrrev_b32 v41, 16, v27
	v_lshrrev_b32_e32 v42, 16, v29
	v_cvt_f32_f16_e32 v25, v35
	v_cvt_f32_f16_e32 v35, v40
	;; [unrolled: 1-line block ×3, first 2 shown]
	v_pk_fma_f32 v[14:15], v[22:23], v[32:33], v[14:15] op_sel_hi:[1,0,1]
	v_pk_fma_f32 v[12:13], v[30:31], v[32:33], v[12:13] op_sel_hi:[1,0,1]
	v_cvt_f32_f16_e32 v26, v26
	v_cvt_f32_f16_e32 v36, v27
	;; [unrolled: 1-line block ×4, first 2 shown]
	v_lshrrev_b32_e32 v1, 16, v33
	v_cvt_f32_f16_e32 v22, v33
	v_pk_fma_f32 v[14:15], v[24:25], v[40:41], v[14:15] op_sel_hi:[1,0,1]
	v_pk_fma_f32 v[12:13], v[34:35], v[40:41], v[12:13] op_sel_hi:[1,0,1]
	v_cvt_f32_f16_e32 v28, v28
	v_cvt_f32_f16_e32 v38, v29
	;; [unrolled: 1-line block ×5, first 2 shown]
	v_pk_fma_f32 v[14:15], v[26:27], v[22:23], v[14:15] op_sel_hi:[1,0,1]
	v_pk_fma_f32 v[12:13], v[36:37], v[22:23], v[12:13] op_sel_hi:[1,0,1]
	s_delay_alu instid0(VALU_DEP_2) | instskip(NEXT) | instid1(VALU_DEP_2)
	v_pk_fma_f32 v[14:15], v[28:29], v[24:25], v[14:15] op_sel_hi:[1,0,1]
	v_pk_fma_f32 v[12:13], v[38:39], v[24:25], v[12:13] op_sel_hi:[1,0,1]
	s_and_not1_b32 exec_lo, exec_lo, s6
	s_cbranch_execnz .LBB101_31
; %bb.32:
	s_or_b32 exec_lo, exec_lo, s6
.LBB101_33:
	s_delay_alu instid0(SALU_CYCLE_1) | instskip(NEXT) | instid1(SALU_CYCLE_1)
	s_or_b32 exec_lo, exec_lo, s2
	s_mov_b32 s2, exec_lo
	v_cmpx_lt_u64_e32 23, v[16:17]
	s_cbranch_execz .LBB101_37
; %bb.34:
	v_lshl_add_u64 v[16:17], v[6:7], 3, s[8:9]
	s_mov_b32 s6, 0
	s_delay_alu instid0(VALU_DEP_1)
	v_add_nc_u64_e32 v[16:17], 0x80, v[16:17]
.LBB101_35:                             ; =>This Inner Loop Header: Depth=1
	s_clause 0x3
	global_load_b64 v[46:47], v[16:17], off offset:-128
	global_load_b64 v[48:49], v[16:17], off offset:-64
	global_load_b64 v[50:51], v[16:17], off
	global_load_b64 v[52:53], v[16:17], off offset:64
	s_clause 0x6
	global_load_b128 v[18:21], v[10:11], off
	global_load_b128 v[22:25], v[10:11], off offset:16
	global_load_b128 v[26:29], v[10:11], off offset:256
	;; [unrolled: 1-line block ×6, first 2 shown]
	v_add_nc_u64_e32 v[6:7], 32, v[6:7]
	s_wait_xcnt 0x7
	v_add_nc_u64_e32 v[16:17], 0x100, v[16:17]
	s_delay_alu instid0(VALU_DEP_2)
	v_cmp_ge_i64_e32 vcc_lo, v[6:7], v[8:9]
	s_or_b32 s6, vcc_lo, s6
	s_wait_loadcnt 0xa
	v_sub_nc_u64_e32 v[46:47], v[46:47], v[4:5]
	s_wait_loadcnt 0x9
	v_sub_nc_u64_e32 v[48:49], v[48:49], v[4:5]
	s_wait_loadcnt 0x8
	v_sub_nc_u64_e32 v[50:51], v[50:51], v[4:5]
	s_wait_loadcnt 0x7
	v_sub_nc_u64_e32 v[52:53], v[52:53], v[4:5]
	s_wait_loadcnt 0x6
	v_lshrrev_b32_e32 v1, 16, v18
	s_wait_kmcnt 0x0
	v_lshl_add_u64 v[54:55], v[46:47], 3, s[4:5]
	v_lshl_add_u64 v[56:57], v[48:49], 3, s[4:5]
	;; [unrolled: 1-line block ×4, first 2 shown]
	s_clause 0x3
	global_load_b64 v[58:59], v[54:55], off
	global_load_b64 v[60:61], v[56:57], off
	;; [unrolled: 1-line block ×4, first 2 shown]
	global_load_b128 v[46:49], v[10:11], off offset:784
	s_wait_xcnt 0x2
	v_cvt_f32_f16_e32 v50, v18
	s_wait_xcnt 0x1
	v_lshrrev_b32_e32 v52, 16, v19
	v_cvt_f32_f16_e32 v51, v1
	s_wait_loadcnt 0x7
	v_dual_lshrrev_b32 v1, 16, v20 :: v_dual_lshrrev_b32 v54, 16, v35
	v_lshrrev_b32_e32 v55, 16, v37
	s_wait_xcnt 0x0
	v_add_nc_u64_e32 v[10:11], 0x400, v[10:11]
	v_lshrrev_b32_e32 v53, 16, v36
	s_wait_loadcnt 0x4
	v_cvt_f32_f16_e32 v18, v58
	s_wait_loadcnt 0x0
	v_dual_lshrrev_b32 v56, 16, v47 :: v_dual_lshrrev_b32 v57, 16, v49
	s_delay_alu instid0(VALU_DEP_2) | instskip(SKIP_3) | instid1(VALU_DEP_2)
	v_pk_fma_f32 v[14:15], v[50:51], v[18:19], v[14:15] op_sel_hi:[1,0,1]
	v_cvt_f32_f16_e32 v50, v19
	v_cvt_f32_f16_e32 v51, v52
	v_lshrrev_b32_e32 v52, 16, v21
	v_pk_fma_f32 v[12:13], v[50:51], v[18:19], v[12:13] op_sel_hi:[1,0,1]
	v_lshrrev_b32_e32 v51, 16, v22
	v_cvt_f32_f16_e32 v19, v1
	v_lshrrev_b32_e32 v1, 16, v58
	v_cvt_f32_f16_e32 v18, v20
	v_cvt_f32_f16_e32 v20, v21
	;; [unrolled: 1-line block ×5, first 2 shown]
	v_dual_lshrrev_b32 v1, 16, v24 :: v_dual_lshrrev_b32 v52, 16, v34
	s_delay_alu instid0(VALU_DEP_2)
	v_pk_fma_f32 v[14:15], v[18:19], v[50:51], v[14:15] op_sel_hi:[1,0,1]
	v_lshrrev_b32_e32 v19, 16, v23
	v_pk_fma_f32 v[12:13], v[20:21], v[50:51], v[12:13] op_sel_hi:[1,0,1]
	v_cvt_f32_f16_e32 v18, v24
	v_cvt_f32_f16_e32 v20, v23
	;; [unrolled: 1-line block ×5, first 2 shown]
	v_lshrrev_b32_e32 v51, 16, v30
	v_cvt_f32_f16_e32 v19, v1
	v_lshrrev_b32_e32 v1, 16, v32
	v_pk_fma_f32 v[14:15], v[22:23], v[24:25], v[14:15] op_sel_hi:[1,0,1]
	v_lshrrev_b32_e32 v23, 16, v25
	v_pk_fma_f32 v[12:13], v[20:21], v[24:25], v[12:13] op_sel_hi:[1,0,1]
	v_cvt_f32_f16_e32 v24, v25
	v_dual_lshrrev_b32 v50, 16, v26 :: v_dual_lshrrev_b32 v21, 16, v28
	s_delay_alu instid0(VALU_DEP_4)
	v_cvt_f32_f16_e32 v25, v23
	v_lshrrev_b32_e32 v23, 16, v59
	v_cvt_f32_f16_e32 v20, v28
	v_cvt_f32_f16_e32 v22, v26
	;; [unrolled: 1-line block ×8, first 2 shown]
	s_delay_alu instid0(VALU_DEP_4)
	v_pk_fma_f32 v[14:15], v[18:19], v[28:29], v[14:15] op_sel_hi:[1,0,1]
	v_lshrrev_b32_e32 v19, 16, v27
	v_pk_fma_f32 v[12:13], v[24:25], v[28:29], v[12:13] op_sel_hi:[1,0,1]
	v_cvt_f32_f16_e32 v24, v27
	v_lshrrev_b32_e32 v27, 16, v29
	v_cvt_f32_f16_e32 v18, v32
	v_cvt_f32_f16_e32 v25, v19
	v_pk_fma_f32 v[14:15], v[22:23], v[30:31], v[14:15] op_sel_hi:[1,0,1]
	v_cvt_f32_f16_e32 v28, v29
	v_dual_lshrrev_b32 v19, 16, v31 :: v_dual_lshrrev_b32 v23, 16, v33
	s_delay_alu instid0(VALU_DEP_4)
	v_pk_fma_f32 v[12:13], v[24:25], v[30:31], v[12:13] op_sel_hi:[1,0,1]
	v_lshrrev_b32_e32 v25, 16, v60
	v_cvt_f32_f16_e32 v30, v33
	v_cvt_f32_f16_e32 v29, v27
	v_cvt_f32_f16_e32 v24, v31
	v_cvt_f32_f16_e32 v27, v51
	v_cvt_f32_f16_e32 v32, v25
	v_cvt_f32_f16_e32 v25, v19
	v_cvt_f32_f16_e32 v19, v1
	v_lshrrev_b32_e32 v1, 16, v44
	v_cvt_f32_f16_e32 v31, v23
	v_pk_fma_f32 v[14:15], v[20:21], v[32:33], v[14:15] op_sel_hi:[1,0,1]
	v_lshrrev_b32_e32 v33, 16, v38
	v_cvt_f32_f16_e32 v20, v36
	v_cvt_f32_f16_e32 v36, v61
	v_lshrrev_b32_e32 v21, 16, v61
	v_cvt_f32_f16_e32 v22, v34
	v_pk_fma_f32 v[12:13], v[28:29], v[32:33], v[12:13] op_sel_hi:[1,0,1]
	v_cvt_f32_f16_e32 v32, v37
	v_lshrrev_b32_e32 v37, 16, v39
	v_cvt_f32_f16_e32 v28, v35
	v_lshrrev_b32_e32 v51, 16, v45
	v_cvt_f32_f16_e32 v23, v52
	v_cvt_f32_f16_e32 v29, v54
	v_pk_fma_f32 v[12:13], v[24:25], v[36:37], v[12:13] op_sel_hi:[1,0,1]
	v_lshrrev_b32_e32 v25, 16, v40
	v_pk_fma_f32 v[14:15], v[26:27], v[36:37], v[14:15] op_sel_hi:[1,0,1]
	v_cvt_f32_f16_e32 v26, v39
	v_cvt_f32_f16_e32 v24, v40
	v_lshrrev_b32_e32 v39, 16, v41
	v_cvt_f32_f16_e32 v36, v41
	v_lshrrev_b32_e32 v41, 16, v42
	v_cvt_f32_f16_e32 v40, v21
	v_cvt_f32_f16_e32 v21, v53
	;; [unrolled: 1-line block ×5, first 2 shown]
	v_pk_fma_f32 v[14:15], v[18:19], v[40:41], v[14:15] op_sel_hi:[1,0,1]
	v_pk_fma_f32 v[12:13], v[30:31], v[40:41], v[12:13] op_sel_hi:[1,0,1]
	v_dual_lshrrev_b32 v31, 16, v43 :: v_dual_lshrrev_b32 v19, 16, v62
	v_cvt_f32_f16_e32 v27, v37
	s_delay_alu instid0(VALU_DEP_4) | instskip(NEXT) | instid1(VALU_DEP_4)
	v_pk_fma_f32 v[14:15], v[22:23], v[50:51], v[14:15] op_sel_hi:[1,0,1]
	v_pk_fma_f32 v[12:13], v[28:29], v[50:51], v[12:13] op_sel_hi:[1,0,1]
	v_lshrrev_b32_e32 v23, 16, v63
	v_cvt_f32_f16_e32 v22, v19
	v_cvt_f32_f16_e32 v28, v63
	;; [unrolled: 1-line block ×5, first 2 shown]
	v_pk_fma_f32 v[14:15], v[20:21], v[22:23], v[14:15] op_sel_hi:[1,0,1]
	v_pk_fma_f32 v[12:13], v[32:33], v[22:23], v[12:13] op_sel_hi:[1,0,1]
	v_cvt_f32_f16_e32 v20, v23
	v_cvt_f32_f16_e32 v30, v43
	;; [unrolled: 1-line block ×3, first 2 shown]
	v_pk_fma_f32 v[14:15], v[34:35], v[28:29], v[14:15] op_sel_hi:[1,0,1]
	v_pk_fma_f32 v[12:13], v[26:27], v[28:29], v[12:13] op_sel_hi:[1,0,1]
	v_cvt_f32_f16_e32 v19, v1
	v_cvt_f32_f16_e32 v31, v31
	v_lshrrev_b32_e32 v1, 16, v64
	v_cvt_f32_f16_e32 v22, v64
	v_pk_fma_f32 v[14:15], v[24:25], v[20:21], v[14:15] op_sel_hi:[1,0,1]
	v_pk_fma_f32 v[12:13], v[36:37], v[20:21], v[12:13] op_sel_hi:[1,0,1]
	v_cvt_f32_f16_e32 v18, v44
	v_cvt_f32_f16_e32 v40, v45
	v_dual_lshrrev_b32 v43, 16, v46 :: v_dual_lshrrev_b32 v45, 16, v48
	v_cvt_f32_f16_e32 v41, v51
	v_cvt_f32_f16_e32 v20, v1
	v_pk_fma_f32 v[14:15], v[38:39], v[22:23], v[14:15] op_sel_hi:[1,0,1]
	v_pk_fma_f32 v[12:13], v[30:31], v[22:23], v[12:13] op_sel_hi:[1,0,1]
	v_cvt_f32_f16_e32 v42, v46
	v_cvt_f32_f16_e32 v46, v47
	;; [unrolled: 1-line block ×4, first 2 shown]
	v_lshrrev_b32_e32 v1, 16, v65
	v_cvt_f32_f16_e32 v22, v65
	v_pk_fma_f32 v[14:15], v[18:19], v[20:21], v[14:15] op_sel_hi:[1,0,1]
	v_pk_fma_f32 v[12:13], v[40:41], v[20:21], v[12:13] op_sel_hi:[1,0,1]
	v_cvt_f32_f16_e32 v44, v48
	v_cvt_f32_f16_e32 v48, v49
	;; [unrolled: 1-line block ×5, first 2 shown]
	v_pk_fma_f32 v[14:15], v[42:43], v[22:23], v[14:15] op_sel_hi:[1,0,1]
	v_pk_fma_f32 v[12:13], v[46:47], v[22:23], v[12:13] op_sel_hi:[1,0,1]
	s_delay_alu instid0(VALU_DEP_2) | instskip(NEXT) | instid1(VALU_DEP_2)
	v_pk_fma_f32 v[14:15], v[44:45], v[18:19], v[14:15] op_sel_hi:[1,0,1]
	v_pk_fma_f32 v[12:13], v[48:49], v[18:19], v[12:13] op_sel_hi:[1,0,1]
	s_and_not1_b32 exec_lo, exec_lo, s6
	s_cbranch_execnz .LBB101_35
; %bb.36:
	s_or_b32 exec_lo, exec_lo, s6
.LBB101_37:
	s_delay_alu instid0(SALU_CYCLE_1)
	s_or_b32 exec_lo, exec_lo, s2
.LBB101_38:
	s_delay_alu instid0(SALU_CYCLE_1)
	s_or_b32 exec_lo, exec_lo, s3
.LBB101_39:
	v_mbcnt_lo_u32_b32 v1, -1, 0
	s_mov_b32 s2, -1
	s_delay_alu instid0(VALU_DEP_1) | instskip(SKIP_1) | instid1(VALU_DEP_1)
	v_xor_b32_e32 v8, 2, v1
	v_xor_b32_e32 v4, 4, v1
	v_cmp_gt_i32_e32 vcc_lo, 32, v4
	v_cndmask_b32_e32 v4, v1, v4, vcc_lo
	s_delay_alu instid0(VALU_DEP_4) | instskip(NEXT) | instid1(VALU_DEP_2)
	v_cmp_gt_i32_e32 vcc_lo, 32, v8
	v_lshlrev_b32_e32 v7, 2, v4
	v_cndmask_b32_e32 v8, v1, v8, vcc_lo
	ds_bpermute_b32 v4, v7, v14
	ds_bpermute_b32 v5, v7, v15
	;; [unrolled: 1-line block ×4, first 2 shown]
	v_lshlrev_b32_e32 v11, 2, v8
	s_wait_dscnt 0x2
	v_pk_add_f32 v[4:5], v[14:15], v[4:5]
	s_wait_dscnt 0x0
	v_pk_add_f32 v[6:7], v[12:13], v[6:7]
	v_xor_b32_e32 v12, 1, v1
	ds_bpermute_b32 v8, v11, v4
	ds_bpermute_b32 v9, v11, v5
	;; [unrolled: 1-line block ×4, first 2 shown]
	v_cmp_gt_i32_e32 vcc_lo, 32, v12
	v_cndmask_b32_e32 v1, v1, v12, vcc_lo
	v_cmp_eq_u32_e32 vcc_lo, 7, v0
	s_delay_alu instid0(VALU_DEP_2)
	v_lshlrev_b32_e32 v1, 2, v1
	s_wait_dscnt 0x2
	v_pk_add_f32 v[4:5], v[4:5], v[8:9]
	s_wait_dscnt 0x0
	v_pk_add_f32 v[8:9], v[6:7], v[10:11]
	ds_bpermute_b32 v6, v1, v4
	ds_bpermute_b32 v7, v1, v5
	;; [unrolled: 1-line block ×4, first 2 shown]
	s_and_b32 exec_lo, exec_lo, vcc_lo
	s_cbranch_execz .LBB101_10
; %bb.40:
	s_load_b64 s[0:1], s[0:1], 0x58
	s_wait_dscnt 0x2
	v_pk_add_f32 v[6:7], v[4:5], v[6:7]
	s_wait_dscnt 0x0
	v_pk_add_f32 v[4:5], v[8:9], v[10:11]
	s_cmp_eq_f32 s16, 0
	s_wait_kmcnt 0x0
	v_lshl_add_u64 v[0:1], v[2:3], 4, s[0:1]
	s_cbranch_scc0 .LBB101_42
; %bb.41:
	v_pk_mul_f32 v[8:9], s[12:13], v[6:7] op_sel_hi:[0,1]
	v_pk_mul_f32 v[10:11], s[12:13], v[4:5] op_sel_hi:[0,1]
	s_mov_b32 s2, 0
	global_store_b128 v[0:1], v[8:11], off
.LBB101_42:
	s_and_not1_b32 vcc_lo, exec_lo, s2
	s_cbranch_vccnz .LBB101_10
; %bb.43:
	global_load_b128 v[8:11], v[0:1], off
	v_pk_mul_f32 v[2:3], s[12:13], v[6:7] op_sel_hi:[0,1]
	v_pk_mul_f32 v[4:5], s[12:13], v[4:5] op_sel_hi:[0,1]
	s_wait_loadcnt 0x0
	s_delay_alu instid0(VALU_DEP_2) | instskip(NEXT) | instid1(VALU_DEP_2)
	v_pk_fma_f32 v[2:3], s[16:17], v[8:9], v[2:3] op_sel_hi:[0,1,1]
	v_pk_fma_f32 v[4:5], s[16:17], v[10:11], v[4:5] op_sel_hi:[0,1,1]
	global_store_b128 v[0:1], v[2:5], off
	s_sendmsg sendmsg(MSG_DEALLOC_VGPRS)
	s_endpgm
	.section	.rodata,"a",@progbits
	.p2align	6, 0x0
	.amdhsa_kernel _ZN9rocsparseL18bsrxmvn_4x4_kernelILj128ELj8EfllDF16_DF16_fEEvT3_20rocsparse_direction_NS_24const_host_device_scalarIT1_EES1_PKS1_PKT2_SA_S7_PKT4_PKT5_S5_PT6_21rocsparse_index_base_b
		.amdhsa_group_segment_fixed_size 0
		.amdhsa_private_segment_fixed_size 0
		.amdhsa_kernarg_size 104
		.amdhsa_user_sgpr_count 2
		.amdhsa_user_sgpr_dispatch_ptr 0
		.amdhsa_user_sgpr_queue_ptr 0
		.amdhsa_user_sgpr_kernarg_segment_ptr 1
		.amdhsa_user_sgpr_dispatch_id 0
		.amdhsa_user_sgpr_kernarg_preload_length 0
		.amdhsa_user_sgpr_kernarg_preload_offset 0
		.amdhsa_user_sgpr_private_segment_size 0
		.amdhsa_wavefront_size32 1
		.amdhsa_uses_dynamic_stack 0
		.amdhsa_enable_private_segment 0
		.amdhsa_system_sgpr_workgroup_id_x 1
		.amdhsa_system_sgpr_workgroup_id_y 0
		.amdhsa_system_sgpr_workgroup_id_z 0
		.amdhsa_system_sgpr_workgroup_info 0
		.amdhsa_system_vgpr_workitem_id 0
		.amdhsa_next_free_vgpr 76
		.amdhsa_next_free_sgpr 18
		.amdhsa_named_barrier_count 0
		.amdhsa_reserve_vcc 1
		.amdhsa_float_round_mode_32 0
		.amdhsa_float_round_mode_16_64 0
		.amdhsa_float_denorm_mode_32 3
		.amdhsa_float_denorm_mode_16_64 3
		.amdhsa_fp16_overflow 0
		.amdhsa_memory_ordered 1
		.amdhsa_forward_progress 1
		.amdhsa_inst_pref_size 35
		.amdhsa_round_robin_scheduling 0
		.amdhsa_exception_fp_ieee_invalid_op 0
		.amdhsa_exception_fp_denorm_src 0
		.amdhsa_exception_fp_ieee_div_zero 0
		.amdhsa_exception_fp_ieee_overflow 0
		.amdhsa_exception_fp_ieee_underflow 0
		.amdhsa_exception_fp_ieee_inexact 0
		.amdhsa_exception_int_div_zero 0
	.end_amdhsa_kernel
	.section	.text._ZN9rocsparseL18bsrxmvn_4x4_kernelILj128ELj8EfllDF16_DF16_fEEvT3_20rocsparse_direction_NS_24const_host_device_scalarIT1_EES1_PKS1_PKT2_SA_S7_PKT4_PKT5_S5_PT6_21rocsparse_index_base_b,"axG",@progbits,_ZN9rocsparseL18bsrxmvn_4x4_kernelILj128ELj8EfllDF16_DF16_fEEvT3_20rocsparse_direction_NS_24const_host_device_scalarIT1_EES1_PKS1_PKT2_SA_S7_PKT4_PKT5_S5_PT6_21rocsparse_index_base_b,comdat
.Lfunc_end101:
	.size	_ZN9rocsparseL18bsrxmvn_4x4_kernelILj128ELj8EfllDF16_DF16_fEEvT3_20rocsparse_direction_NS_24const_host_device_scalarIT1_EES1_PKS1_PKT2_SA_S7_PKT4_PKT5_S5_PT6_21rocsparse_index_base_b, .Lfunc_end101-_ZN9rocsparseL18bsrxmvn_4x4_kernelILj128ELj8EfllDF16_DF16_fEEvT3_20rocsparse_direction_NS_24const_host_device_scalarIT1_EES1_PKS1_PKT2_SA_S7_PKT4_PKT5_S5_PT6_21rocsparse_index_base_b
                                        ; -- End function
	.set _ZN9rocsparseL18bsrxmvn_4x4_kernelILj128ELj8EfllDF16_DF16_fEEvT3_20rocsparse_direction_NS_24const_host_device_scalarIT1_EES1_PKS1_PKT2_SA_S7_PKT4_PKT5_S5_PT6_21rocsparse_index_base_b.num_vgpr, 76
	.set _ZN9rocsparseL18bsrxmvn_4x4_kernelILj128ELj8EfllDF16_DF16_fEEvT3_20rocsparse_direction_NS_24const_host_device_scalarIT1_EES1_PKS1_PKT2_SA_S7_PKT4_PKT5_S5_PT6_21rocsparse_index_base_b.num_agpr, 0
	.set _ZN9rocsparseL18bsrxmvn_4x4_kernelILj128ELj8EfllDF16_DF16_fEEvT3_20rocsparse_direction_NS_24const_host_device_scalarIT1_EES1_PKS1_PKT2_SA_S7_PKT4_PKT5_S5_PT6_21rocsparse_index_base_b.numbered_sgpr, 18
	.set _ZN9rocsparseL18bsrxmvn_4x4_kernelILj128ELj8EfllDF16_DF16_fEEvT3_20rocsparse_direction_NS_24const_host_device_scalarIT1_EES1_PKS1_PKT2_SA_S7_PKT4_PKT5_S5_PT6_21rocsparse_index_base_b.num_named_barrier, 0
	.set _ZN9rocsparseL18bsrxmvn_4x4_kernelILj128ELj8EfllDF16_DF16_fEEvT3_20rocsparse_direction_NS_24const_host_device_scalarIT1_EES1_PKS1_PKT2_SA_S7_PKT4_PKT5_S5_PT6_21rocsparse_index_base_b.private_seg_size, 0
	.set _ZN9rocsparseL18bsrxmvn_4x4_kernelILj128ELj8EfllDF16_DF16_fEEvT3_20rocsparse_direction_NS_24const_host_device_scalarIT1_EES1_PKS1_PKT2_SA_S7_PKT4_PKT5_S5_PT6_21rocsparse_index_base_b.uses_vcc, 1
	.set _ZN9rocsparseL18bsrxmvn_4x4_kernelILj128ELj8EfllDF16_DF16_fEEvT3_20rocsparse_direction_NS_24const_host_device_scalarIT1_EES1_PKS1_PKT2_SA_S7_PKT4_PKT5_S5_PT6_21rocsparse_index_base_b.uses_flat_scratch, 0
	.set _ZN9rocsparseL18bsrxmvn_4x4_kernelILj128ELj8EfllDF16_DF16_fEEvT3_20rocsparse_direction_NS_24const_host_device_scalarIT1_EES1_PKS1_PKT2_SA_S7_PKT4_PKT5_S5_PT6_21rocsparse_index_base_b.has_dyn_sized_stack, 0
	.set _ZN9rocsparseL18bsrxmvn_4x4_kernelILj128ELj8EfllDF16_DF16_fEEvT3_20rocsparse_direction_NS_24const_host_device_scalarIT1_EES1_PKS1_PKT2_SA_S7_PKT4_PKT5_S5_PT6_21rocsparse_index_base_b.has_recursion, 0
	.set _ZN9rocsparseL18bsrxmvn_4x4_kernelILj128ELj8EfllDF16_DF16_fEEvT3_20rocsparse_direction_NS_24const_host_device_scalarIT1_EES1_PKS1_PKT2_SA_S7_PKT4_PKT5_S5_PT6_21rocsparse_index_base_b.has_indirect_call, 0
	.section	.AMDGPU.csdata,"",@progbits
; Kernel info:
; codeLenInByte = 4416
; TotalNumSgprs: 20
; NumVgprs: 76
; ScratchSize: 0
; MemoryBound: 0
; FloatMode: 240
; IeeeMode: 1
; LDSByteSize: 0 bytes/workgroup (compile time only)
; SGPRBlocks: 0
; VGPRBlocks: 4
; NumSGPRsForWavesPerEU: 20
; NumVGPRsForWavesPerEU: 76
; NamedBarCnt: 0
; Occupancy: 12
; WaveLimiterHint : 1
; COMPUTE_PGM_RSRC2:SCRATCH_EN: 0
; COMPUTE_PGM_RSRC2:USER_SGPR: 2
; COMPUTE_PGM_RSRC2:TRAP_HANDLER: 0
; COMPUTE_PGM_RSRC2:TGID_X_EN: 1
; COMPUTE_PGM_RSRC2:TGID_Y_EN: 0
; COMPUTE_PGM_RSRC2:TGID_Z_EN: 0
; COMPUTE_PGM_RSRC2:TIDIG_COMP_CNT: 0
	.section	.text._ZN9rocsparseL18bsrxmvn_4x4_kernelILj128ELj16EfllDF16_DF16_fEEvT3_20rocsparse_direction_NS_24const_host_device_scalarIT1_EES1_PKS1_PKT2_SA_S7_PKT4_PKT5_S5_PT6_21rocsparse_index_base_b,"axG",@progbits,_ZN9rocsparseL18bsrxmvn_4x4_kernelILj128ELj16EfllDF16_DF16_fEEvT3_20rocsparse_direction_NS_24const_host_device_scalarIT1_EES1_PKS1_PKT2_SA_S7_PKT4_PKT5_S5_PT6_21rocsparse_index_base_b,comdat
	.globl	_ZN9rocsparseL18bsrxmvn_4x4_kernelILj128ELj16EfllDF16_DF16_fEEvT3_20rocsparse_direction_NS_24const_host_device_scalarIT1_EES1_PKS1_PKT2_SA_S7_PKT4_PKT5_S5_PT6_21rocsparse_index_base_b ; -- Begin function _ZN9rocsparseL18bsrxmvn_4x4_kernelILj128ELj16EfllDF16_DF16_fEEvT3_20rocsparse_direction_NS_24const_host_device_scalarIT1_EES1_PKS1_PKT2_SA_S7_PKT4_PKT5_S5_PT6_21rocsparse_index_base_b
	.p2align	8
	.type	_ZN9rocsparseL18bsrxmvn_4x4_kernelILj128ELj16EfllDF16_DF16_fEEvT3_20rocsparse_direction_NS_24const_host_device_scalarIT1_EES1_PKS1_PKT2_SA_S7_PKT4_PKT5_S5_PT6_21rocsparse_index_base_b,@function
_ZN9rocsparseL18bsrxmvn_4x4_kernelILj128ELj16EfllDF16_DF16_fEEvT3_20rocsparse_direction_NS_24const_host_device_scalarIT1_EES1_PKS1_PKT2_SA_S7_PKT4_PKT5_S5_PT6_21rocsparse_index_base_b: ; @_ZN9rocsparseL18bsrxmvn_4x4_kernelILj128ELj16EfllDF16_DF16_fEEvT3_20rocsparse_direction_NS_24const_host_device_scalarIT1_EES1_PKS1_PKT2_SA_S7_PKT4_PKT5_S5_PT6_21rocsparse_index_base_b
; %bb.0:
	s_clause 0x2
	s_load_b64 s[2:3], s[0:1], 0x60
	s_load_b128 s[12:15], s[0:1], 0x10
	s_load_b64 s[16:17], s[0:1], 0x50
	s_wait_kmcnt 0x0
	s_bitcmp1_b32 s3, 0
	s_cselect_b32 s3, -1, 0
	s_delay_alu instid0(SALU_CYCLE_1)
	s_and_b32 vcc_lo, exec_lo, s3
	s_xor_b32 s3, s3, -1
	s_cbranch_vccnz .LBB102_2
; %bb.1:
	s_load_b32 s12, s[12:13], 0x0
.LBB102_2:
	s_and_not1_b32 vcc_lo, exec_lo, s3
	s_cbranch_vccnz .LBB102_4
; %bb.3:
	s_load_b32 s16, s[16:17], 0x0
.LBB102_4:
	s_wait_kmcnt 0x0
	s_cmp_neq_f32 s12, 0
	s_mov_b32 s6, 0
	s_cselect_b32 s3, -1, 0
	s_cmp_neq_f32 s16, 1.0
	s_cselect_b32 s4, -1, 0
	s_delay_alu instid0(SALU_CYCLE_1) | instskip(NEXT) | instid1(SALU_CYCLE_1)
	s_or_b32 s3, s3, s4
	s_and_not1_b32 vcc_lo, exec_lo, s3
	s_cbranch_vccnz .LBB102_10
; %bb.5:
	s_load_b64 s[4:5], s[0:1], 0x20
	s_bfe_u32 s3, ttmp6, 0x4000c
	s_and_b32 s7, ttmp6, 15
	s_add_co_i32 s3, s3, 1
	s_getreg_b32 s8, hwreg(HW_REG_IB_STS2, 6, 4)
	s_mul_i32 s3, ttmp9, s3
	v_dual_lshrrev_b32 v1, 4, v0 :: v_dual_mov_b32 v7, 0
	s_add_co_i32 s7, s7, s3
	s_cmp_eq_u32 s8, 0
	s_cselect_b32 s3, ttmp9, s7
	s_delay_alu instid0(VALU_DEP_1) | instid1(SALU_CYCLE_1)
	v_lshl_or_b32 v6, s3, 3, v1
	s_wait_kmcnt 0x0
	s_cmp_lg_u64 s[4:5], 0
	s_cbranch_scc0 .LBB102_11
; %bb.6:
	s_mov_b32 s7, 0
                                        ; implicit-def: $vgpr2_vgpr3
                                        ; implicit-def: $vgpr4_vgpr5
	s_mov_b32 s3, exec_lo
	v_cmpx_gt_i64_e64 s[14:15], v[6:7]
	s_xor_b32 s8, exec_lo, s3
	s_cbranch_execz .LBB102_8
; %bb.7:
	v_lshl_add_u64 v[2:3], v[6:7], 3, s[4:5]
	s_mov_b32 s3, 0
	s_mov_b32 s6, exec_lo
	v_mov_b64_e32 v[4:5], s[2:3]
	global_load_b64 v[2:3], v[2:3], off
	s_wait_loadcnt 0x0
	v_sub_nc_u64_e64 v[2:3], v[2:3], s[2:3]
.LBB102_8:
	s_or_b32 exec_lo, exec_lo, s8
	s_delay_alu instid0(SALU_CYCLE_1)
	s_and_b32 vcc_lo, exec_lo, s7
	s_cbranch_vccnz .LBB102_12
.LBB102_9:
	s_and_saveexec_b32 s2, s6
	s_cbranch_execnz .LBB102_15
.LBB102_10:
	s_sendmsg sendmsg(MSG_DEALLOC_VGPRS)
	s_endpgm
.LBB102_11:
                                        ; implicit-def: $vgpr2_vgpr3
                                        ; implicit-def: $vgpr4_vgpr5
	s_cbranch_execz .LBB102_9
.LBB102_12:
	s_load_b64 s[4:5], s[0:1], 0x0
	s_wait_kmcnt 0x0
	v_cmp_gt_i64_e32 vcc_lo, s[4:5], v[6:7]
	s_and_saveexec_b32 s4, vcc_lo
; %bb.13:
	s_mov_b32 s3, 0
	s_or_b32 s6, s6, exec_lo
; %bb.14:
	s_or_b32 exec_lo, exec_lo, s4
	v_mov_b64_e32 v[4:5], s[2:3]
	v_mov_b64_e32 v[2:3], v[6:7]
	s_and_saveexec_b32 s2, s6
	s_cbranch_execz .LBB102_10
.LBB102_15:
	s_load_b256 s[4:11], s[0:1], 0x28
	s_delay_alu instid0(VALU_DEP_1) | instskip(SKIP_3) | instid1(VALU_DEP_2)
	v_lshlrev_b64_e32 v[6:7], 3, v[2:3]
	v_dual_mov_b32 v1, 0 :: v_dual_bitop2_b32 v0, 15, v0 bitop3:0x40
	s_load_b32 s3, s[0:1], 0x8
	s_wait_kmcnt 0x0
	v_add_nc_u64_e32 v[8:9], s[4:5], v[6:7]
	v_add_nc_u64_e32 v[6:7], s[6:7], v[6:7]
	s_cmp_eq_u64 s[6:7], 0
	s_load_b64 s[4:5], s[0:1], 0x48
	s_cselect_b32 vcc_lo, -1, 0
	s_cmp_eq_u32 s3, 1
	global_load_b64 v[16:17], v[8:9], off
	s_wait_xcnt 0x0
	v_add_nc_u64_e32 v[8:9], 8, v[8:9]
	s_delay_alu instid0(VALU_DEP_1) | instskip(SKIP_4) | instid1(VALU_DEP_1)
	v_dual_cndmask_b32 v7, v7, v9 :: v_dual_cndmask_b32 v6, v6, v8
	global_load_b64 v[8:9], v[6:7], off
	s_wait_loadcnt 0x1
	s_wait_xcnt 0x0
	v_sub_nc_u64_e32 v[6:7], v[16:17], v[4:5]
	v_add_nc_u64_e32 v[6:7], v[6:7], v[0:1]
	s_wait_loadcnt 0x0
	v_sub_nc_u64_e32 v[8:9], v[8:9], v[4:5]
	s_delay_alu instid0(VALU_DEP_2) | instskip(NEXT) | instid1(VALU_DEP_2)
	v_lshlrev_b64_e32 v[10:11], 5, v[6:7]
	v_cmp_lt_i64_e64 s2, v[6:7], v[8:9]
	s_delay_alu instid0(VALU_DEP_2)
	v_add_nc_u64_e32 v[10:11], s[10:11], v[10:11]
	s_cbranch_scc1 .LBB102_27
; %bb.16:
	v_dual_mov_b32 v15, v1 :: v_dual_mov_b32 v14, v1
	v_dual_mov_b32 v13, v1 :: v_dual_mov_b32 v12, v1
	s_and_saveexec_b32 s3, s2
	s_cbranch_execz .LBB102_26
; %bb.17:
	v_dual_mov_b32 v13, v1 :: v_dual_bitop2_b32 v12, 16, v0 bitop3:0x54
	v_sub_nc_u64_e32 v[14:15], v[4:5], v[0:1]
	v_not_b32_e32 v19, v17
	v_not_b32_e32 v18, v16
	v_mov_b64_e32 v[20:21], v[10:11]
	v_sub_nc_u64_e32 v[12:13], v[12:13], v[4:5]
	s_delay_alu instid0(VALU_DEP_3) | instskip(SKIP_1) | instid1(VALU_DEP_3)
	v_add_nc_u64_e32 v[14:15], v[14:15], v[18:19]
	v_mov_b64_e32 v[18:19], v[6:7]
	v_add_nc_u64_e32 v[12:13], v[12:13], v[16:17]
	s_delay_alu instid0(VALU_DEP_1) | instskip(NEXT) | instid1(VALU_DEP_1)
	v_max_i64 v[12:13], v[12:13], v[8:9]
	v_add_nc_u64_e32 v[22:23], v[14:15], v[12:13]
	s_delay_alu instid0(VALU_DEP_1) | instskip(NEXT) | instid1(VALU_DEP_1)
	v_dual_mov_b32 v13, 0 :: v_dual_bitop2_b32 v12, 48, v22 bitop3:0x40
	v_dual_mov_b32 v14, v13 :: v_dual_mov_b32 v15, v13
	s_delay_alu instid0(VALU_DEP_2)
	v_cmp_ne_u64_e32 vcc_lo, 48, v[12:13]
	v_mov_b32_e32 v12, v13
	s_and_saveexec_b32 s6, vcc_lo
	s_cbranch_execz .LBB102_21
; %bb.18:
	v_dual_mov_b32 v15, 0 :: v_dual_lshrrev_b32 v12, 4, v22
	v_mov_b64_e32 v[20:21], v[10:11]
	v_mov_b64_e32 v[18:19], v[6:7]
	v_lshl_add_u64 v[24:25], v[6:7], 3, s[8:9]
	s_delay_alu instid0(VALU_DEP_4) | instskip(SKIP_1) | instid1(VALU_DEP_1)
	v_add_nc_u32_e32 v12, 1, v12
	s_mov_b32 s7, 0
	v_dual_mov_b32 v13, v15 :: v_dual_bitop2_b32 v14, 3, v12 bitop3:0x40
	v_mov_b32_e32 v12, v15
	s_delay_alu instid0(VALU_DEP_2)
	v_sub_nc_u64_e32 v[26:27], 0, v[14:15]
	v_mov_b32_e32 v14, v15
.LBB102_19:                             ; =>This Inner Loop Header: Depth=1
	global_load_b64 v[32:33], v[24:25], off
	global_load_b128 v[28:31], v[20:21], off
	v_add_nc_u64_e32 v[26:27], 1, v[26:27]
	v_add_nc_u64_e32 v[18:19], 16, v[18:19]
	s_wait_xcnt 0x1
	v_add_nc_u64_e32 v[24:25], 0x80, v[24:25]
	s_delay_alu instid0(VALU_DEP_3)
	v_cmp_eq_u64_e32 vcc_lo, 0, v[26:27]
	s_or_b32 s7, vcc_lo, s7
	s_wait_loadcnt 0x1
	v_sub_nc_u64_e32 v[32:33], v[32:33], v[4:5]
	s_wait_loadcnt 0x0
	v_dual_lshrrev_b32 v42, 16, v28 :: v_dual_lshrrev_b32 v43, 16, v30
	v_lshrrev_b32_e32 v46, 16, v29
	s_delay_alu instid0(VALU_DEP_2) | instskip(SKIP_1) | instid1(VALU_DEP_4)
	v_cvt_f32_f16_e32 v42, v42
	s_wait_kmcnt 0x0
	v_lshl_add_u64 v[36:37], v[32:33], 3, s[4:5]
	global_load_b128 v[32:35], v[20:21], off offset:16
	global_load_b64 v[38:39], v[36:37], off
	s_wait_xcnt 0x0
	v_cvt_f32_f16_e32 v37, v31
	v_lshrrev_b32_e32 v31, 16, v31
	v_cvt_f32_f16_e32 v36, v29
	v_cvt_f32_f16_e32 v43, v43
	v_add_nc_u64_e32 v[20:21], 0x200, v[20:21]
	s_delay_alu instid0(VALU_DEP_4)
	v_cvt_f32_f16_e32 v29, v31
	s_wait_loadcnt 0x1
	v_dual_lshrrev_b32 v44, 16, v32 :: v_dual_lshrrev_b32 v45, 16, v34
	s_wait_loadcnt 0x0
	v_lshrrev_b32_e32 v31, 16, v38
	v_fma_mix_f32 v12, v28, v38, v12 op_sel_hi:[1,1,0]
	v_fma_mix_f32 v13, v30, v38, v13 op_sel_hi:[1,1,0]
	v_cvt_f32_f16_e32 v44, v44
	v_cvt_f32_f16_e32 v45, v45
	v_fma_mix_f32 v14, v32, v38, v14 op_sel_hi:[1,1,0]
	v_fma_mix_f32 v15, v34, v38, v15 op_sel_hi:[1,1,0]
	v_lshrrev_b32_e32 v34, 16, v39
	v_cvt_f32_f16_e32 v30, v31
	v_cvt_f32_f16_e32 v41, v35
	;; [unrolled: 1-line block ×3, first 2 shown]
	v_dual_lshrrev_b32 v35, 16, v35 :: v_dual_lshrrev_b32 v33, 16, v33
	v_cvt_f32_f16_e32 v32, v39
	v_pk_fma_f32 v[12:13], v[42:43], v[30:31], v[12:13] op_sel_hi:[1,0,1]
	v_pk_fma_f32 v[14:15], v[44:45], v[30:31], v[14:15] op_sel_hi:[1,0,1]
	v_cvt_f32_f16_e32 v28, v46
	v_cvt_f32_f16_e32 v31, v35
	;; [unrolled: 1-line block ×4, first 2 shown]
	v_pk_fma_f32 v[12:13], v[36:37], v[32:33], v[12:13] op_sel_hi:[1,0,1]
	v_pk_fma_f32 v[14:15], v[40:41], v[32:33], v[14:15] op_sel_hi:[1,0,1]
	s_delay_alu instid0(VALU_DEP_2) | instskip(NEXT) | instid1(VALU_DEP_2)
	v_pk_fma_f32 v[12:13], v[28:29], v[34:35], v[12:13] op_sel_hi:[1,0,1]
	v_pk_fma_f32 v[14:15], v[30:31], v[34:35], v[14:15] op_sel_hi:[1,0,1]
	s_and_not1_b32 exec_lo, exec_lo, s7
	s_cbranch_execnz .LBB102_19
; %bb.20:
	s_or_b32 exec_lo, exec_lo, s7
.LBB102_21:
	s_delay_alu instid0(SALU_CYCLE_1) | instskip(NEXT) | instid1(SALU_CYCLE_1)
	s_or_b32 exec_lo, exec_lo, s6
	s_mov_b32 s6, exec_lo
	v_cmpx_lt_u64_e32 47, v[22:23]
	s_cbranch_execz .LBB102_25
; %bb.22:
	v_lshl_add_u64 v[22:23], v[18:19], 3, s[8:9]
	s_mov_b32 s7, 0
	s_delay_alu instid0(VALU_DEP_1)
	v_add_nc_u64_e32 v[22:23], 0x100, v[22:23]
.LBB102_23:                             ; =>This Inner Loop Header: Depth=1
	global_load_b64 v[48:49], v[22:23], off offset:-256
	s_clause 0x2
	global_load_b128 v[24:27], v[20:21], off
	global_load_b128 v[28:31], v[20:21], off offset:16
	global_load_b128 v[32:35], v[20:21], off offset:512
	s_clause 0x2
	global_load_b64 v[50:51], v[22:23], off offset:-128
	global_load_b64 v[52:53], v[22:23], off
	global_load_b64 v[54:55], v[22:23], off offset:128
	s_clause 0x2
	global_load_b128 v[36:39], v[20:21], off offset:528
	global_load_b128 v[40:43], v[20:21], off offset:1024
	;; [unrolled: 1-line block ×3, first 2 shown]
	v_add_nc_u64_e32 v[18:19], 64, v[18:19]
	s_wait_xcnt 0x3
	v_add_nc_u64_e32 v[22:23], 0x200, v[22:23]
	s_delay_alu instid0(VALU_DEP_2)
	v_cmp_ge_i64_e32 vcc_lo, v[18:19], v[8:9]
	s_or_b32 s7, vcc_lo, s7
	s_wait_loadcnt 0x9
	v_sub_nc_u64_e32 v[48:49], v[48:49], v[4:5]
	s_wait_loadcnt 0x8
	v_dual_lshrrev_b32 v70, 16, v25 :: v_dual_lshrrev_b32 v66, 16, v24
	v_lshrrev_b32_e32 v67, 16, v26
	s_wait_loadcnt 0x5
	v_sub_nc_u64_e32 v[50:51], v[50:51], v[4:5]
	s_wait_loadcnt 0x4
	v_sub_nc_u64_e32 v[52:53], v[52:53], v[4:5]
	;; [unrolled: 2-line block ×3, first 2 shown]
	v_cvt_f32_f16_e32 v58, v32
	v_dual_lshrrev_b32 v71, 16, v32 :: v_dual_lshrrev_b32 v72, 16, v34
	v_lshrrev_b32_e32 v73, 16, v33
	v_cvt_f32_f16_e32 v60, v33
	s_wait_kmcnt 0x0
	v_lshl_add_u64 v[32:33], v[48:49], 3, s[4:5]
	v_cvt_f32_f16_e32 v59, v34
	v_cvt_f32_f16_e32 v61, v35
	v_lshrrev_b32_e32 v74, 16, v35
	v_lshl_add_u64 v[34:35], v[50:51], 3, s[4:5]
	v_lshl_add_u64 v[48:49], v[52:53], 3, s[4:5]
	v_lshl_add_u64 v[50:51], v[54:55], 3, s[4:5]
	s_clause 0x3
	global_load_b64 v[52:53], v[32:33], off
	global_load_b64 v[54:55], v[34:35], off
	global_load_b64 v[62:63], v[48:49], off
	global_load_b64 v[64:65], v[50:51], off
	v_dual_lshrrev_b32 v68, 16, v28 :: v_dual_lshrrev_b32 v69, 16, v27
	s_wait_loadcnt 0x5
	s_wait_xcnt 0x3
	v_cvt_f32_f16_e32 v32, v40
	s_wait_xcnt 0x0
	v_dual_lshrrev_b32 v48, 16, v40 :: v_dual_lshrrev_b32 v51, 16, v43
	v_lshrrev_b32_e32 v40, 16, v30
	v_cvt_f32_f16_e32 v57, v27
	v_cvt_f32_f16_e32 v33, v42
	v_dual_lshrrev_b32 v49, 16, v42 :: v_dual_lshrrev_b32 v50, 16, v41
	v_cvt_f32_f16_e32 v35, v43
	v_dual_lshrrev_b32 v42, 16, v31 :: v_dual_lshrrev_b32 v43, 16, v29
	v_cvt_f32_f16_e32 v27, v67
	v_cvt_f32_f16_e32 v56, v25
	v_cvt_f32_f16_e32 v34, v41
	v_cvt_f32_f16_e32 v25, v31
	v_cvt_f32_f16_e32 v41, v38
	s_wait_loadcnt 0x4
	v_lshrrev_b32_e32 v76, 16, v47
	v_cvt_f32_f16_e32 v49, v49
	v_cvt_f32_f16_e32 v48, v48
	;; [unrolled: 1-line block ×4, first 2 shown]
	v_lshrrev_b32_e32 v67, 16, v37
	v_lshrrev_b32_e32 v75, 16, v45
	s_wait_loadcnt 0x3
	v_fma_mix_f32 v15, v30, v52, v15 op_sel_hi:[1,1,0]
	v_lshrrev_b32_e32 v30, 16, v52
	v_fma_mix_f32 v12, v24, v52, v12 op_sel_hi:[1,1,0]
	v_fma_mix_f32 v13, v26, v52, v13 op_sel_hi:[1,1,0]
	;; [unrolled: 1-line block ×3, first 2 shown]
	v_cvt_f32_f16_e32 v24, v29
	v_cvt_f32_f16_e32 v26, v66
	;; [unrolled: 1-line block ×4, first 2 shown]
	v_lshrrev_b32_e32 v66, 16, v38
	v_cvt_f32_f16_e32 v30, v30
	v_dual_lshrrev_b32 v38, 16, v53 :: v_dual_lshrrev_b32 v68, 16, v39
	v_cvt_f32_f16_e32 v40, v36
	v_lshrrev_b32_e32 v52, 16, v36
	s_delay_alu instid0(VALU_DEP_4)
	v_pk_fma_f32 v[12:13], v[26:27], v[30:31], v[12:13] op_sel_hi:[1,0,1]
	v_pk_fma_f32 v[14:15], v[28:29], v[30:31], v[14:15] op_sel_hi:[1,0,1]
	v_cvt_f32_f16_e32 v26, v53
	v_cvt_f32_f16_e32 v38, v38
	;; [unrolled: 1-line block ×5, first 2 shown]
	v_pk_fma_f32 v[12:13], v[56:57], v[26:27], v[12:13] op_sel_hi:[1,0,1]
	v_pk_fma_f32 v[24:25], v[24:25], v[26:27], v[14:15] op_sel_hi:[1,0,1]
	v_cvt_f32_f16_e32 v15, v69
	v_cvt_f32_f16_e32 v14, v70
	;; [unrolled: 1-line block ×4, first 2 shown]
	v_lshrrev_b32_e32 v56, 16, v44
	s_wait_loadcnt 0x2
	v_cvt_f32_f16_e32 v44, v54
	v_pk_fma_f32 v[42:43], v[14:15], v[38:39], v[12:13] op_sel_hi:[1,0,1]
	global_load_b128 v[12:15], v[20:21], off offset:1536
	v_pk_fma_f32 v[38:39], v[26:27], v[38:39], v[24:25] op_sel_hi:[1,0,1]
	global_load_b128 v[24:27], v[20:21], off offset:1552
	v_lshrrev_b32_e32 v57, 16, v46
	v_pk_fma_f32 v[42:43], v[58:59], v[44:45], v[42:43] op_sel_hi:[1,0,1]
	v_cvt_f32_f16_e32 v28, v37
	v_pk_fma_f32 v[38:39], v[40:41], v[44:45], v[38:39] op_sel_hi:[1,0,1]
	v_cvt_f32_f16_e32 v31, v46
	v_cvt_f32_f16_e32 v37, v47
	;; [unrolled: 1-line block ×4, first 2 shown]
	s_wait_xcnt 0x0
	v_add_nc_u64_e32 v[20:21], 0x800, v[20:21]
	s_wait_loadcnt 0x1
	v_cvt_f32_f16_e32 v41, v14
	v_dual_lshrrev_b32 v59, 16, v14 :: v_dual_lshrrev_b32 v69, 16, v15
	s_wait_loadcnt 0x0
	v_dual_lshrrev_b32 v14, 16, v54 :: v_dual_lshrrev_b32 v54, 16, v24
	v_cvt_f32_f16_e32 v40, v12
	v_cvt_f32_f16_e32 v44, v13
	v_dual_lshrrev_b32 v53, 16, v12 :: v_dual_lshrrev_b32 v58, 16, v13
	v_cvt_f32_f16_e32 v13, v72
	v_cvt_f32_f16_e32 v12, v71
	;; [unrolled: 1-line block ×4, first 2 shown]
	v_dual_lshrrev_b32 v70, 16, v26 :: v_dual_lshrrev_b32 v71, 16, v27
	s_delay_alu instid0(VALU_DEP_3) | instskip(SKIP_3) | instid1(VALU_DEP_2)
	v_pk_fma_f32 v[12:13], v[12:13], v[14:15], v[42:43] op_sel_hi:[1,0,1]
	v_cvt_f32_f16_e32 v43, v66
	v_cvt_f32_f16_e32 v42, v52
	v_lshrrev_b32_e32 v66, 16, v25
	v_pk_fma_f32 v[14:15], v[42:43], v[14:15], v[38:39] op_sel_hi:[1,0,1]
	v_cvt_f32_f16_e32 v38, v24
	v_cvt_f32_f16_e32 v24, v55
	;; [unrolled: 1-line block ×6, first 2 shown]
	v_pk_fma_f32 v[12:13], v[60:61], v[24:25], v[12:13] op_sel_hi:[1,0,1]
	v_lshrrev_b32_e32 v25, 16, v55
	v_cvt_f32_f16_e32 v26, v73
	s_delay_alu instid0(VALU_DEP_2)
	v_cvt_f32_f16_e32 v52, v25
	v_pk_fma_f32 v[14:15], v[28:29], v[24:25], v[14:15] op_sel_hi:[1,0,1]
	v_cvt_f32_f16_e32 v28, v62
	v_lshrrev_b32_e32 v29, 16, v62
	v_cvt_f32_f16_e32 v25, v57
	v_pk_fma_f32 v[12:13], v[26:27], v[52:53], v[12:13] op_sel_hi:[1,0,1]
	v_pk_fma_f32 v[14:15], v[46:47], v[52:53], v[14:15] op_sel_hi:[1,0,1]
	v_cvt_f32_f16_e32 v24, v56
	v_cvt_f32_f16_e32 v46, v29
	;; [unrolled: 1-line block ×3, first 2 shown]
	v_pk_fma_f32 v[12:13], v[32:33], v[28:29], v[12:13] op_sel_hi:[1,0,1]
	v_pk_fma_f32 v[14:15], v[30:31], v[28:29], v[14:15] op_sel_hi:[1,0,1]
	v_lshrrev_b32_e32 v29, 16, v63
	v_cvt_f32_f16_e32 v28, v63
	v_cvt_f32_f16_e32 v26, v75
	v_pk_fma_f32 v[12:13], v[48:49], v[46:47], v[12:13] op_sel_hi:[1,0,1]
	v_pk_fma_f32 v[14:15], v[24:25], v[46:47], v[14:15] op_sel_hi:[1,0,1]
	v_cvt_f32_f16_e32 v30, v29
	v_lshrrev_b32_e32 v31, 16, v64
	v_cvt_f32_f16_e32 v25, v59
	v_pk_fma_f32 v[12:13], v[34:35], v[28:29], v[12:13] op_sel_hi:[1,0,1]
	v_pk_fma_f32 v[14:15], v[36:37], v[28:29], v[14:15] op_sel_hi:[1,0,1]
	v_cvt_f32_f16_e32 v29, v69
	v_cvt_f32_f16_e32 v28, v64
	;; [unrolled: 1-line block ×3, first 2 shown]
	v_pk_fma_f32 v[12:13], v[50:51], v[30:31], v[12:13] op_sel_hi:[1,0,1]
	v_pk_fma_f32 v[14:15], v[26:27], v[30:31], v[14:15] op_sel_hi:[1,0,1]
	v_cvt_f32_f16_e32 v27, v70
	v_cvt_f32_f16_e32 v26, v54
	;; [unrolled: 1-line block ×3, first 2 shown]
	v_pk_fma_f32 v[12:13], v[40:41], v[28:29], v[12:13] op_sel_hi:[1,0,1]
	v_pk_fma_f32 v[14:15], v[38:39], v[28:29], v[14:15] op_sel_hi:[1,0,1]
	v_lshrrev_b32_e32 v31, 16, v65
	v_cvt_f32_f16_e32 v32, v65
	v_cvt_f32_f16_e32 v28, v58
	s_delay_alu instid0(VALU_DEP_3)
	v_pk_fma_f32 v[12:13], v[24:25], v[30:31], v[12:13] op_sel_hi:[1,0,1]
	v_pk_fma_f32 v[14:15], v[26:27], v[30:31], v[14:15] op_sel_hi:[1,0,1]
	v_cvt_f32_f16_e32 v25, v71
	v_cvt_f32_f16_e32 v24, v66
	v_cvt_f32_f16_e32 v26, v31
	v_pk_fma_f32 v[12:13], v[44:45], v[32:33], v[12:13] op_sel_hi:[1,0,1]
	v_pk_fma_f32 v[14:15], v[42:43], v[32:33], v[14:15] op_sel_hi:[1,0,1]
	s_delay_alu instid0(VALU_DEP_2) | instskip(NEXT) | instid1(VALU_DEP_2)
	v_pk_fma_f32 v[12:13], v[28:29], v[26:27], v[12:13] op_sel_hi:[1,0,1]
	v_pk_fma_f32 v[14:15], v[24:25], v[26:27], v[14:15] op_sel_hi:[1,0,1]
	s_and_not1_b32 exec_lo, exec_lo, s7
	s_cbranch_execnz .LBB102_23
; %bb.24:
	s_or_b32 exec_lo, exec_lo, s7
.LBB102_25:
	s_delay_alu instid0(SALU_CYCLE_1)
	s_or_b32 exec_lo, exec_lo, s6
.LBB102_26:
	s_delay_alu instid0(SALU_CYCLE_1)
	s_or_b32 exec_lo, exec_lo, s3
	s_cbranch_execz .LBB102_28
	s_branch .LBB102_39
.LBB102_27:
                                        ; implicit-def: $vgpr15
                                        ; implicit-def: $vgpr13
.LBB102_28:
	v_dual_mov_b32 v15, 0 :: v_dual_mov_b32 v14, 0
	v_dual_mov_b32 v13, 0 :: v_dual_mov_b32 v12, 0
	s_and_saveexec_b32 s3, s2
	s_cbranch_execz .LBB102_38
; %bb.29:
	v_dual_mov_b32 v13, v1 :: v_dual_bitop2_b32 v12, 16, v0 bitop3:0x54
	v_sub_nc_u64_e32 v[14:15], v[4:5], v[0:1]
	s_delay_alu instid0(VALU_DEP_2) | instskip(NEXT) | instid1(VALU_DEP_1)
	v_sub_nc_u64_e32 v[12:13], v[12:13], v[4:5]
	v_add_nc_u64_e32 v[12:13], v[12:13], v[16:17]
	v_not_b32_e32 v17, v17
	v_not_b32_e32 v16, v16
	s_delay_alu instid0(VALU_DEP_1) | instskip(NEXT) | instid1(VALU_DEP_4)
	v_add_nc_u64_e32 v[14:15], v[14:15], v[16:17]
	v_max_i64 v[12:13], v[12:13], v[8:9]
	s_delay_alu instid0(VALU_DEP_1) | instskip(SKIP_2) | instid1(VALU_DEP_2)
	v_add_nc_u64_e32 v[18:19], v[14:15], v[12:13]
	v_mov_b32_e32 v14, 0
	v_mov_b64_e32 v[12:13], 0
	v_dual_mov_b32 v17, v14 :: v_dual_bitop2_b32 v16, 48, v18 bitop3:0x40
	s_delay_alu instid0(VALU_DEP_1)
	v_cmp_ne_u64_e32 vcc_lo, 48, v[16:17]
	v_mov_b64_e32 v[16:17], 0
	s_and_saveexec_b32 s2, vcc_lo
	s_cbranch_execz .LBB102_33
; %bb.30:
	v_dual_lshrrev_b32 v1, 4, v18 :: v_dual_mov_b32 v13, v14
	v_lshl_add_u64 v[16:17], v[6:7], 3, s[8:9]
	s_mov_b32 s6, 0
	s_delay_alu instid0(VALU_DEP_2) | instskip(NEXT) | instid1(VALU_DEP_1)
	v_dual_mov_b32 v15, v14 :: v_dual_add_nc_u32 v1, 1, v1
	v_and_b32_e32 v12, 3, v1
	s_delay_alu instid0(VALU_DEP_1)
	v_sub_nc_u64_e32 v[20:21], 0, v[12:13]
	v_mov_b32_e32 v12, v14
.LBB102_31:                             ; =>This Inner Loop Header: Depth=1
	global_load_b64 v[26:27], v[16:17], off
	global_load_b128 v[22:25], v[10:11], off
	v_add_nc_u64_e32 v[20:21], 1, v[20:21]
	v_add_nc_u64_e32 v[6:7], 16, v[6:7]
	s_wait_xcnt 0x1
	v_add_nc_u64_e32 v[16:17], 0x80, v[16:17]
	s_delay_alu instid0(VALU_DEP_3)
	v_cmp_eq_u64_e32 vcc_lo, 0, v[20:21]
	s_or_b32 s6, vcc_lo, s6
	s_wait_loadcnt 0x1
	v_sub_nc_u64_e32 v[26:27], v[26:27], v[4:5]
	s_wait_loadcnt 0x0
	v_lshrrev_b32_e32 v1, 16, v22
	v_cvt_f32_f16_e32 v22, v22
	v_dual_lshrrev_b32 v35, 16, v24 :: v_dual_lshrrev_b32 v37, 16, v25
	v_cvt_f32_f16_e32 v24, v24
	v_cvt_f32_f16_e32 v34, v25
	s_wait_kmcnt 0x0
	v_lshl_add_u64 v[30:31], v[26:27], 3, s[4:5]
	v_cvt_f32_f16_e32 v25, v35
	v_cvt_f32_f16_e32 v35, v37
	global_load_b64 v[32:33], v[30:31], off
	global_load_b128 v[26:29], v[10:11], off offset:16
	s_wait_xcnt 0x1
	v_lshrrev_b32_e32 v31, 16, v23
	v_cvt_f32_f16_e32 v30, v23
	v_cvt_f32_f16_e32 v23, v1
	s_wait_xcnt 0x0
	v_add_nc_u64_e32 v[10:11], 0x200, v[10:11]
	v_cvt_f32_f16_e32 v31, v31
	s_wait_loadcnt 0x1
	v_cvt_f32_f16_e32 v40, v32
	s_wait_loadcnt 0x0
	v_dual_lshrrev_b32 v39, 16, v26 :: v_dual_lshrrev_b32 v41, 16, v28
	v_dual_lshrrev_b32 v1, 16, v32 :: v_dual_lshrrev_b32 v42, 16, v27
	v_lshrrev_b32_e32 v43, 16, v29
	v_cvt_f32_f16_e32 v26, v26
	s_delay_alu instid0(VALU_DEP_4) | instskip(NEXT) | instid1(VALU_DEP_4)
	v_pk_fma_f32 v[12:13], v[22:23], v[40:41], v[12:13] op_sel_hi:[1,0,1]
	v_cvt_f32_f16_e32 v22, v1
	v_pk_fma_f32 v[14:15], v[30:31], v[40:41], v[14:15] op_sel_hi:[1,0,1]
	v_cvt_f32_f16_e32 v36, v27
	v_cvt_f32_f16_e32 v27, v39
	;; [unrolled: 1-line block ×3, first 2 shown]
	v_lshrrev_b32_e32 v1, 16, v33
	v_cvt_f32_f16_e32 v30, v33
	v_pk_fma_f32 v[12:13], v[24:25], v[22:23], v[12:13] op_sel_hi:[1,0,1]
	v_pk_fma_f32 v[14:15], v[34:35], v[22:23], v[14:15] op_sel_hi:[1,0,1]
	v_cvt_f32_f16_e32 v28, v28
	v_cvt_f32_f16_e32 v38, v29
	;; [unrolled: 1-line block ×5, first 2 shown]
	v_pk_fma_f32 v[12:13], v[26:27], v[30:31], v[12:13] op_sel_hi:[1,0,1]
	v_pk_fma_f32 v[14:15], v[36:37], v[30:31], v[14:15] op_sel_hi:[1,0,1]
	s_delay_alu instid0(VALU_DEP_2) | instskip(NEXT) | instid1(VALU_DEP_2)
	v_pk_fma_f32 v[12:13], v[28:29], v[22:23], v[12:13] op_sel_hi:[1,0,1]
	v_pk_fma_f32 v[14:15], v[38:39], v[22:23], v[14:15] op_sel_hi:[1,0,1]
	s_and_not1_b32 exec_lo, exec_lo, s6
	s_cbranch_execnz .LBB102_31
; %bb.32:
	s_or_b32 exec_lo, exec_lo, s6
	s_delay_alu instid0(VALU_DEP_1)
	v_mov_b64_e32 v[16:17], v[14:15]
.LBB102_33:
	s_or_b32 exec_lo, exec_lo, s2
	s_delay_alu instid0(SALU_CYCLE_1)
	s_mov_b32 s2, exec_lo
	v_cmpx_lt_u64_e32 47, v[18:19]
	s_cbranch_execz .LBB102_37
; %bb.34:
	v_lshl_add_u64 v[14:15], v[6:7], 3, s[8:9]
	s_mov_b32 s6, 0
	s_delay_alu instid0(VALU_DEP_1)
	v_add_nc_u64_e32 v[14:15], 0x100, v[14:15]
.LBB102_35:                             ; =>This Inner Loop Header: Depth=1
	global_load_b64 v[46:47], v[14:15], off offset:-256
	global_load_b128 v[18:21], v[10:11], off
	s_clause 0x2
	global_load_b64 v[48:49], v[14:15], off offset:-128
	global_load_b64 v[50:51], v[14:15], off
	global_load_b64 v[52:53], v[14:15], off offset:128
	s_clause 0x5
	global_load_b128 v[22:25], v[10:11], off offset:16
	global_load_b128 v[26:29], v[10:11], off offset:512
	;; [unrolled: 1-line block ×6, first 2 shown]
	v_add_nc_u64_e32 v[6:7], 64, v[6:7]
	s_wait_xcnt 0x6
	v_add_nc_u64_e32 v[14:15], 0x200, v[14:15]
	s_delay_alu instid0(VALU_DEP_2)
	v_cmp_ge_i64_e32 vcc_lo, v[6:7], v[8:9]
	s_or_b32 s6, vcc_lo, s6
	s_wait_loadcnt 0xa
	v_sub_nc_u64_e32 v[46:47], v[46:47], v[4:5]
	s_wait_loadcnt 0x9
	v_dual_lshrrev_b32 v57, 16, v20 :: v_dual_lshrrev_b32 v59, 16, v21
	v_cvt_f32_f16_e32 v56, v20
	v_cvt_f32_f16_e32 v58, v21
	s_wait_loadcnt 0x8
	v_sub_nc_u64_e32 v[20:21], v[48:49], v[4:5]
	s_wait_loadcnt 0x7
	v_sub_nc_u64_e32 v[48:49], v[50:51], v[4:5]
	;; [unrolled: 2-line block ×3, first 2 shown]
	s_wait_kmcnt 0x0
	v_lshl_add_u64 v[46:47], v[46:47], 3, s[4:5]
	v_dual_lshrrev_b32 v1, 16, v18 :: v_dual_lshrrev_b32 v55, 16, v19
	v_cvt_f32_f16_e32 v18, v18
	v_lshl_add_u64 v[20:21], v[20:21], 3, s[4:5]
	v_lshl_add_u64 v[48:49], v[48:49], 3, s[4:5]
	;; [unrolled: 1-line block ×3, first 2 shown]
	s_clause 0x3
	global_load_b64 v[52:53], v[46:47], off
	global_load_b64 v[60:61], v[20:21], off
	;; [unrolled: 1-line block ×4, first 2 shown]
	v_cvt_f32_f16_e32 v54, v19
	v_cvt_f32_f16_e32 v19, v1
	;; [unrolled: 1-line block ×3, first 2 shown]
	s_wait_loadcnt 0x9
	v_lshrrev_b32_e32 v1, 16, v22
	v_cvt_f32_f16_e32 v57, v57
	s_wait_xcnt 0x1
	v_lshrrev_b32_e32 v49, 16, v24
	v_cvt_f32_f16_e32 v59, v59
	v_cvt_f32_f16_e32 v22, v22
	;; [unrolled: 1-line block ×3, first 2 shown]
	s_wait_loadcnt 0x8
	s_wait_xcnt 0x0
	v_dual_lshrrev_b32 v50, 16, v26 :: v_dual_lshrrev_b32 v51, 16, v29
	s_wait_loadcnt 0x3
	v_cvt_f32_f16_e32 v46, v52
	v_cvt_f32_f16_e32 v48, v53
	s_delay_alu instid0(VALU_DEP_2)
	v_pk_fma_f32 v[12:13], v[18:19], v[46:47], v[12:13] op_sel_hi:[1,0,1]
	global_load_b128 v[18:21], v[10:11], off offset:1552
	v_pk_fma_f32 v[16:17], v[54:55], v[46:47], v[16:17] op_sel_hi:[1,0,1]
	v_dual_lshrrev_b32 v46, 16, v52 :: v_dual_lshrrev_b32 v52, 16, v34
	v_lshrrev_b32_e32 v55, 16, v41
	s_wait_xcnt 0x0
	v_add_nc_u64_e32 v[10:11], 0x800, v[10:11]
	v_lshrrev_b32_e32 v54, 16, v37
	v_cvt_f32_f16_e32 v46, v46
	s_delay_alu instid0(VALU_DEP_1) | instskip(SKIP_2) | instid1(VALU_DEP_2)
	v_pk_fma_f32 v[12:13], v[56:57], v[46:47], v[12:13] op_sel_hi:[1,0,1]
	v_dual_lshrrev_b32 v47, 16, v23 :: v_dual_lshrrev_b32 v56, 16, v42
	v_cvt_f32_f16_e32 v42, v42
	v_pk_fma_f32 v[16:17], v[58:59], v[46:47], v[16:17] op_sel_hi:[1,0,1]
	v_cvt_f32_f16_e32 v46, v23
	v_cvt_f32_f16_e32 v23, v1
	v_cvt_f32_f16_e32 v47, v47
	v_lshrrev_b32_e32 v1, 16, v28
	s_delay_alu instid0(VALU_DEP_3) | instskip(SKIP_1) | instid1(VALU_DEP_4)
	v_pk_fma_f32 v[12:13], v[22:23], v[48:49], v[12:13] op_sel_hi:[1,0,1]
	v_lshrrev_b32_e32 v23, 16, v25
	v_pk_fma_f32 v[16:17], v[46:47], v[48:49], v[16:17] op_sel_hi:[1,0,1]
	v_cvt_f32_f16_e32 v46, v25
	v_lshrrev_b32_e32 v48, 16, v30
	v_cvt_f32_f16_e32 v25, v49
	v_cvt_f32_f16_e32 v47, v23
	v_dual_lshrrev_b32 v49, 16, v32 :: v_dual_lshrrev_b32 v23, 16, v53
	v_cvt_f32_f16_e32 v22, v26
	v_cvt_f32_f16_e32 v26, v28
	;; [unrolled: 1-line block ×3, first 2 shown]
	v_lshrrev_b32_e32 v53, 16, v36
	v_cvt_f32_f16_e32 v30, v23
	v_cvt_f32_f16_e32 v23, v50
	s_wait_loadcnt 0x2
	v_cvt_f32_f16_e32 v50, v62
	s_delay_alu instid0(VALU_DEP_3)
	v_pk_fma_f32 v[12:13], v[24:25], v[30:31], v[12:13] op_sel_hi:[1,0,1]
	v_lshrrev_b32_e32 v25, 16, v27
	v_cvt_f32_f16_e32 v24, v32
	v_pk_fma_f32 v[16:17], v[46:47], v[30:31], v[16:17] op_sel_hi:[1,0,1]
	v_cvt_f32_f16_e32 v46, v27
	v_cvt_f32_f16_e32 v32, v60
	;; [unrolled: 1-line block ×4, first 2 shown]
	v_lshrrev_b32_e32 v1, 16, v60
	v_cvt_f32_f16_e32 v30, v29
	v_pk_fma_f32 v[12:13], v[22:23], v[32:33], v[12:13] op_sel_hi:[1,0,1]
	v_pk_fma_f32 v[16:17], v[46:47], v[32:33], v[16:17] op_sel_hi:[1,0,1]
	v_dual_lshrrev_b32 v23, 16, v31 :: v_dual_lshrrev_b32 v47, 16, v33
	v_cvt_f32_f16_e32 v32, v31
	v_cvt_f32_f16_e32 v31, v51
	v_lshrrev_b32_e32 v51, 16, v35
	v_cvt_f32_f16_e32 v46, v1
	v_cvt_f32_f16_e32 v22, v34
	;; [unrolled: 1-line block ×5, first 2 shown]
	v_pk_fma_f32 v[12:13], v[26:27], v[46:47], v[12:13] op_sel_hi:[1,0,1]
	v_pk_fma_f32 v[16:17], v[30:31], v[46:47], v[16:17] op_sel_hi:[1,0,1]
	v_cvt_f32_f16_e32 v46, v61
	v_cvt_f32_f16_e32 v30, v35
	;; [unrolled: 1-line block ×3, first 2 shown]
	v_dual_lshrrev_b32 v23, 16, v61 :: v_dual_lshrrev_b32 v1, 16, v38
	s_delay_alu instid0(VALU_DEP_4)
	v_pk_fma_f32 v[12:13], v[28:29], v[46:47], v[12:13] op_sel_hi:[1,0,1]
	v_pk_fma_f32 v[16:17], v[32:33], v[46:47], v[16:17] op_sel_hi:[1,0,1]
	v_dual_lshrrev_b32 v47, 16, v43 :: v_dual_lshrrev_b32 v31, 16, v40
	v_lshrrev_b32_e32 v33, 16, v39
	v_cvt_f32_f16_e32 v25, v49
	v_cvt_f32_f16_e32 v46, v23
	v_cvt_f32_f16_e32 v32, v39
	v_cvt_f32_f16_e32 v23, v52
	v_cvt_f32_f16_e32 v39, v1
	v_cvt_f32_f16_e32 v29, v31
	v_pk_fma_f32 v[12:13], v[24:25], v[46:47], v[12:13] op_sel_hi:[1,0,1]
	v_pk_fma_f32 v[16:17], v[34:35], v[46:47], v[16:17] op_sel_hi:[1,0,1]
	v_cvt_f32_f16_e32 v31, v51
	v_lshrrev_b32_e32 v1, 16, v62
	v_cvt_f32_f16_e32 v26, v36
	v_cvt_f32_f16_e32 v36, v37
	v_pk_fma_f32 v[12:13], v[22:23], v[50:51], v[12:13] op_sel_hi:[1,0,1]
	v_cvt_f32_f16_e32 v27, v53
	v_cvt_f32_f16_e32 v37, v54
	v_pk_fma_f32 v[16:17], v[30:31], v[50:51], v[16:17] op_sel_hi:[1,0,1]
	v_cvt_f32_f16_e32 v22, v1
	v_cvt_f32_f16_e32 v38, v38
	;; [unrolled: 1-line block ×3, first 2 shown]
	v_lshrrev_b32_e32 v1, 16, v63
	v_cvt_f32_f16_e32 v30, v63
	v_pk_fma_f32 v[12:13], v[26:27], v[22:23], v[12:13] op_sel_hi:[1,0,1]
	v_pk_fma_f32 v[16:17], v[36:37], v[22:23], v[16:17] op_sel_hi:[1,0,1]
	v_cvt_f32_f16_e32 v28, v40
	v_cvt_f32_f16_e32 v40, v41
	;; [unrolled: 1-line block ×4, first 2 shown]
	v_pk_fma_f32 v[12:13], v[38:39], v[30:31], v[12:13] op_sel_hi:[1,0,1]
	v_pk_fma_f32 v[16:17], v[32:33], v[30:31], v[16:17] op_sel_hi:[1,0,1]
	v_cvt_f32_f16_e32 v24, v43
	v_dual_lshrrev_b32 v35, 16, v44 :: v_dual_lshrrev_b32 v49, 16, v45
	v_cvt_f32_f16_e32 v34, v44
	v_cvt_f32_f16_e32 v44, v45
	;; [unrolled: 1-line block ×4, first 2 shown]
	s_wait_loadcnt 0x1
	v_lshrrev_b32_e32 v1, 16, v64
	v_cvt_f32_f16_e32 v26, v64
	v_pk_fma_f32 v[12:13], v[28:29], v[22:23], v[12:13] op_sel_hi:[1,0,1]
	v_pk_fma_f32 v[16:17], v[40:41], v[22:23], v[16:17] op_sel_hi:[1,0,1]
	v_cvt_f32_f16_e32 v35, v35
	v_cvt_f32_f16_e32 v22, v1
	v_lshrrev_b32_e32 v1, 16, v65
	v_pk_fma_f32 v[12:13], v[42:43], v[26:27], v[12:13] op_sel_hi:[1,0,1]
	v_pk_fma_f32 v[16:17], v[24:25], v[26:27], v[16:17] op_sel_hi:[1,0,1]
	v_cvt_f32_f16_e32 v24, v65
	s_delay_alu instid0(VALU_DEP_3) | instskip(SKIP_4) | instid1(VALU_DEP_3)
	v_pk_fma_f32 v[12:13], v[34:35], v[22:23], v[12:13] op_sel_hi:[1,0,1]
	s_wait_loadcnt 0x0
	v_dual_lshrrev_b32 v45, 16, v18 :: v_dual_lshrrev_b32 v57, 16, v20
	v_dual_lshrrev_b32 v58, 16, v19 :: v_dual_lshrrev_b32 v59, 16, v21
	v_cvt_f32_f16_e32 v46, v19
	v_cvt_f32_f16_e32 v19, v45
	;; [unrolled: 1-line block ×7, first 2 shown]
	v_pk_fma_f32 v[16:17], v[44:45], v[22:23], v[16:17] op_sel_hi:[1,0,1]
	v_cvt_f32_f16_e32 v21, v57
	v_cvt_f32_f16_e32 v49, v59
	v_cvt_f32_f16_e32 v22, v1
	v_pk_fma_f32 v[12:13], v[18:19], v[24:25], v[12:13] op_sel_hi:[1,0,1]
	v_pk_fma_f32 v[16:17], v[46:47], v[24:25], v[16:17] op_sel_hi:[1,0,1]
	s_delay_alu instid0(VALU_DEP_2) | instskip(NEXT) | instid1(VALU_DEP_2)
	v_pk_fma_f32 v[12:13], v[20:21], v[22:23], v[12:13] op_sel_hi:[1,0,1]
	v_pk_fma_f32 v[16:17], v[48:49], v[22:23], v[16:17] op_sel_hi:[1,0,1]
	s_and_not1_b32 exec_lo, exec_lo, s6
	s_cbranch_execnz .LBB102_35
; %bb.36:
	s_or_b32 exec_lo, exec_lo, s6
	s_delay_alu instid0(VALU_DEP_1)
	v_dual_mov_b32 v15, v17 :: v_dual_mov_b32 v14, v16
.LBB102_37:
	s_or_b32 exec_lo, exec_lo, s2
.LBB102_38:
	s_delay_alu instid0(SALU_CYCLE_1)
	s_or_b32 exec_lo, exec_lo, s3
.LBB102_39:
	v_mbcnt_lo_u32_b32 v1, -1, 0
	s_mov_b32 s2, -1
	s_delay_alu instid0(VALU_DEP_1) | instskip(SKIP_1) | instid1(VALU_DEP_1)
	v_xor_b32_e32 v8, 4, v1
	v_xor_b32_e32 v4, 8, v1
	v_cmp_gt_i32_e32 vcc_lo, 32, v4
	v_cndmask_b32_e32 v4, v1, v4, vcc_lo
	s_delay_alu instid0(VALU_DEP_4) | instskip(NEXT) | instid1(VALU_DEP_2)
	v_cmp_gt_i32_e32 vcc_lo, 32, v8
	v_lshlrev_b32_e32 v7, 2, v4
	v_cndmask_b32_e32 v8, v1, v8, vcc_lo
	ds_bpermute_b32 v4, v7, v12
	ds_bpermute_b32 v5, v7, v13
	;; [unrolled: 1-line block ×4, first 2 shown]
	v_lshlrev_b32_e32 v11, 2, v8
	s_wait_dscnt 0x2
	v_pk_add_f32 v[4:5], v[12:13], v[4:5]
	v_xor_b32_e32 v12, 2, v1
	s_wait_dscnt 0x0
	v_pk_add_f32 v[6:7], v[14:15], v[6:7]
	ds_bpermute_b32 v8, v11, v4
	ds_bpermute_b32 v9, v11, v5
	;; [unrolled: 1-line block ×4, first 2 shown]
	v_cmp_gt_i32_e32 vcc_lo, 32, v12
	v_cndmask_b32_e32 v12, v1, v12, vcc_lo
	s_delay_alu instid0(VALU_DEP_1)
	v_lshlrev_b32_e32 v12, 2, v12
	s_wait_dscnt 0x2
	v_pk_add_f32 v[4:5], v[4:5], v[8:9]
	s_wait_dscnt 0x0
	v_pk_add_f32 v[6:7], v[6:7], v[10:11]
	ds_bpermute_b32 v8, v12, v4
	ds_bpermute_b32 v9, v12, v5
	;; [unrolled: 1-line block ×4, first 2 shown]
	v_xor_b32_e32 v12, 1, v1
	s_delay_alu instid0(VALU_DEP_1) | instskip(SKIP_2) | instid1(VALU_DEP_2)
	v_cmp_gt_i32_e32 vcc_lo, 32, v12
	v_cndmask_b32_e32 v1, v1, v12, vcc_lo
	v_cmp_eq_u32_e32 vcc_lo, 15, v0
	v_lshlrev_b32_e32 v1, 2, v1
	s_wait_dscnt 0x2
	v_pk_add_f32 v[4:5], v[4:5], v[8:9]
	s_wait_dscnt 0x0
	v_pk_add_f32 v[8:9], v[6:7], v[10:11]
	ds_bpermute_b32 v6, v1, v4
	ds_bpermute_b32 v7, v1, v5
	;; [unrolled: 1-line block ×4, first 2 shown]
	s_and_b32 exec_lo, exec_lo, vcc_lo
	s_cbranch_execz .LBB102_10
; %bb.40:
	s_load_b64 s[0:1], s[0:1], 0x58
	s_wait_dscnt 0x2
	v_pk_add_f32 v[6:7], v[4:5], v[6:7]
	s_wait_dscnt 0x0
	v_pk_add_f32 v[4:5], v[8:9], v[10:11]
	s_cmp_eq_f32 s16, 0
	s_wait_kmcnt 0x0
	v_lshl_add_u64 v[0:1], v[2:3], 4, s[0:1]
	s_cbranch_scc0 .LBB102_42
; %bb.41:
	v_pk_mul_f32 v[8:9], s[12:13], v[6:7] op_sel_hi:[0,1]
	v_pk_mul_f32 v[10:11], s[12:13], v[4:5] op_sel_hi:[0,1]
	s_mov_b32 s2, 0
	global_store_b128 v[0:1], v[8:11], off
.LBB102_42:
	s_and_not1_b32 vcc_lo, exec_lo, s2
	s_cbranch_vccnz .LBB102_10
; %bb.43:
	global_load_b128 v[8:11], v[0:1], off
	v_pk_mul_f32 v[2:3], s[12:13], v[6:7] op_sel_hi:[0,1]
	v_pk_mul_f32 v[4:5], s[12:13], v[4:5] op_sel_hi:[0,1]
	s_wait_loadcnt 0x0
	s_delay_alu instid0(VALU_DEP_2) | instskip(NEXT) | instid1(VALU_DEP_2)
	v_pk_fma_f32 v[2:3], s[16:17], v[8:9], v[2:3] op_sel_hi:[0,1,1]
	v_pk_fma_f32 v[4:5], s[16:17], v[10:11], v[4:5] op_sel_hi:[0,1,1]
	global_store_b128 v[0:1], v[2:5], off
	s_sendmsg sendmsg(MSG_DEALLOC_VGPRS)
	s_endpgm
	.section	.rodata,"a",@progbits
	.p2align	6, 0x0
	.amdhsa_kernel _ZN9rocsparseL18bsrxmvn_4x4_kernelILj128ELj16EfllDF16_DF16_fEEvT3_20rocsparse_direction_NS_24const_host_device_scalarIT1_EES1_PKS1_PKT2_SA_S7_PKT4_PKT5_S5_PT6_21rocsparse_index_base_b
		.amdhsa_group_segment_fixed_size 0
		.amdhsa_private_segment_fixed_size 0
		.amdhsa_kernarg_size 104
		.amdhsa_user_sgpr_count 2
		.amdhsa_user_sgpr_dispatch_ptr 0
		.amdhsa_user_sgpr_queue_ptr 0
		.amdhsa_user_sgpr_kernarg_segment_ptr 1
		.amdhsa_user_sgpr_dispatch_id 0
		.amdhsa_user_sgpr_kernarg_preload_length 0
		.amdhsa_user_sgpr_kernarg_preload_offset 0
		.amdhsa_user_sgpr_private_segment_size 0
		.amdhsa_wavefront_size32 1
		.amdhsa_uses_dynamic_stack 0
		.amdhsa_enable_private_segment 0
		.amdhsa_system_sgpr_workgroup_id_x 1
		.amdhsa_system_sgpr_workgroup_id_y 0
		.amdhsa_system_sgpr_workgroup_id_z 0
		.amdhsa_system_sgpr_workgroup_info 0
		.amdhsa_system_vgpr_workitem_id 0
		.amdhsa_next_free_vgpr 77
		.amdhsa_next_free_sgpr 18
		.amdhsa_named_barrier_count 0
		.amdhsa_reserve_vcc 1
		.amdhsa_float_round_mode_32 0
		.amdhsa_float_round_mode_16_64 0
		.amdhsa_float_denorm_mode_32 3
		.amdhsa_float_denorm_mode_16_64 3
		.amdhsa_fp16_overflow 0
		.amdhsa_memory_ordered 1
		.amdhsa_forward_progress 1
		.amdhsa_inst_pref_size 36
		.amdhsa_round_robin_scheduling 0
		.amdhsa_exception_fp_ieee_invalid_op 0
		.amdhsa_exception_fp_denorm_src 0
		.amdhsa_exception_fp_ieee_div_zero 0
		.amdhsa_exception_fp_ieee_overflow 0
		.amdhsa_exception_fp_ieee_underflow 0
		.amdhsa_exception_fp_ieee_inexact 0
		.amdhsa_exception_int_div_zero 0
	.end_amdhsa_kernel
	.section	.text._ZN9rocsparseL18bsrxmvn_4x4_kernelILj128ELj16EfllDF16_DF16_fEEvT3_20rocsparse_direction_NS_24const_host_device_scalarIT1_EES1_PKS1_PKT2_SA_S7_PKT4_PKT5_S5_PT6_21rocsparse_index_base_b,"axG",@progbits,_ZN9rocsparseL18bsrxmvn_4x4_kernelILj128ELj16EfllDF16_DF16_fEEvT3_20rocsparse_direction_NS_24const_host_device_scalarIT1_EES1_PKS1_PKT2_SA_S7_PKT4_PKT5_S5_PT6_21rocsparse_index_base_b,comdat
.Lfunc_end102:
	.size	_ZN9rocsparseL18bsrxmvn_4x4_kernelILj128ELj16EfllDF16_DF16_fEEvT3_20rocsparse_direction_NS_24const_host_device_scalarIT1_EES1_PKS1_PKT2_SA_S7_PKT4_PKT5_S5_PT6_21rocsparse_index_base_b, .Lfunc_end102-_ZN9rocsparseL18bsrxmvn_4x4_kernelILj128ELj16EfllDF16_DF16_fEEvT3_20rocsparse_direction_NS_24const_host_device_scalarIT1_EES1_PKS1_PKT2_SA_S7_PKT4_PKT5_S5_PT6_21rocsparse_index_base_b
                                        ; -- End function
	.set _ZN9rocsparseL18bsrxmvn_4x4_kernelILj128ELj16EfllDF16_DF16_fEEvT3_20rocsparse_direction_NS_24const_host_device_scalarIT1_EES1_PKS1_PKT2_SA_S7_PKT4_PKT5_S5_PT6_21rocsparse_index_base_b.num_vgpr, 77
	.set _ZN9rocsparseL18bsrxmvn_4x4_kernelILj128ELj16EfllDF16_DF16_fEEvT3_20rocsparse_direction_NS_24const_host_device_scalarIT1_EES1_PKS1_PKT2_SA_S7_PKT4_PKT5_S5_PT6_21rocsparse_index_base_b.num_agpr, 0
	.set _ZN9rocsparseL18bsrxmvn_4x4_kernelILj128ELj16EfllDF16_DF16_fEEvT3_20rocsparse_direction_NS_24const_host_device_scalarIT1_EES1_PKS1_PKT2_SA_S7_PKT4_PKT5_S5_PT6_21rocsparse_index_base_b.numbered_sgpr, 18
	.set _ZN9rocsparseL18bsrxmvn_4x4_kernelILj128ELj16EfllDF16_DF16_fEEvT3_20rocsparse_direction_NS_24const_host_device_scalarIT1_EES1_PKS1_PKT2_SA_S7_PKT4_PKT5_S5_PT6_21rocsparse_index_base_b.num_named_barrier, 0
	.set _ZN9rocsparseL18bsrxmvn_4x4_kernelILj128ELj16EfllDF16_DF16_fEEvT3_20rocsparse_direction_NS_24const_host_device_scalarIT1_EES1_PKS1_PKT2_SA_S7_PKT4_PKT5_S5_PT6_21rocsparse_index_base_b.private_seg_size, 0
	.set _ZN9rocsparseL18bsrxmvn_4x4_kernelILj128ELj16EfllDF16_DF16_fEEvT3_20rocsparse_direction_NS_24const_host_device_scalarIT1_EES1_PKS1_PKT2_SA_S7_PKT4_PKT5_S5_PT6_21rocsparse_index_base_b.uses_vcc, 1
	.set _ZN9rocsparseL18bsrxmvn_4x4_kernelILj128ELj16EfllDF16_DF16_fEEvT3_20rocsparse_direction_NS_24const_host_device_scalarIT1_EES1_PKS1_PKT2_SA_S7_PKT4_PKT5_S5_PT6_21rocsparse_index_base_b.uses_flat_scratch, 0
	.set _ZN9rocsparseL18bsrxmvn_4x4_kernelILj128ELj16EfllDF16_DF16_fEEvT3_20rocsparse_direction_NS_24const_host_device_scalarIT1_EES1_PKS1_PKT2_SA_S7_PKT4_PKT5_S5_PT6_21rocsparse_index_base_b.has_dyn_sized_stack, 0
	.set _ZN9rocsparseL18bsrxmvn_4x4_kernelILj128ELj16EfllDF16_DF16_fEEvT3_20rocsparse_direction_NS_24const_host_device_scalarIT1_EES1_PKS1_PKT2_SA_S7_PKT4_PKT5_S5_PT6_21rocsparse_index_base_b.has_recursion, 0
	.set _ZN9rocsparseL18bsrxmvn_4x4_kernelILj128ELj16EfllDF16_DF16_fEEvT3_20rocsparse_direction_NS_24const_host_device_scalarIT1_EES1_PKS1_PKT2_SA_S7_PKT4_PKT5_S5_PT6_21rocsparse_index_base_b.has_indirect_call, 0
	.section	.AMDGPU.csdata,"",@progbits
; Kernel info:
; codeLenInByte = 4520
; TotalNumSgprs: 20
; NumVgprs: 77
; ScratchSize: 0
; MemoryBound: 0
; FloatMode: 240
; IeeeMode: 1
; LDSByteSize: 0 bytes/workgroup (compile time only)
; SGPRBlocks: 0
; VGPRBlocks: 4
; NumSGPRsForWavesPerEU: 20
; NumVGPRsForWavesPerEU: 77
; NamedBarCnt: 0
; Occupancy: 12
; WaveLimiterHint : 1
; COMPUTE_PGM_RSRC2:SCRATCH_EN: 0
; COMPUTE_PGM_RSRC2:USER_SGPR: 2
; COMPUTE_PGM_RSRC2:TRAP_HANDLER: 0
; COMPUTE_PGM_RSRC2:TGID_X_EN: 1
; COMPUTE_PGM_RSRC2:TGID_Y_EN: 0
; COMPUTE_PGM_RSRC2:TGID_Z_EN: 0
; COMPUTE_PGM_RSRC2:TIDIG_COMP_CNT: 0
	.section	.text._ZN9rocsparseL18bsrxmvn_4x4_kernelILj128ELj32EfllDF16_DF16_fEEvT3_20rocsparse_direction_NS_24const_host_device_scalarIT1_EES1_PKS1_PKT2_SA_S7_PKT4_PKT5_S5_PT6_21rocsparse_index_base_b,"axG",@progbits,_ZN9rocsparseL18bsrxmvn_4x4_kernelILj128ELj32EfllDF16_DF16_fEEvT3_20rocsparse_direction_NS_24const_host_device_scalarIT1_EES1_PKS1_PKT2_SA_S7_PKT4_PKT5_S5_PT6_21rocsparse_index_base_b,comdat
	.globl	_ZN9rocsparseL18bsrxmvn_4x4_kernelILj128ELj32EfllDF16_DF16_fEEvT3_20rocsparse_direction_NS_24const_host_device_scalarIT1_EES1_PKS1_PKT2_SA_S7_PKT4_PKT5_S5_PT6_21rocsparse_index_base_b ; -- Begin function _ZN9rocsparseL18bsrxmvn_4x4_kernelILj128ELj32EfllDF16_DF16_fEEvT3_20rocsparse_direction_NS_24const_host_device_scalarIT1_EES1_PKS1_PKT2_SA_S7_PKT4_PKT5_S5_PT6_21rocsparse_index_base_b
	.p2align	8
	.type	_ZN9rocsparseL18bsrxmvn_4x4_kernelILj128ELj32EfllDF16_DF16_fEEvT3_20rocsparse_direction_NS_24const_host_device_scalarIT1_EES1_PKS1_PKT2_SA_S7_PKT4_PKT5_S5_PT6_21rocsparse_index_base_b,@function
_ZN9rocsparseL18bsrxmvn_4x4_kernelILj128ELj32EfllDF16_DF16_fEEvT3_20rocsparse_direction_NS_24const_host_device_scalarIT1_EES1_PKS1_PKT2_SA_S7_PKT4_PKT5_S5_PT6_21rocsparse_index_base_b: ; @_ZN9rocsparseL18bsrxmvn_4x4_kernelILj128ELj32EfllDF16_DF16_fEEvT3_20rocsparse_direction_NS_24const_host_device_scalarIT1_EES1_PKS1_PKT2_SA_S7_PKT4_PKT5_S5_PT6_21rocsparse_index_base_b
; %bb.0:
	s_clause 0x2
	s_load_b64 s[2:3], s[0:1], 0x60
	s_load_b128 s[12:15], s[0:1], 0x10
	s_load_b64 s[16:17], s[0:1], 0x50
	s_wait_kmcnt 0x0
	s_bitcmp1_b32 s3, 0
	s_cselect_b32 s3, -1, 0
	s_delay_alu instid0(SALU_CYCLE_1)
	s_and_b32 vcc_lo, exec_lo, s3
	s_xor_b32 s3, s3, -1
	s_cbranch_vccnz .LBB103_2
; %bb.1:
	s_load_b32 s12, s[12:13], 0x0
.LBB103_2:
	s_and_not1_b32 vcc_lo, exec_lo, s3
	s_cbranch_vccnz .LBB103_4
; %bb.3:
	s_load_b32 s16, s[16:17], 0x0
.LBB103_4:
	s_wait_kmcnt 0x0
	s_cmp_neq_f32 s12, 0
	s_mov_b32 s6, 0
	s_cselect_b32 s3, -1, 0
	s_cmp_neq_f32 s16, 1.0
	s_cselect_b32 s4, -1, 0
	s_delay_alu instid0(SALU_CYCLE_1) | instskip(NEXT) | instid1(SALU_CYCLE_1)
	s_or_b32 s3, s3, s4
	s_and_not1_b32 vcc_lo, exec_lo, s3
	s_cbranch_vccnz .LBB103_10
; %bb.5:
	s_load_b64 s[4:5], s[0:1], 0x20
	s_bfe_u32 s3, ttmp6, 0x4000c
	s_and_b32 s7, ttmp6, 15
	s_add_co_i32 s3, s3, 1
	s_getreg_b32 s8, hwreg(HW_REG_IB_STS2, 6, 4)
	s_mul_i32 s3, ttmp9, s3
	v_dual_lshrrev_b32 v1, 5, v0 :: v_dual_mov_b32 v7, 0
	s_add_co_i32 s7, s7, s3
	s_cmp_eq_u32 s8, 0
	s_cselect_b32 s3, ttmp9, s7
	s_delay_alu instid0(VALU_DEP_1) | instid1(SALU_CYCLE_1)
	v_lshl_or_b32 v6, s3, 2, v1
	s_wait_kmcnt 0x0
	s_cmp_lg_u64 s[4:5], 0
	s_cbranch_scc0 .LBB103_11
; %bb.6:
	s_mov_b32 s7, 0
                                        ; implicit-def: $vgpr2_vgpr3
                                        ; implicit-def: $vgpr4_vgpr5
	s_mov_b32 s3, exec_lo
	v_cmpx_gt_i64_e64 s[14:15], v[6:7]
	s_xor_b32 s8, exec_lo, s3
	s_cbranch_execz .LBB103_8
; %bb.7:
	v_lshl_add_u64 v[2:3], v[6:7], 3, s[4:5]
	s_mov_b32 s3, 0
	s_mov_b32 s6, exec_lo
	v_mov_b64_e32 v[4:5], s[2:3]
	global_load_b64 v[2:3], v[2:3], off
	s_wait_loadcnt 0x0
	v_sub_nc_u64_e64 v[2:3], v[2:3], s[2:3]
.LBB103_8:
	s_or_b32 exec_lo, exec_lo, s8
	s_delay_alu instid0(SALU_CYCLE_1)
	s_and_b32 vcc_lo, exec_lo, s7
	s_cbranch_vccnz .LBB103_12
.LBB103_9:
	s_and_saveexec_b32 s2, s6
	s_cbranch_execnz .LBB103_15
.LBB103_10:
	s_sendmsg sendmsg(MSG_DEALLOC_VGPRS)
	s_endpgm
.LBB103_11:
                                        ; implicit-def: $vgpr2_vgpr3
                                        ; implicit-def: $vgpr4_vgpr5
	s_cbranch_execz .LBB103_9
.LBB103_12:
	s_load_b64 s[4:5], s[0:1], 0x0
	s_wait_kmcnt 0x0
	v_cmp_gt_i64_e32 vcc_lo, s[4:5], v[6:7]
	s_and_saveexec_b32 s4, vcc_lo
; %bb.13:
	s_mov_b32 s3, 0
	s_or_b32 s6, s6, exec_lo
; %bb.14:
	s_or_b32 exec_lo, exec_lo, s4
	v_mov_b64_e32 v[4:5], s[2:3]
	v_mov_b64_e32 v[2:3], v[6:7]
	s_and_saveexec_b32 s2, s6
	s_cbranch_execz .LBB103_10
.LBB103_15:
	s_load_b256 s[4:11], s[0:1], 0x28
	s_delay_alu instid0(VALU_DEP_1) | instskip(SKIP_3) | instid1(VALU_DEP_2)
	v_lshlrev_b64_e32 v[6:7], 3, v[2:3]
	v_dual_mov_b32 v1, 0 :: v_dual_bitop2_b32 v0, 31, v0 bitop3:0x40
	s_load_b32 s3, s[0:1], 0x8
	s_wait_kmcnt 0x0
	v_add_nc_u64_e32 v[8:9], s[4:5], v[6:7]
	v_add_nc_u64_e32 v[6:7], s[6:7], v[6:7]
	s_cmp_eq_u64 s[6:7], 0
	s_load_b64 s[4:5], s[0:1], 0x48
	s_cselect_b32 vcc_lo, -1, 0
	s_cmp_eq_u32 s3, 1
	global_load_b64 v[14:15], v[8:9], off
	s_wait_xcnt 0x0
	v_add_nc_u64_e32 v[8:9], 8, v[8:9]
	s_delay_alu instid0(VALU_DEP_1) | instskip(SKIP_4) | instid1(VALU_DEP_1)
	v_dual_cndmask_b32 v7, v7, v9 :: v_dual_cndmask_b32 v6, v6, v8
	global_load_b64 v[8:9], v[6:7], off
	s_wait_loadcnt 0x1
	s_wait_xcnt 0x0
	v_sub_nc_u64_e32 v[6:7], v[14:15], v[4:5]
	v_add_nc_u64_e32 v[6:7], v[6:7], v[0:1]
	s_wait_loadcnt 0x0
	v_sub_nc_u64_e32 v[8:9], v[8:9], v[4:5]
	s_delay_alu instid0(VALU_DEP_2) | instskip(NEXT) | instid1(VALU_DEP_2)
	v_lshlrev_b64_e32 v[10:11], 5, v[6:7]
	v_cmp_lt_i64_e64 s2, v[6:7], v[8:9]
	s_delay_alu instid0(VALU_DEP_2)
	v_add_nc_u64_e32 v[10:11], s[10:11], v[10:11]
	s_cbranch_scc1 .LBB103_27
; %bb.16:
	v_dual_mov_b32 v21, v1 :: v_dual_mov_b32 v20, v1
	v_dual_mov_b32 v13, v1 :: v_dual_mov_b32 v12, v1
	s_and_saveexec_b32 s3, s2
	s_cbranch_execz .LBB103_26
; %bb.17:
	v_dual_mov_b32 v13, v1 :: v_dual_bitop2_b32 v12, 32, v0 bitop3:0x54
	v_sub_nc_u64_e32 v[16:17], v[4:5], v[0:1]
	v_not_b32_e32 v19, v15
	v_not_b32_e32 v18, v14
	v_mov_b32_e32 v20, 0
	v_sub_nc_u64_e32 v[12:13], v[12:13], v[4:5]
	v_mov_b64_e32 v[22:23], 0
	s_delay_alu instid0(VALU_DEP_4) | instskip(SKIP_1) | instid1(VALU_DEP_4)
	v_add_nc_u64_e32 v[16:17], v[16:17], v[18:19]
	v_mov_b64_e32 v[18:19], v[10:11]
	v_add_nc_u64_e32 v[12:13], v[12:13], v[14:15]
	s_delay_alu instid0(VALU_DEP_1) | instskip(NEXT) | instid1(VALU_DEP_1)
	v_max_i64 v[12:13], v[12:13], v[8:9]
	v_add_nc_u64_e32 v[24:25], v[16:17], v[12:13]
	v_mov_b32_e32 v17, v20
	v_mov_b64_e32 v[12:13], 0
	s_delay_alu instid0(VALU_DEP_3) | instskip(NEXT) | instid1(VALU_DEP_1)
	v_and_b32_e32 v16, 0x60, v24
	v_cmp_ne_u64_e32 vcc_lo, 0x60, v[16:17]
	v_mov_b64_e32 v[16:17], v[6:7]
	s_and_saveexec_b32 s6, vcc_lo
	s_cbranch_execz .LBB103_21
; %bb.18:
	v_dual_mov_b32 v13, v20 :: v_dual_lshrrev_b32 v12, 5, v24
	v_mov_b64_e32 v[18:19], v[10:11]
	v_mov_b64_e32 v[16:17], v[6:7]
	v_lshl_add_u64 v[22:23], v[6:7], 3, s[8:9]
	s_delay_alu instid0(VALU_DEP_4) | instskip(SKIP_1) | instid1(VALU_DEP_1)
	v_dual_mov_b32 v21, v20 :: v_dual_add_nc_u32 v12, 1, v12
	s_mov_b32 s7, 0
	v_and_b32_e32 v12, 3, v12
	s_delay_alu instid0(VALU_DEP_1)
	v_sub_nc_u64_e32 v[26:27], 0, v[12:13]
	v_mov_b32_e32 v12, v20
.LBB103_19:                             ; =>This Inner Loop Header: Depth=1
	global_load_b64 v[32:33], v[22:23], off
	global_load_b128 v[28:31], v[18:19], off
	v_add_nc_u64_e32 v[26:27], 1, v[26:27]
	v_add_nc_u64_e32 v[16:17], 32, v[16:17]
	s_wait_xcnt 0x1
	v_add_nc_u64_e32 v[22:23], 0x100, v[22:23]
	s_delay_alu instid0(VALU_DEP_3)
	v_cmp_eq_u64_e32 vcc_lo, 0, v[26:27]
	s_or_b32 s7, vcc_lo, s7
	s_wait_loadcnt 0x1
	v_sub_nc_u64_e32 v[32:33], v[32:33], v[4:5]
	s_wait_loadcnt 0x0
	v_dual_lshrrev_b32 v44, 16, v29 :: v_dual_lshrrev_b32 v42, 16, v31
	v_dual_lshrrev_b32 v43, 16, v30 :: v_dual_lshrrev_b32 v45, 16, v28
	v_cvt_f32_f16_e32 v41, v30
	v_cvt_f32_f16_e32 v40, v28
	s_wait_kmcnt 0x0
	v_lshl_add_u64 v[36:37], v[32:33], 3, s[4:5]
	global_load_b128 v[32:35], v[18:19], off offset:16
	global_load_b64 v[38:39], v[36:37], off
	s_wait_xcnt 0x0
	v_cvt_f32_f16_e32 v36, v29
	v_cvt_f32_f16_e32 v37, v31
	v_add_nc_u64_e32 v[18:19], 0x400, v[18:19]
	s_wait_loadcnt 0x1
	v_dual_lshrrev_b32 v46, 16, v33 :: v_dual_lshrrev_b32 v47, 16, v35
	v_cvt_f32_f16_e32 v31, v34
	v_cvt_f32_f16_e32 v30, v32
	v_dual_lshrrev_b32 v48, 16, v34 :: v_dual_lshrrev_b32 v49, 16, v32
	v_cvt_f32_f16_e32 v29, v35
	v_cvt_f32_f16_e32 v32, v45
	;; [unrolled: 1-line block ×3, first 2 shown]
	s_wait_loadcnt 0x0
	v_lshrrev_b32_e32 v45, 16, v38
	v_cvt_f32_f16_e32 v34, v38
	v_cvt_f32_f16_e32 v28, v33
	;; [unrolled: 1-line block ×5, first 2 shown]
	v_pk_fma_f32 v[12:13], v[40:41], v[34:35], v[12:13] op_sel_hi:[1,0,1]
	v_pk_fma_f32 v[20:21], v[30:31], v[34:35], v[20:21] op_sel_hi:[1,0,1]
	v_lshrrev_b32_e32 v31, 16, v39
	v_cvt_f32_f16_e32 v38, v45
	v_cvt_f32_f16_e32 v30, v39
	;; [unrolled: 1-line block ×3, first 2 shown]
	s_delay_alu instid0(VALU_DEP_3)
	v_pk_fma_f32 v[12:13], v[32:33], v[38:39], v[12:13] op_sel_hi:[1,0,1]
	v_pk_fma_f32 v[20:21], v[42:43], v[38:39], v[20:21] op_sel_hi:[1,0,1]
	v_cvt_f32_f16_e32 v33, v47
	v_cvt_f32_f16_e32 v32, v46
	;; [unrolled: 1-line block ×3, first 2 shown]
	v_pk_fma_f32 v[12:13], v[36:37], v[30:31], v[12:13] op_sel_hi:[1,0,1]
	v_pk_fma_f32 v[20:21], v[28:29], v[30:31], v[20:21] op_sel_hi:[1,0,1]
	s_delay_alu instid0(VALU_DEP_2) | instskip(NEXT) | instid1(VALU_DEP_2)
	v_pk_fma_f32 v[12:13], v[34:35], v[38:39], v[12:13] op_sel_hi:[1,0,1]
	v_pk_fma_f32 v[20:21], v[32:33], v[38:39], v[20:21] op_sel_hi:[1,0,1]
	s_and_not1_b32 exec_lo, exec_lo, s7
	s_cbranch_execnz .LBB103_19
; %bb.20:
	s_or_b32 exec_lo, exec_lo, s7
	s_delay_alu instid0(VALU_DEP_1)
	v_mov_b64_e32 v[22:23], v[20:21]
.LBB103_21:
	s_or_b32 exec_lo, exec_lo, s6
	s_delay_alu instid0(SALU_CYCLE_1)
	s_mov_b32 s6, exec_lo
	v_cmpx_lt_u64_e32 0x5f, v[24:25]
	s_cbranch_execz .LBB103_25
; %bb.22:
	v_lshl_add_u64 v[20:21], v[16:17], 3, s[8:9]
	s_mov_b32 s7, 0
	s_delay_alu instid0(VALU_DEP_1)
	v_add_nc_u64_e32 v[20:21], 0x200, v[20:21]
.LBB103_23:                             ; =>This Inner Loop Header: Depth=1
	s_clause 0x2
	global_load_b128 v[24:27], v[18:19], off
	global_load_b128 v[28:31], v[18:19], off offset:16
	global_load_b128 v[32:35], v[18:19], off offset:1024
	s_clause 0x3
	global_load_b64 v[44:45], v[20:21], off offset:-512
	global_load_b64 v[46:47], v[20:21], off offset:-256
	global_load_b64 v[48:49], v[20:21], off
	global_load_b64 v[50:51], v[20:21], off offset:256
	s_clause 0x1
	global_load_b128 v[36:39], v[18:19], off offset:2048
	global_load_b128 v[40:43], v[18:19], off offset:1040
	v_add_nc_u64_e32 v[16:17], 0x80, v[16:17]
	s_wait_xcnt 0x2
	v_add_nc_u64_e32 v[20:21], 0x400, v[20:21]
	s_delay_alu instid0(VALU_DEP_2)
	v_cmp_ge_i64_e32 vcc_lo, v[16:17], v[8:9]
	s_or_b32 s7, vcc_lo, s7
	s_wait_loadcnt 0x8
	v_dual_lshrrev_b32 v64, 16, v25 :: v_dual_lshrrev_b32 v65, 16, v27
	s_wait_loadcnt 0x7
	v_dual_lshrrev_b32 v68, 16, v29 :: v_dual_lshrrev_b32 v69, 16, v31
	v_cvt_f32_f16_e32 v56, v29
	v_cvt_f32_f16_e32 v58, v28
	v_dual_lshrrev_b32 v70, 16, v30 :: v_dual_lshrrev_b32 v71, 16, v28
	s_wait_loadcnt 0x5
	v_sub_nc_u64_e32 v[28:29], v[44:45], v[4:5]
	v_cvt_f32_f16_e32 v59, v30
	v_cvt_f32_f16_e32 v57, v31
	s_wait_loadcnt 0x4
	v_sub_nc_u64_e32 v[30:31], v[46:47], v[4:5]
	v_cvt_f32_f16_e32 v60, v32
	v_dual_lshrrev_b32 v72, 16, v32 :: v_dual_lshrrev_b32 v73, 16, v34
	v_cvt_f32_f16_e32 v62, v33
	v_dual_lshrrev_b32 v74, 16, v33 :: v_dual_lshrrev_b32 v75, 16, v35
	s_wait_loadcnt 0x3
	v_sub_nc_u64_e32 v[32:33], v[48:49], v[4:5]
	v_cvt_f32_f16_e32 v61, v34
	v_cvt_f32_f16_e32 v63, v35
	s_wait_loadcnt 0x2
	v_sub_nc_u64_e32 v[34:35], v[50:51], v[4:5]
	s_wait_kmcnt 0x0
	v_lshl_add_u64 v[28:29], v[28:29], 3, s[4:5]
	v_lshl_add_u64 v[30:31], v[30:31], 3, s[4:5]
	v_cvt_f32_f16_e32 v52, v25
	v_lshl_add_u64 v[32:33], v[32:33], 3, s[4:5]
	v_cvt_f32_f16_e32 v55, v26
	v_cvt_f32_f16_e32 v54, v24
	v_lshl_add_u64 v[34:35], v[34:35], 3, s[4:5]
	v_dual_lshrrev_b32 v66, 16, v26 :: v_dual_lshrrev_b32 v67, 16, v24
	v_cvt_f32_f16_e32 v53, v27
	global_load_b128 v[24:27], v[18:19], off offset:2064
	s_clause 0x3
	global_load_b64 v[44:45], v[28:29], off
	global_load_b64 v[46:47], v[30:31], off
	global_load_b64 v[48:49], v[32:33], off
	global_load_b64 v[50:51], v[34:35], off
	s_wait_xcnt 0x2
	v_cvt_f32_f16_e32 v31, v70
	v_cvt_f32_f16_e32 v30, v71
	s_wait_loadcnt 0x6
	v_dual_lshrrev_b32 v78, 16, v37 :: v_dual_lshrrev_b32 v79, 16, v39
	v_dual_lshrrev_b32 v76, 16, v36 :: v_dual_lshrrev_b32 v77, 16, v38
	s_wait_loadcnt 0x3
	v_cvt_f32_f16_e32 v28, v44
	s_wait_xcnt 0x1
	v_lshrrev_b32_e32 v32, 16, v44
	v_lshrrev_b32_e32 v44, 16, v40
	s_delay_alu instid0(VALU_DEP_3)
	v_pk_fma_f32 v[12:13], v[54:55], v[28:29], v[12:13] op_sel_hi:[1,0,1]
	v_pk_fma_f32 v[22:23], v[58:59], v[28:29], v[22:23] op_sel_hi:[1,0,1]
	v_cvt_f32_f16_e32 v29, v66
	v_cvt_f32_f16_e32 v28, v67
	;; [unrolled: 1-line block ×7, first 2 shown]
	v_pk_fma_f32 v[12:13], v[28:29], v[32:33], v[12:13] op_sel_hi:[1,0,1]
	v_pk_fma_f32 v[22:23], v[30:31], v[32:33], v[22:23] op_sel_hi:[1,0,1]
	global_load_b128 v[28:31], v[18:19], off offset:3072
	v_cvt_f32_f16_e32 v32, v45
	s_delay_alu instid0(VALU_DEP_1)
	v_pk_fma_f32 v[12:13], v[52:53], v[32:33], v[12:13] op_sel_hi:[1,0,1]
	v_pk_fma_f32 v[22:23], v[56:57], v[32:33], v[22:23] op_sel_hi:[1,0,1]
	global_load_b128 v[32:35], v[18:19], off offset:3088
	s_wait_xcnt 0x0
	v_add_nc_u64_e32 v[18:19], 0x1000, v[18:19]
	s_wait_loadcnt 0x1
	v_cvt_f32_f16_e32 v37, v30
	v_dual_lshrrev_b32 v53, 16, v30 :: v_dual_lshrrev_b32 v30, 16, v45
	v_cvt_f32_f16_e32 v36, v28
	v_cvt_f32_f16_e32 v38, v29
	v_dual_lshrrev_b32 v52, 16, v28 :: v_dual_lshrrev_b32 v56, 16, v31
	v_lshrrev_b32_e32 v57, 16, v29
	v_cvt_f32_f16_e32 v29, v65
	v_cvt_f32_f16_e32 v28, v64
	;; [unrolled: 1-line block ×3, first 2 shown]
	v_dual_lshrrev_b32 v64, 16, v25 :: v_dual_lshrrev_b32 v65, 16, v27
	s_wait_loadcnt 0x0
	v_lshrrev_b32_e32 v66, 16, v32
	v_cvt_f32_f16_e32 v39, v31
	v_pk_fma_f32 v[12:13], v[28:29], v[30:31], v[12:13] op_sel_hi:[1,0,1]
	v_cvt_f32_f16_e32 v29, v69
	v_cvt_f32_f16_e32 v28, v68
	v_lshrrev_b32_e32 v45, 16, v41
	v_dual_lshrrev_b32 v69, 16, v33 :: v_dual_lshrrev_b32 v67, 16, v34
	v_lshrrev_b32_e32 v68, 16, v35
	s_delay_alu instid0(VALU_DEP_4)
	v_pk_fma_f32 v[22:23], v[28:29], v[30:31], v[22:23] op_sel_hi:[1,0,1]
	v_cvt_f32_f16_e32 v29, v42
	v_cvt_f32_f16_e32 v28, v40
	v_cvt_f32_f16_e32 v40, v46
	v_lshrrev_b32_e32 v42, 16, v42
	v_cvt_f32_f16_e32 v31, v43
	v_cvt_f32_f16_e32 v30, v41
	v_lshrrev_b32_e32 v43, 16, v43
	v_pk_fma_f32 v[12:13], v[60:61], v[40:41], v[12:13] op_sel_hi:[1,0,1]
	v_pk_fma_f32 v[22:23], v[28:29], v[40:41], v[22:23] op_sel_hi:[1,0,1]
	v_cvt_f32_f16_e32 v29, v26
	v_dual_lshrrev_b32 v60, 16, v24 :: v_dual_lshrrev_b32 v61, 16, v26
	v_lshrrev_b32_e32 v26, 16, v46
	v_cvt_f32_f16_e32 v28, v24
	v_cvt_f32_f16_e32 v40, v25
	;; [unrolled: 1-line block ×9, first 2 shown]
	v_pk_fma_f32 v[12:13], v[24:25], v[26:27], v[12:13] op_sel_hi:[1,0,1]
	v_cvt_f32_f16_e32 v25, v42
	v_cvt_f32_f16_e32 v24, v44
	;; [unrolled: 1-line block ×5, first 2 shown]
	s_delay_alu instid0(VALU_DEP_4)
	v_pk_fma_f32 v[22:23], v[24:25], v[26:27], v[22:23] op_sel_hi:[1,0,1]
	v_cvt_f32_f16_e32 v24, v32
	v_cvt_f32_f16_e32 v32, v47
	;; [unrolled: 1-line block ×6, first 2 shown]
	v_pk_fma_f32 v[12:13], v[62:63], v[32:33], v[12:13] op_sel_hi:[1,0,1]
	v_lshrrev_b32_e32 v33, 16, v47
	v_cvt_f32_f16_e32 v34, v74
	v_lshrrev_b32_e32 v47, 16, v48
	s_delay_alu instid0(VALU_DEP_3) | instskip(SKIP_3) | instid1(VALU_DEP_3)
	v_pk_fma_f32 v[22:23], v[30:31], v[32:33], v[22:23] op_sel_hi:[1,0,1]
	v_cvt_f32_f16_e32 v32, v33
	v_cvt_f32_f16_e32 v31, v79
	;; [unrolled: 1-line block ×3, first 2 shown]
	v_pk_fma_f32 v[22:23], v[42:43], v[32:33], v[22:23] op_sel_hi:[1,0,1]
	v_pk_fma_f32 v[12:13], v[34:35], v[32:33], v[12:13] op_sel_hi:[1,0,1]
	v_cvt_f32_f16_e32 v33, v61
	v_cvt_f32_f16_e32 v32, v60
	s_delay_alu instid0(VALU_DEP_4)
	v_pk_fma_f32 v[22:23], v[28:29], v[52:53], v[22:23] op_sel_hi:[1,0,1]
	v_lshrrev_b32_e32 v29, 16, v49
	v_cvt_f32_f16_e32 v34, v47
	v_pk_fma_f32 v[12:13], v[54:55], v[52:53], v[12:13] op_sel_hi:[1,0,1]
	v_cvt_f32_f16_e32 v28, v49
	v_cvt_f32_f16_e32 v47, v53
	s_delay_alu instid0(VALU_DEP_4) | instskip(NEXT) | instid1(VALU_DEP_4)
	v_pk_fma_f32 v[22:23], v[32:33], v[34:35], v[22:23] op_sel_hi:[1,0,1]
	v_pk_fma_f32 v[12:13], v[44:45], v[34:35], v[12:13] op_sel_hi:[1,0,1]
	v_cvt_f32_f16_e32 v33, v65
	v_cvt_f32_f16_e32 v32, v64
	;; [unrolled: 1-line block ×3, first 2 shown]
	v_pk_fma_f32 v[22:23], v[40:41], v[28:29], v[22:23] op_sel_hi:[1,0,1]
	v_lshrrev_b32_e32 v35, 16, v50
	v_pk_fma_f32 v[12:13], v[58:59], v[28:29], v[12:13] op_sel_hi:[1,0,1]
	v_cvt_f32_f16_e32 v29, v56
	v_cvt_f32_f16_e32 v28, v50
	s_delay_alu instid0(VALU_DEP_4) | instskip(NEXT) | instid1(VALU_DEP_1)
	v_pk_fma_f32 v[22:23], v[32:33], v[34:35], v[22:23] op_sel_hi:[1,0,1]
	v_pk_fma_f32 v[22:23], v[24:25], v[28:29], v[22:23] op_sel_hi:[1,0,1]
	v_lshrrev_b32_e32 v25, 16, v51
	v_pk_fma_f32 v[12:13], v[30:31], v[34:35], v[12:13] op_sel_hi:[1,0,1]
	v_cvt_f32_f16_e32 v30, v66
	v_cvt_f32_f16_e32 v31, v67
	;; [unrolled: 1-line block ×4, first 2 shown]
	v_pk_fma_f32 v[12:13], v[36:37], v[28:29], v[12:13] op_sel_hi:[1,0,1]
	v_cvt_f32_f16_e32 v28, v57
	s_delay_alu instid0(VALU_DEP_4) | instskip(SKIP_1) | instid1(VALU_DEP_4)
	v_pk_fma_f32 v[22:23], v[30:31], v[32:33], v[22:23] op_sel_hi:[1,0,1]
	v_cvt_f32_f16_e32 v31, v68
	v_pk_fma_f32 v[12:13], v[46:47], v[32:33], v[12:13] op_sel_hi:[1,0,1]
	v_cvt_f32_f16_e32 v30, v69
	v_cvt_f32_f16_e32 v32, v25
	v_pk_fma_f32 v[22:23], v[26:27], v[24:25], v[22:23] op_sel_hi:[1,0,1]
	s_delay_alu instid0(VALU_DEP_4) | instskip(NEXT) | instid1(VALU_DEP_2)
	v_pk_fma_f32 v[12:13], v[38:39], v[24:25], v[12:13] op_sel_hi:[1,0,1]
	v_pk_fma_f32 v[22:23], v[30:31], v[32:33], v[22:23] op_sel_hi:[1,0,1]
	s_delay_alu instid0(VALU_DEP_2)
	v_pk_fma_f32 v[12:13], v[28:29], v[32:33], v[12:13] op_sel_hi:[1,0,1]
	s_and_not1_b32 exec_lo, exec_lo, s7
	s_cbranch_execnz .LBB103_23
; %bb.24:
	s_or_b32 exec_lo, exec_lo, s7
	v_dual_mov_b32 v21, v23 :: v_dual_mov_b32 v20, v22
.LBB103_25:
	s_or_b32 exec_lo, exec_lo, s6
.LBB103_26:
	s_delay_alu instid0(SALU_CYCLE_1)
	s_or_b32 exec_lo, exec_lo, s3
	s_cbranch_execz .LBB103_28
	s_branch .LBB103_39
.LBB103_27:
                                        ; implicit-def: $vgpr21
                                        ; implicit-def: $vgpr13
.LBB103_28:
	v_dual_mov_b32 v21, 0 :: v_dual_mov_b32 v20, 0
	v_dual_mov_b32 v13, 0 :: v_dual_mov_b32 v12, 0
	s_and_saveexec_b32 s3, s2
	s_cbranch_execz .LBB103_38
; %bb.29:
	v_dual_mov_b32 v13, v1 :: v_dual_bitop2_b32 v12, 32, v0 bitop3:0x54
	v_sub_nc_u64_e32 v[16:17], v[4:5], v[0:1]
	v_mov_b32_e32 v20, 0
	s_delay_alu instid0(VALU_DEP_3) | instskip(NEXT) | instid1(VALU_DEP_1)
	v_sub_nc_u64_e32 v[12:13], v[12:13], v[4:5]
	v_add_nc_u64_e32 v[12:13], v[12:13], v[14:15]
	v_not_b32_e32 v15, v15
	v_not_b32_e32 v14, v14
	s_delay_alu instid0(VALU_DEP_1) | instskip(NEXT) | instid1(VALU_DEP_4)
	v_add_nc_u64_e32 v[14:15], v[16:17], v[14:15]
	v_max_i64 v[12:13], v[12:13], v[8:9]
	v_mov_b32_e32 v17, v20
	s_delay_alu instid0(VALU_DEP_2) | instskip(SKIP_1) | instid1(VALU_DEP_2)
	v_add_nc_u64_e32 v[14:15], v[14:15], v[12:13]
	v_mov_b64_e32 v[12:13], 0
	v_and_b32_e32 v16, 0x60, v14
	s_delay_alu instid0(VALU_DEP_1)
	v_cmp_ne_u64_e32 vcc_lo, 0x60, v[16:17]
	v_mov_b64_e32 v[16:17], 0
	s_and_saveexec_b32 s2, vcc_lo
	s_cbranch_execz .LBB103_33
; %bb.30:
	v_dual_lshrrev_b32 v1, 5, v14 :: v_dual_mov_b32 v13, v20
	v_lshl_add_u64 v[16:17], v[6:7], 3, s[8:9]
	s_mov_b32 s6, 0
	s_delay_alu instid0(VALU_DEP_2) | instskip(NEXT) | instid1(VALU_DEP_1)
	v_dual_mov_b32 v21, v20 :: v_dual_add_nc_u32 v1, 1, v1
	v_and_b32_e32 v12, 3, v1
	s_delay_alu instid0(VALU_DEP_1)
	v_sub_nc_u64_e32 v[18:19], 0, v[12:13]
	v_mov_b32_e32 v12, v20
.LBB103_31:                             ; =>This Inner Loop Header: Depth=1
	global_load_b64 v[26:27], v[16:17], off
	global_load_b128 v[22:25], v[10:11], off
	v_add_nc_u64_e32 v[18:19], 1, v[18:19]
	v_add_nc_u64_e32 v[6:7], 32, v[6:7]
	s_wait_xcnt 0x1
	v_add_nc_u64_e32 v[16:17], 0x100, v[16:17]
	s_delay_alu instid0(VALU_DEP_3)
	v_cmp_eq_u64_e32 vcc_lo, 0, v[18:19]
	s_or_b32 s6, vcc_lo, s6
	s_wait_loadcnt 0x1
	v_sub_nc_u64_e32 v[26:27], v[26:27], v[4:5]
	s_wait_loadcnt 0x0
	v_dual_lshrrev_b32 v1, 16, v22 :: v_dual_lshrrev_b32 v35, 16, v23
	v_lshrrev_b32_e32 v37, 16, v25
	v_cvt_f32_f16_e32 v22, v22
	v_cvt_f32_f16_e32 v34, v25
	s_wait_kmcnt 0x0
	v_lshl_add_u64 v[30:31], v[26:27], 3, s[4:5]
	global_load_b64 v[32:33], v[30:31], off
	global_load_b128 v[26:29], v[10:11], off offset:16
	s_wait_xcnt 0x1
	v_lshrrev_b32_e32 v31, 16, v24
	v_cvt_f32_f16_e32 v30, v23
	v_cvt_f32_f16_e32 v23, v1
	v_cvt_f32_f16_e32 v24, v24
	s_wait_xcnt 0x0
	v_add_nc_u64_e32 v[10:11], 0x400, v[10:11]
	v_cvt_f32_f16_e32 v25, v31
	v_cvt_f32_f16_e32 v31, v35
	;; [unrolled: 1-line block ×3, first 2 shown]
	s_wait_loadcnt 0x1
	v_lshrrev_b32_e32 v1, 16, v32
	v_cvt_f32_f16_e32 v32, v32
	s_wait_loadcnt 0x0
	v_dual_lshrrev_b32 v39, 16, v26 :: v_dual_lshrrev_b32 v41, 16, v27
	v_cvt_f32_f16_e32 v26, v26
	v_cvt_f32_f16_e32 v40, v1
	v_pk_fma_f32 v[12:13], v[22:23], v[32:33], v[12:13] op_sel_hi:[1,0,1]
	v_pk_fma_f32 v[20:21], v[30:31], v[32:33], v[20:21] op_sel_hi:[1,0,1]
	v_cvt_f32_f16_e32 v36, v27
	v_dual_lshrrev_b32 v42, 16, v28 :: v_dual_lshrrev_b32 v43, 16, v29
	v_cvt_f32_f16_e32 v27, v39
	v_cvt_f32_f16_e32 v37, v41
	v_lshrrev_b32_e32 v1, 16, v33
	v_cvt_f32_f16_e32 v22, v33
	v_pk_fma_f32 v[12:13], v[24:25], v[40:41], v[12:13] op_sel_hi:[1,0,1]
	v_pk_fma_f32 v[20:21], v[34:35], v[40:41], v[20:21] op_sel_hi:[1,0,1]
	v_cvt_f32_f16_e32 v28, v28
	v_cvt_f32_f16_e32 v38, v29
	v_cvt_f32_f16_e32 v29, v42
	v_cvt_f32_f16_e32 v39, v43
	v_cvt_f32_f16_e32 v24, v1
	v_pk_fma_f32 v[12:13], v[26:27], v[22:23], v[12:13] op_sel_hi:[1,0,1]
	v_pk_fma_f32 v[20:21], v[36:37], v[22:23], v[20:21] op_sel_hi:[1,0,1]
	s_delay_alu instid0(VALU_DEP_2) | instskip(NEXT) | instid1(VALU_DEP_2)
	v_pk_fma_f32 v[12:13], v[28:29], v[24:25], v[12:13] op_sel_hi:[1,0,1]
	v_pk_fma_f32 v[20:21], v[38:39], v[24:25], v[20:21] op_sel_hi:[1,0,1]
	s_and_not1_b32 exec_lo, exec_lo, s6
	s_cbranch_execnz .LBB103_31
; %bb.32:
	s_or_b32 exec_lo, exec_lo, s6
	s_delay_alu instid0(VALU_DEP_1)
	v_mov_b64_e32 v[16:17], v[20:21]
.LBB103_33:
	s_or_b32 exec_lo, exec_lo, s2
	s_delay_alu instid0(SALU_CYCLE_1)
	s_mov_b32 s2, exec_lo
	v_cmpx_lt_u64_e32 0x5f, v[14:15]
	s_cbranch_execz .LBB103_37
; %bb.34:
	v_lshl_add_u64 v[14:15], v[6:7], 3, s[8:9]
	s_mov_b32 s6, 0
	s_delay_alu instid0(VALU_DEP_1)
	v_add_nc_u64_e32 v[14:15], 0x200, v[14:15]
.LBB103_35:                             ; =>This Inner Loop Header: Depth=1
	global_load_b64 v[46:47], v[14:15], off offset:-512
	global_load_b128 v[18:21], v[10:11], off
	s_clause 0x2
	global_load_b64 v[48:49], v[14:15], off offset:-256
	global_load_b64 v[50:51], v[14:15], off
	global_load_b64 v[52:53], v[14:15], off offset:256
	s_clause 0x5
	global_load_b128 v[22:25], v[10:11], off offset:16
	global_load_b128 v[26:29], v[10:11], off offset:1024
	;; [unrolled: 1-line block ×6, first 2 shown]
	v_add_nc_u64_e32 v[6:7], 0x80, v[6:7]
	s_wait_xcnt 0x6
	v_add_nc_u64_e32 v[14:15], 0x400, v[14:15]
	s_delay_alu instid0(VALU_DEP_2)
	v_cmp_ge_i64_e32 vcc_lo, v[6:7], v[8:9]
	s_or_b32 s6, vcc_lo, s6
	s_wait_loadcnt 0xa
	v_sub_nc_u64_e32 v[46:47], v[46:47], v[4:5]
	s_wait_loadcnt 0x9
	v_dual_lshrrev_b32 v1, 16, v18 :: v_dual_lshrrev_b32 v55, 16, v20
	v_cvt_f32_f16_e32 v54, v20
	v_dual_lshrrev_b32 v57, 16, v19 :: v_dual_lshrrev_b32 v59, 16, v21
	v_cvt_f32_f16_e32 v58, v21
	s_wait_loadcnt 0x8
	v_sub_nc_u64_e32 v[20:21], v[48:49], v[4:5]
	s_wait_loadcnt 0x7
	v_sub_nc_u64_e32 v[48:49], v[50:51], v[4:5]
	;; [unrolled: 2-line block ×3, first 2 shown]
	s_wait_kmcnt 0x0
	v_lshl_add_u64 v[46:47], v[46:47], 3, s[4:5]
	v_cvt_f32_f16_e32 v18, v18
	v_cvt_f32_f16_e32 v56, v19
	;; [unrolled: 1-line block ×3, first 2 shown]
	v_lshl_add_u64 v[20:21], v[20:21], 3, s[4:5]
	v_lshl_add_u64 v[48:49], v[48:49], 3, s[4:5]
	;; [unrolled: 1-line block ×3, first 2 shown]
	s_clause 0x3
	global_load_b64 v[52:53], v[46:47], off
	global_load_b64 v[60:61], v[20:21], off
	;; [unrolled: 1-line block ×4, first 2 shown]
	v_cvt_f32_f16_e32 v57, v57
	s_wait_loadcnt 0x9
	v_lshrrev_b32_e32 v1, 16, v22
	v_cvt_f32_f16_e32 v55, v55
	v_cvt_f32_f16_e32 v59, v59
	;; [unrolled: 1-line block ×3, first 2 shown]
	s_wait_xcnt 0x1
	v_cvt_f32_f16_e32 v48, v23
	s_wait_xcnt 0x0
	v_lshrrev_b32_e32 v50, 16, v24
	v_cvt_f32_f16_e32 v24, v24
	s_wait_loadcnt 0x8
	v_lshrrev_b32_e32 v51, 16, v26
	s_wait_loadcnt 0x3
	v_cvt_f32_f16_e32 v46, v52
	s_delay_alu instid0(VALU_DEP_1)
	v_pk_fma_f32 v[12:13], v[18:19], v[46:47], v[12:13] op_sel_hi:[1,0,1]
	global_load_b128 v[18:21], v[10:11], off offset:3088
	v_pk_fma_f32 v[16:17], v[56:57], v[46:47], v[16:17] op_sel_hi:[1,0,1]
	v_dual_lshrrev_b32 v46, 16, v52 :: v_dual_lshrrev_b32 v47, 16, v23
	v_cvt_f32_f16_e32 v23, v1
	v_dual_lshrrev_b32 v1, 16, v28 :: v_dual_lshrrev_b32 v52, 16, v34
	s_delay_alu instid0(VALU_DEP_3) | instskip(NEXT) | instid1(VALU_DEP_4)
	v_cvt_f32_f16_e32 v46, v46
	v_cvt_f32_f16_e32 v49, v47
	s_wait_xcnt 0x0
	v_add_nc_u64_e32 v[10:11], 0x1000, v[10:11]
	s_delay_alu instid0(VALU_DEP_3) | instskip(SKIP_4) | instid1(VALU_DEP_3)
	v_pk_fma_f32 v[12:13], v[54:55], v[46:47], v[12:13] op_sel_hi:[1,0,1]
	v_pk_fma_f32 v[16:17], v[58:59], v[46:47], v[16:17] op_sel_hi:[1,0,1]
	v_cvt_f32_f16_e32 v46, v53
	v_lshrrev_b32_e32 v55, 16, v41
	v_lshrrev_b32_e32 v54, 16, v37
	v_pk_fma_f32 v[12:13], v[22:23], v[46:47], v[12:13] op_sel_hi:[1,0,1]
	v_lshrrev_b32_e32 v23, 16, v25
	v_pk_fma_f32 v[16:17], v[48:49], v[46:47], v[16:17] op_sel_hi:[1,0,1]
	v_lshrrev_b32_e32 v49, 16, v32
	v_cvt_f32_f16_e32 v22, v26
	v_cvt_f32_f16_e32 v26, v28
	v_cvt_f32_f16_e32 v47, v23
	v_lshrrev_b32_e32 v23, 16, v53
	v_cvt_f32_f16_e32 v46, v25
	v_lshrrev_b32_e32 v48, 16, v30
	v_cvt_f32_f16_e32 v25, v50
	v_cvt_f32_f16_e32 v28, v30
	;; [unrolled: 1-line block ×3, first 2 shown]
	v_lshrrev_b32_e32 v50, 16, v29
	v_cvt_f32_f16_e32 v23, v51
	v_dual_lshrrev_b32 v53, 16, v35 :: v_dual_lshrrev_b32 v51, 16, v36
	s_delay_alu instid0(VALU_DEP_4)
	v_pk_fma_f32 v[12:13], v[24:25], v[30:31], v[12:13] op_sel_hi:[1,0,1]
	v_lshrrev_b32_e32 v25, 16, v27
	v_cvt_f32_f16_e32 v24, v32
	v_pk_fma_f32 v[16:17], v[46:47], v[30:31], v[16:17] op_sel_hi:[1,0,1]
	v_cvt_f32_f16_e32 v46, v27
	s_wait_loadcnt 0x3
	v_cvt_f32_f16_e32 v32, v60
	v_cvt_f32_f16_e32 v47, v25
	v_cvt_f32_f16_e32 v27, v1
	v_lshrrev_b32_e32 v1, 16, v60
	v_cvt_f32_f16_e32 v30, v29
	v_pk_fma_f32 v[12:13], v[22:23], v[32:33], v[12:13] op_sel_hi:[1,0,1]
	v_pk_fma_f32 v[16:17], v[46:47], v[32:33], v[16:17] op_sel_hi:[1,0,1]
	v_dual_lshrrev_b32 v23, 16, v31 :: v_dual_lshrrev_b32 v47, 16, v33
	v_cvt_f32_f16_e32 v32, v31
	v_cvt_f32_f16_e32 v46, v1
	;; [unrolled: 1-line block ×6, first 2 shown]
	v_pk_fma_f32 v[12:13], v[26:27], v[46:47], v[12:13] op_sel_hi:[1,0,1]
	v_pk_fma_f32 v[16:17], v[30:31], v[46:47], v[16:17] op_sel_hi:[1,0,1]
	v_cvt_f32_f16_e32 v33, v23
	v_cvt_f32_f16_e32 v46, v61
	;; [unrolled: 1-line block ×4, first 2 shown]
	v_dual_lshrrev_b32 v23, 16, v61 :: v_dual_lshrrev_b32 v1, 16, v38
	s_delay_alu instid0(VALU_DEP_4)
	v_pk_fma_f32 v[12:13], v[28:29], v[46:47], v[12:13] op_sel_hi:[1,0,1]
	v_pk_fma_f32 v[16:17], v[32:33], v[46:47], v[16:17] op_sel_hi:[1,0,1]
	v_dual_lshrrev_b32 v47, 16, v43 :: v_dual_lshrrev_b32 v31, 16, v40
	v_lshrrev_b32_e32 v33, 16, v39
	v_cvt_f32_f16_e32 v25, v49
	v_cvt_f32_f16_e32 v46, v23
	v_cvt_f32_f16_e32 v26, v36
	v_cvt_f32_f16_e32 v36, v37
	v_cvt_f32_f16_e32 v32, v39
	v_lshrrev_b32_e32 v37, 16, v42
	v_pk_fma_f32 v[12:13], v[24:25], v[46:47], v[12:13] op_sel_hi:[1,0,1]
	v_pk_fma_f32 v[16:17], v[34:35], v[46:47], v[16:17] op_sel_hi:[1,0,1]
	v_cvt_f32_f16_e32 v23, v52
	s_wait_loadcnt 0x2
	v_cvt_f32_f16_e32 v50, v62
	v_cvt_f32_f16_e32 v39, v1
	;; [unrolled: 1-line block ×4, first 2 shown]
	v_lshrrev_b32_e32 v1, 16, v62
	v_cvt_f32_f16_e32 v24, v43
	v_pk_fma_f32 v[12:13], v[22:23], v[50:51], v[12:13] op_sel_hi:[1,0,1]
	v_cvt_f32_f16_e32 v27, v51
	v_cvt_f32_f16_e32 v43, v37
	;; [unrolled: 1-line block ×3, first 2 shown]
	v_pk_fma_f32 v[16:17], v[30:31], v[50:51], v[16:17] op_sel_hi:[1,0,1]
	v_cvt_f32_f16_e32 v22, v1
	v_cvt_f32_f16_e32 v38, v38
	;; [unrolled: 1-line block ×3, first 2 shown]
	v_lshrrev_b32_e32 v1, 16, v63
	v_cvt_f32_f16_e32 v30, v63
	v_pk_fma_f32 v[12:13], v[26:27], v[22:23], v[12:13] op_sel_hi:[1,0,1]
	v_pk_fma_f32 v[16:17], v[36:37], v[22:23], v[16:17] op_sel_hi:[1,0,1]
	v_cvt_f32_f16_e32 v28, v40
	v_cvt_f32_f16_e32 v40, v41
	;; [unrolled: 1-line block ×4, first 2 shown]
	v_pk_fma_f32 v[12:13], v[38:39], v[30:31], v[12:13] op_sel_hi:[1,0,1]
	v_pk_fma_f32 v[16:17], v[32:33], v[30:31], v[16:17] op_sel_hi:[1,0,1]
	v_cvt_f32_f16_e32 v42, v42
	v_dual_lshrrev_b32 v35, 16, v44 :: v_dual_lshrrev_b32 v49, 16, v45
	v_cvt_f32_f16_e32 v25, v47
	s_wait_loadcnt 0x1
	v_lshrrev_b32_e32 v1, 16, v64
	v_cvt_f32_f16_e32 v26, v64
	v_pk_fma_f32 v[12:13], v[28:29], v[22:23], v[12:13] op_sel_hi:[1,0,1]
	v_pk_fma_f32 v[16:17], v[40:41], v[22:23], v[16:17] op_sel_hi:[1,0,1]
	v_cvt_f32_f16_e32 v34, v44
	v_cvt_f32_f16_e32 v44, v45
	;; [unrolled: 1-line block ×5, first 2 shown]
	v_pk_fma_f32 v[12:13], v[42:43], v[26:27], v[12:13] op_sel_hi:[1,0,1]
	v_pk_fma_f32 v[16:17], v[24:25], v[26:27], v[16:17] op_sel_hi:[1,0,1]
	v_lshrrev_b32_e32 v1, 16, v65
	v_cvt_f32_f16_e32 v24, v65
	s_delay_alu instid0(VALU_DEP_4) | instskip(NEXT) | instid1(VALU_DEP_4)
	v_pk_fma_f32 v[12:13], v[34:35], v[22:23], v[12:13] op_sel_hi:[1,0,1]
	v_pk_fma_f32 v[16:17], v[44:45], v[22:23], v[16:17] op_sel_hi:[1,0,1]
	s_delay_alu instid0(VALU_DEP_4)
	v_cvt_f32_f16_e32 v22, v1
	s_wait_loadcnt 0x0
	v_dual_lshrrev_b32 v56, 16, v18 :: v_dual_lshrrev_b32 v57, 16, v20
	v_dual_lshrrev_b32 v58, 16, v19 :: v_dual_lshrrev_b32 v59, 16, v21
	v_cvt_f32_f16_e32 v18, v18
	v_cvt_f32_f16_e32 v46, v19
	s_delay_alu instid0(VALU_DEP_4) | instskip(NEXT) | instid1(VALU_DEP_4)
	v_cvt_f32_f16_e32 v19, v56
	v_cvt_f32_f16_e32 v47, v58
	;; [unrolled: 1-line block ×6, first 2 shown]
	v_pk_fma_f32 v[12:13], v[18:19], v[24:25], v[12:13] op_sel_hi:[1,0,1]
	v_pk_fma_f32 v[16:17], v[46:47], v[24:25], v[16:17] op_sel_hi:[1,0,1]
	s_delay_alu instid0(VALU_DEP_2) | instskip(NEXT) | instid1(VALU_DEP_2)
	v_pk_fma_f32 v[12:13], v[20:21], v[22:23], v[12:13] op_sel_hi:[1,0,1]
	v_pk_fma_f32 v[16:17], v[48:49], v[22:23], v[16:17] op_sel_hi:[1,0,1]
	s_and_not1_b32 exec_lo, exec_lo, s6
	s_cbranch_execnz .LBB103_35
; %bb.36:
	s_or_b32 exec_lo, exec_lo, s6
	s_delay_alu instid0(VALU_DEP_1)
	v_dual_mov_b32 v21, v17 :: v_dual_mov_b32 v20, v16
.LBB103_37:
	s_or_b32 exec_lo, exec_lo, s2
.LBB103_38:
	s_delay_alu instid0(SALU_CYCLE_1)
	s_or_b32 exec_lo, exec_lo, s3
.LBB103_39:
	v_mbcnt_lo_u32_b32 v1, -1, 0
	s_mov_b32 s2, -1
	s_delay_alu instid0(VALU_DEP_1) | instskip(SKIP_1) | instid1(VALU_DEP_1)
	v_xor_b32_e32 v8, 8, v1
	v_xor_b32_e32 v4, 16, v1
	v_cmp_gt_i32_e32 vcc_lo, 32, v4
	v_cndmask_b32_e32 v4, v1, v4, vcc_lo
	s_delay_alu instid0(VALU_DEP_4) | instskip(NEXT) | instid1(VALU_DEP_2)
	v_cmp_gt_i32_e32 vcc_lo, 32, v8
	v_lshlrev_b32_e32 v7, 2, v4
	v_cndmask_b32_e32 v8, v1, v8, vcc_lo
	ds_bpermute_b32 v4, v7, v12
	ds_bpermute_b32 v5, v7, v13
	;; [unrolled: 1-line block ×4, first 2 shown]
	v_lshlrev_b32_e32 v11, 2, v8
	s_wait_dscnt 0x2
	v_pk_add_f32 v[4:5], v[12:13], v[4:5]
	v_xor_b32_e32 v12, 4, v1
	s_wait_dscnt 0x0
	v_pk_add_f32 v[6:7], v[20:21], v[6:7]
	ds_bpermute_b32 v8, v11, v4
	ds_bpermute_b32 v9, v11, v5
	;; [unrolled: 1-line block ×4, first 2 shown]
	v_cmp_gt_i32_e32 vcc_lo, 32, v12
	v_cndmask_b32_e32 v12, v1, v12, vcc_lo
	s_delay_alu instid0(VALU_DEP_1)
	v_lshlrev_b32_e32 v12, 2, v12
	s_wait_dscnt 0x2
	v_pk_add_f32 v[4:5], v[4:5], v[8:9]
	s_wait_dscnt 0x0
	v_pk_add_f32 v[6:7], v[6:7], v[10:11]
	ds_bpermute_b32 v8, v12, v4
	ds_bpermute_b32 v9, v12, v5
	;; [unrolled: 1-line block ×4, first 2 shown]
	v_xor_b32_e32 v12, 2, v1
	s_delay_alu instid0(VALU_DEP_1) | instskip(SKIP_1) | instid1(VALU_DEP_1)
	v_cmp_gt_i32_e32 vcc_lo, 32, v12
	v_cndmask_b32_e32 v12, v1, v12, vcc_lo
	v_lshlrev_b32_e32 v12, 2, v12
	s_wait_dscnt 0x2
	v_pk_add_f32 v[4:5], v[4:5], v[8:9]
	s_wait_dscnt 0x0
	v_pk_add_f32 v[6:7], v[6:7], v[10:11]
	ds_bpermute_b32 v8, v12, v4
	ds_bpermute_b32 v9, v12, v5
	;; [unrolled: 1-line block ×4, first 2 shown]
	v_xor_b32_e32 v12, 1, v1
	s_delay_alu instid0(VALU_DEP_1) | instskip(SKIP_2) | instid1(VALU_DEP_2)
	v_cmp_gt_i32_e32 vcc_lo, 32, v12
	v_cndmask_b32_e32 v1, v1, v12, vcc_lo
	v_cmp_eq_u32_e32 vcc_lo, 31, v0
	v_lshlrev_b32_e32 v1, 2, v1
	s_wait_dscnt 0x2
	v_pk_add_f32 v[4:5], v[4:5], v[8:9]
	s_wait_dscnt 0x0
	v_pk_add_f32 v[8:9], v[6:7], v[10:11]
	ds_bpermute_b32 v6, v1, v4
	ds_bpermute_b32 v7, v1, v5
	;; [unrolled: 1-line block ×4, first 2 shown]
	s_and_b32 exec_lo, exec_lo, vcc_lo
	s_cbranch_execz .LBB103_10
; %bb.40:
	s_load_b64 s[0:1], s[0:1], 0x58
	s_wait_dscnt 0x2
	v_pk_add_f32 v[6:7], v[4:5], v[6:7]
	s_wait_dscnt 0x0
	v_pk_add_f32 v[4:5], v[8:9], v[10:11]
	s_cmp_eq_f32 s16, 0
	s_wait_kmcnt 0x0
	v_lshl_add_u64 v[0:1], v[2:3], 4, s[0:1]
	s_cbranch_scc0 .LBB103_42
; %bb.41:
	v_pk_mul_f32 v[8:9], s[12:13], v[6:7] op_sel_hi:[0,1]
	v_pk_mul_f32 v[10:11], s[12:13], v[4:5] op_sel_hi:[0,1]
	s_mov_b32 s2, 0
	global_store_b128 v[0:1], v[8:11], off
.LBB103_42:
	s_and_not1_b32 vcc_lo, exec_lo, s2
	s_cbranch_vccnz .LBB103_10
; %bb.43:
	global_load_b128 v[8:11], v[0:1], off
	v_pk_mul_f32 v[2:3], s[12:13], v[6:7] op_sel_hi:[0,1]
	v_pk_mul_f32 v[4:5], s[12:13], v[4:5] op_sel_hi:[0,1]
	s_wait_loadcnt 0x0
	s_delay_alu instid0(VALU_DEP_2) | instskip(NEXT) | instid1(VALU_DEP_2)
	v_pk_fma_f32 v[2:3], s[16:17], v[8:9], v[2:3] op_sel_hi:[0,1,1]
	v_pk_fma_f32 v[4:5], s[16:17], v[10:11], v[4:5] op_sel_hi:[0,1,1]
	global_store_b128 v[0:1], v[2:5], off
	s_sendmsg sendmsg(MSG_DEALLOC_VGPRS)
	s_endpgm
	.section	.rodata,"a",@progbits
	.p2align	6, 0x0
	.amdhsa_kernel _ZN9rocsparseL18bsrxmvn_4x4_kernelILj128ELj32EfllDF16_DF16_fEEvT3_20rocsparse_direction_NS_24const_host_device_scalarIT1_EES1_PKS1_PKT2_SA_S7_PKT4_PKT5_S5_PT6_21rocsparse_index_base_b
		.amdhsa_group_segment_fixed_size 0
		.amdhsa_private_segment_fixed_size 0
		.amdhsa_kernarg_size 104
		.amdhsa_user_sgpr_count 2
		.amdhsa_user_sgpr_dispatch_ptr 0
		.amdhsa_user_sgpr_queue_ptr 0
		.amdhsa_user_sgpr_kernarg_segment_ptr 1
		.amdhsa_user_sgpr_dispatch_id 0
		.amdhsa_user_sgpr_kernarg_preload_length 0
		.amdhsa_user_sgpr_kernarg_preload_offset 0
		.amdhsa_user_sgpr_private_segment_size 0
		.amdhsa_wavefront_size32 1
		.amdhsa_uses_dynamic_stack 0
		.amdhsa_enable_private_segment 0
		.amdhsa_system_sgpr_workgroup_id_x 1
		.amdhsa_system_sgpr_workgroup_id_y 0
		.amdhsa_system_sgpr_workgroup_id_z 0
		.amdhsa_system_sgpr_workgroup_info 0
		.amdhsa_system_vgpr_workitem_id 0
		.amdhsa_next_free_vgpr 80
		.amdhsa_next_free_sgpr 18
		.amdhsa_named_barrier_count 0
		.amdhsa_reserve_vcc 1
		.amdhsa_float_round_mode_32 0
		.amdhsa_float_round_mode_16_64 0
		.amdhsa_float_denorm_mode_32 3
		.amdhsa_float_denorm_mode_16_64 3
		.amdhsa_fp16_overflow 0
		.amdhsa_memory_ordered 1
		.amdhsa_forward_progress 1
		.amdhsa_inst_pref_size 37
		.amdhsa_round_robin_scheduling 0
		.amdhsa_exception_fp_ieee_invalid_op 0
		.amdhsa_exception_fp_denorm_src 0
		.amdhsa_exception_fp_ieee_div_zero 0
		.amdhsa_exception_fp_ieee_overflow 0
		.amdhsa_exception_fp_ieee_underflow 0
		.amdhsa_exception_fp_ieee_inexact 0
		.amdhsa_exception_int_div_zero 0
	.end_amdhsa_kernel
	.section	.text._ZN9rocsparseL18bsrxmvn_4x4_kernelILj128ELj32EfllDF16_DF16_fEEvT3_20rocsparse_direction_NS_24const_host_device_scalarIT1_EES1_PKS1_PKT2_SA_S7_PKT4_PKT5_S5_PT6_21rocsparse_index_base_b,"axG",@progbits,_ZN9rocsparseL18bsrxmvn_4x4_kernelILj128ELj32EfllDF16_DF16_fEEvT3_20rocsparse_direction_NS_24const_host_device_scalarIT1_EES1_PKS1_PKT2_SA_S7_PKT4_PKT5_S5_PT6_21rocsparse_index_base_b,comdat
.Lfunc_end103:
	.size	_ZN9rocsparseL18bsrxmvn_4x4_kernelILj128ELj32EfllDF16_DF16_fEEvT3_20rocsparse_direction_NS_24const_host_device_scalarIT1_EES1_PKS1_PKT2_SA_S7_PKT4_PKT5_S5_PT6_21rocsparse_index_base_b, .Lfunc_end103-_ZN9rocsparseL18bsrxmvn_4x4_kernelILj128ELj32EfllDF16_DF16_fEEvT3_20rocsparse_direction_NS_24const_host_device_scalarIT1_EES1_PKS1_PKT2_SA_S7_PKT4_PKT5_S5_PT6_21rocsparse_index_base_b
                                        ; -- End function
	.set _ZN9rocsparseL18bsrxmvn_4x4_kernelILj128ELj32EfllDF16_DF16_fEEvT3_20rocsparse_direction_NS_24const_host_device_scalarIT1_EES1_PKS1_PKT2_SA_S7_PKT4_PKT5_S5_PT6_21rocsparse_index_base_b.num_vgpr, 80
	.set _ZN9rocsparseL18bsrxmvn_4x4_kernelILj128ELj32EfllDF16_DF16_fEEvT3_20rocsparse_direction_NS_24const_host_device_scalarIT1_EES1_PKS1_PKT2_SA_S7_PKT4_PKT5_S5_PT6_21rocsparse_index_base_b.num_agpr, 0
	.set _ZN9rocsparseL18bsrxmvn_4x4_kernelILj128ELj32EfllDF16_DF16_fEEvT3_20rocsparse_direction_NS_24const_host_device_scalarIT1_EES1_PKS1_PKT2_SA_S7_PKT4_PKT5_S5_PT6_21rocsparse_index_base_b.numbered_sgpr, 18
	.set _ZN9rocsparseL18bsrxmvn_4x4_kernelILj128ELj32EfllDF16_DF16_fEEvT3_20rocsparse_direction_NS_24const_host_device_scalarIT1_EES1_PKS1_PKT2_SA_S7_PKT4_PKT5_S5_PT6_21rocsparse_index_base_b.num_named_barrier, 0
	.set _ZN9rocsparseL18bsrxmvn_4x4_kernelILj128ELj32EfllDF16_DF16_fEEvT3_20rocsparse_direction_NS_24const_host_device_scalarIT1_EES1_PKS1_PKT2_SA_S7_PKT4_PKT5_S5_PT6_21rocsparse_index_base_b.private_seg_size, 0
	.set _ZN9rocsparseL18bsrxmvn_4x4_kernelILj128ELj32EfllDF16_DF16_fEEvT3_20rocsparse_direction_NS_24const_host_device_scalarIT1_EES1_PKS1_PKT2_SA_S7_PKT4_PKT5_S5_PT6_21rocsparse_index_base_b.uses_vcc, 1
	.set _ZN9rocsparseL18bsrxmvn_4x4_kernelILj128ELj32EfllDF16_DF16_fEEvT3_20rocsparse_direction_NS_24const_host_device_scalarIT1_EES1_PKS1_PKT2_SA_S7_PKT4_PKT5_S5_PT6_21rocsparse_index_base_b.uses_flat_scratch, 0
	.set _ZN9rocsparseL18bsrxmvn_4x4_kernelILj128ELj32EfllDF16_DF16_fEEvT3_20rocsparse_direction_NS_24const_host_device_scalarIT1_EES1_PKS1_PKT2_SA_S7_PKT4_PKT5_S5_PT6_21rocsparse_index_base_b.has_dyn_sized_stack, 0
	.set _ZN9rocsparseL18bsrxmvn_4x4_kernelILj128ELj32EfllDF16_DF16_fEEvT3_20rocsparse_direction_NS_24const_host_device_scalarIT1_EES1_PKS1_PKT2_SA_S7_PKT4_PKT5_S5_PT6_21rocsparse_index_base_b.has_recursion, 0
	.set _ZN9rocsparseL18bsrxmvn_4x4_kernelILj128ELj32EfllDF16_DF16_fEEvT3_20rocsparse_direction_NS_24const_host_device_scalarIT1_EES1_PKS1_PKT2_SA_S7_PKT4_PKT5_S5_PT6_21rocsparse_index_base_b.has_indirect_call, 0
	.section	.AMDGPU.csdata,"",@progbits
; Kernel info:
; codeLenInByte = 4660
; TotalNumSgprs: 20
; NumVgprs: 80
; ScratchSize: 0
; MemoryBound: 0
; FloatMode: 240
; IeeeMode: 1
; LDSByteSize: 0 bytes/workgroup (compile time only)
; SGPRBlocks: 0
; VGPRBlocks: 4
; NumSGPRsForWavesPerEU: 20
; NumVGPRsForWavesPerEU: 80
; NamedBarCnt: 0
; Occupancy: 12
; WaveLimiterHint : 1
; COMPUTE_PGM_RSRC2:SCRATCH_EN: 0
; COMPUTE_PGM_RSRC2:USER_SGPR: 2
; COMPUTE_PGM_RSRC2:TRAP_HANDLER: 0
; COMPUTE_PGM_RSRC2:TGID_X_EN: 1
; COMPUTE_PGM_RSRC2:TGID_Y_EN: 0
; COMPUTE_PGM_RSRC2:TGID_Z_EN: 0
; COMPUTE_PGM_RSRC2:TIDIG_COMP_CNT: 0
	.section	.text._ZN9rocsparseL18bsrxmvn_4x4_kernelILj128ELj64EfllDF16_DF16_fEEvT3_20rocsparse_direction_NS_24const_host_device_scalarIT1_EES1_PKS1_PKT2_SA_S7_PKT4_PKT5_S5_PT6_21rocsparse_index_base_b,"axG",@progbits,_ZN9rocsparseL18bsrxmvn_4x4_kernelILj128ELj64EfllDF16_DF16_fEEvT3_20rocsparse_direction_NS_24const_host_device_scalarIT1_EES1_PKS1_PKT2_SA_S7_PKT4_PKT5_S5_PT6_21rocsparse_index_base_b,comdat
	.globl	_ZN9rocsparseL18bsrxmvn_4x4_kernelILj128ELj64EfllDF16_DF16_fEEvT3_20rocsparse_direction_NS_24const_host_device_scalarIT1_EES1_PKS1_PKT2_SA_S7_PKT4_PKT5_S5_PT6_21rocsparse_index_base_b ; -- Begin function _ZN9rocsparseL18bsrxmvn_4x4_kernelILj128ELj64EfllDF16_DF16_fEEvT3_20rocsparse_direction_NS_24const_host_device_scalarIT1_EES1_PKS1_PKT2_SA_S7_PKT4_PKT5_S5_PT6_21rocsparse_index_base_b
	.p2align	8
	.type	_ZN9rocsparseL18bsrxmvn_4x4_kernelILj128ELj64EfllDF16_DF16_fEEvT3_20rocsparse_direction_NS_24const_host_device_scalarIT1_EES1_PKS1_PKT2_SA_S7_PKT4_PKT5_S5_PT6_21rocsparse_index_base_b,@function
_ZN9rocsparseL18bsrxmvn_4x4_kernelILj128ELj64EfllDF16_DF16_fEEvT3_20rocsparse_direction_NS_24const_host_device_scalarIT1_EES1_PKS1_PKT2_SA_S7_PKT4_PKT5_S5_PT6_21rocsparse_index_base_b: ; @_ZN9rocsparseL18bsrxmvn_4x4_kernelILj128ELj64EfllDF16_DF16_fEEvT3_20rocsparse_direction_NS_24const_host_device_scalarIT1_EES1_PKS1_PKT2_SA_S7_PKT4_PKT5_S5_PT6_21rocsparse_index_base_b
; %bb.0:
	s_clause 0x2
	s_load_b64 s[2:3], s[0:1], 0x60
	s_load_b128 s[12:15], s[0:1], 0x10
	s_load_b64 s[16:17], s[0:1], 0x50
	s_wait_kmcnt 0x0
	s_bitcmp1_b32 s3, 0
	s_cselect_b32 s3, -1, 0
	s_delay_alu instid0(SALU_CYCLE_1)
	s_and_b32 vcc_lo, exec_lo, s3
	s_xor_b32 s3, s3, -1
	s_cbranch_vccnz .LBB104_2
; %bb.1:
	s_load_b32 s12, s[12:13], 0x0
.LBB104_2:
	s_and_not1_b32 vcc_lo, exec_lo, s3
	s_cbranch_vccnz .LBB104_4
; %bb.3:
	s_load_b32 s16, s[16:17], 0x0
.LBB104_4:
	s_wait_kmcnt 0x0
	s_cmp_neq_f32 s12, 0
	s_mov_b32 s6, 0
	s_cselect_b32 s3, -1, 0
	s_cmp_neq_f32 s16, 1.0
	s_cselect_b32 s4, -1, 0
	s_delay_alu instid0(SALU_CYCLE_1) | instskip(NEXT) | instid1(SALU_CYCLE_1)
	s_or_b32 s3, s3, s4
	s_and_not1_b32 vcc_lo, exec_lo, s3
	s_cbranch_vccnz .LBB104_10
; %bb.5:
	s_load_b64 s[4:5], s[0:1], 0x20
	s_bfe_u32 s3, ttmp6, 0x4000c
	s_and_b32 s7, ttmp6, 15
	s_add_co_i32 s3, s3, 1
	s_getreg_b32 s8, hwreg(HW_REG_IB_STS2, 6, 4)
	s_mul_i32 s3, ttmp9, s3
	v_dual_lshrrev_b32 v1, 6, v0 :: v_dual_mov_b32 v7, 0
	s_add_co_i32 s7, s7, s3
	s_cmp_eq_u32 s8, 0
	s_cselect_b32 s3, ttmp9, s7
	s_delay_alu instid0(VALU_DEP_1) | instid1(SALU_CYCLE_1)
	v_lshl_or_b32 v6, s3, 1, v1
	s_wait_kmcnt 0x0
	s_cmp_lg_u64 s[4:5], 0
	s_cbranch_scc0 .LBB104_11
; %bb.6:
	s_mov_b32 s7, 0
                                        ; implicit-def: $vgpr2_vgpr3
                                        ; implicit-def: $vgpr4_vgpr5
	s_mov_b32 s3, exec_lo
	v_cmpx_gt_i64_e64 s[14:15], v[6:7]
	s_xor_b32 s8, exec_lo, s3
	s_cbranch_execz .LBB104_8
; %bb.7:
	v_lshl_add_u64 v[2:3], v[6:7], 3, s[4:5]
	s_mov_b32 s3, 0
	s_mov_b32 s6, exec_lo
	v_mov_b64_e32 v[4:5], s[2:3]
	global_load_b64 v[2:3], v[2:3], off
	s_wait_loadcnt 0x0
	v_sub_nc_u64_e64 v[2:3], v[2:3], s[2:3]
.LBB104_8:
	s_or_b32 exec_lo, exec_lo, s8
	s_delay_alu instid0(SALU_CYCLE_1)
	s_and_b32 vcc_lo, exec_lo, s7
	s_cbranch_vccnz .LBB104_12
.LBB104_9:
	s_and_saveexec_b32 s2, s6
	s_cbranch_execnz .LBB104_15
.LBB104_10:
	s_sendmsg sendmsg(MSG_DEALLOC_VGPRS)
	s_endpgm
.LBB104_11:
                                        ; implicit-def: $vgpr2_vgpr3
                                        ; implicit-def: $vgpr4_vgpr5
	s_cbranch_execz .LBB104_9
.LBB104_12:
	s_load_b64 s[4:5], s[0:1], 0x0
	s_wait_kmcnt 0x0
	v_cmp_gt_i64_e32 vcc_lo, s[4:5], v[6:7]
	s_and_saveexec_b32 s4, vcc_lo
; %bb.13:
	s_mov_b32 s3, 0
	s_or_b32 s6, s6, exec_lo
; %bb.14:
	s_or_b32 exec_lo, exec_lo, s4
	v_mov_b64_e32 v[4:5], s[2:3]
	v_mov_b64_e32 v[2:3], v[6:7]
	s_and_saveexec_b32 s2, s6
	s_cbranch_execz .LBB104_10
.LBB104_15:
	s_load_b256 s[4:11], s[0:1], 0x28
	s_delay_alu instid0(VALU_DEP_1) | instskip(SKIP_3) | instid1(VALU_DEP_2)
	v_lshlrev_b64_e32 v[6:7], 3, v[2:3]
	v_dual_mov_b32 v1, 0 :: v_dual_bitop2_b32 v0, 63, v0 bitop3:0x40
	s_load_b32 s3, s[0:1], 0x8
	s_wait_kmcnt 0x0
	v_add_nc_u64_e32 v[8:9], s[4:5], v[6:7]
	v_add_nc_u64_e32 v[6:7], s[6:7], v[6:7]
	s_cmp_eq_u64 s[6:7], 0
	s_load_b64 s[4:5], s[0:1], 0x48
	s_cselect_b32 vcc_lo, -1, 0
	s_cmp_eq_u32 s3, 1
	global_load_b64 v[14:15], v[8:9], off
	s_wait_xcnt 0x0
	v_add_nc_u64_e32 v[8:9], 8, v[8:9]
	s_delay_alu instid0(VALU_DEP_1) | instskip(SKIP_4) | instid1(VALU_DEP_1)
	v_dual_cndmask_b32 v7, v7, v9 :: v_dual_cndmask_b32 v6, v6, v8
	global_load_b64 v[8:9], v[6:7], off
	s_wait_loadcnt 0x1
	s_wait_xcnt 0x0
	v_sub_nc_u64_e32 v[6:7], v[14:15], v[4:5]
	v_add_nc_u64_e32 v[6:7], v[6:7], v[0:1]
	s_wait_loadcnt 0x0
	v_sub_nc_u64_e32 v[8:9], v[8:9], v[4:5]
	s_delay_alu instid0(VALU_DEP_2) | instskip(NEXT) | instid1(VALU_DEP_2)
	v_lshlrev_b64_e32 v[10:11], 5, v[6:7]
	v_cmp_lt_i64_e64 s2, v[6:7], v[8:9]
	s_delay_alu instid0(VALU_DEP_2)
	v_add_nc_u64_e32 v[10:11], s[10:11], v[10:11]
	s_cbranch_scc1 .LBB104_27
; %bb.16:
	v_dual_mov_b32 v21, v1 :: v_dual_mov_b32 v20, v1
	v_dual_mov_b32 v13, v1 :: v_dual_mov_b32 v12, v1
	s_and_saveexec_b32 s3, s2
	s_cbranch_execz .LBB104_26
; %bb.17:
	v_dual_mov_b32 v13, v1 :: v_dual_bitop2_b32 v12, 64, v0 bitop3:0x54
	v_sub_nc_u64_e32 v[16:17], v[4:5], v[0:1]
	v_not_b32_e32 v19, v15
	v_not_b32_e32 v18, v14
	v_mov_b32_e32 v20, 0
	v_sub_nc_u64_e32 v[12:13], v[12:13], v[4:5]
	v_mov_b64_e32 v[22:23], 0
	s_delay_alu instid0(VALU_DEP_4) | instskip(SKIP_1) | instid1(VALU_DEP_4)
	v_add_nc_u64_e32 v[16:17], v[16:17], v[18:19]
	v_mov_b64_e32 v[18:19], v[10:11]
	v_add_nc_u64_e32 v[12:13], v[12:13], v[14:15]
	s_delay_alu instid0(VALU_DEP_1) | instskip(NEXT) | instid1(VALU_DEP_1)
	v_max_i64 v[12:13], v[12:13], v[8:9]
	v_add_nc_u64_e32 v[24:25], v[16:17], v[12:13]
	v_mov_b32_e32 v17, v20
	v_mov_b64_e32 v[12:13], 0
	s_delay_alu instid0(VALU_DEP_3) | instskip(NEXT) | instid1(VALU_DEP_1)
	v_and_b32_e32 v16, 0xc0, v24
	v_cmp_ne_u64_e32 vcc_lo, 0xc0, v[16:17]
	v_mov_b64_e32 v[16:17], v[6:7]
	s_and_saveexec_b32 s6, vcc_lo
	s_cbranch_execz .LBB104_21
; %bb.18:
	v_dual_mov_b32 v13, v20 :: v_dual_lshrrev_b32 v12, 6, v24
	v_mov_b64_e32 v[18:19], v[10:11]
	v_mov_b64_e32 v[16:17], v[6:7]
	v_lshl_add_u64 v[22:23], v[6:7], 3, s[8:9]
	s_delay_alu instid0(VALU_DEP_4) | instskip(SKIP_1) | instid1(VALU_DEP_1)
	v_dual_mov_b32 v21, v20 :: v_dual_add_nc_u32 v12, 1, v12
	s_mov_b32 s7, 0
	v_and_b32_e32 v12, 3, v12
	s_delay_alu instid0(VALU_DEP_1)
	v_sub_nc_u64_e32 v[26:27], 0, v[12:13]
	v_mov_b32_e32 v12, v20
.LBB104_19:                             ; =>This Inner Loop Header: Depth=1
	global_load_b64 v[32:33], v[22:23], off
	global_load_b128 v[28:31], v[18:19], off
	v_add_nc_u64_e32 v[26:27], 1, v[26:27]
	v_add_nc_u64_e32 v[16:17], 64, v[16:17]
	s_wait_xcnt 0x1
	v_add_nc_u64_e32 v[22:23], 0x200, v[22:23]
	s_delay_alu instid0(VALU_DEP_3)
	v_cmp_eq_u64_e32 vcc_lo, 0, v[26:27]
	s_or_b32 s7, vcc_lo, s7
	s_wait_loadcnt 0x1
	v_sub_nc_u64_e32 v[32:33], v[32:33], v[4:5]
	s_wait_loadcnt 0x0
	v_dual_lshrrev_b32 v40, 16, v29 :: v_dual_lshrrev_b32 v45, 16, v31
	v_dual_lshrrev_b32 v41, 16, v30 :: v_dual_lshrrev_b32 v42, 16, v28
	v_cvt_f32_f16_e32 v31, v31
	s_wait_kmcnt 0x0
	s_delay_alu instid0(VALU_DEP_4) | instskip(NEXT) | instid1(VALU_DEP_3)
	v_lshl_add_u64 v[36:37], v[32:33], 3, s[4:5]
	v_cvt_f32_f16_e32 v41, v41
	global_load_b128 v[32:35], v[18:19], off offset:16
	global_load_b64 v[38:39], v[36:37], off
	s_wait_xcnt 0x0
	v_cvt_f32_f16_e32 v37, v30
	v_cvt_f32_f16_e32 v36, v28
	;; [unrolled: 1-line block ×3, first 2 shown]
	v_add_nc_u64_e32 v[18:19], 0x800, v[18:19]
	s_wait_loadcnt 0x1
	v_dual_lshrrev_b32 v46, 16, v33 :: v_dual_lshrrev_b32 v47, 16, v35
	v_cvt_f32_f16_e32 v29, v34
	v_cvt_f32_f16_e32 v28, v32
	v_dual_lshrrev_b32 v43, 16, v34 :: v_dual_lshrrev_b32 v44, 16, v32
	v_cvt_f32_f16_e32 v34, v33
	s_wait_loadcnt 0x0
	v_lshrrev_b32_e32 v33, 16, v38
	v_cvt_f32_f16_e32 v38, v38
	v_cvt_f32_f16_e32 v32, v40
	;; [unrolled: 1-line block ×5, first 2 shown]
	v_pk_fma_f32 v[12:13], v[36:37], v[38:39], v[12:13] op_sel_hi:[1,0,1]
	v_pk_fma_f32 v[20:21], v[28:29], v[38:39], v[20:21] op_sel_hi:[1,0,1]
	v_lshrrev_b32_e32 v29, 16, v39
	v_cvt_f32_f16_e32 v44, v33
	v_cvt_f32_f16_e32 v35, v35
	v_cvt_f32_f16_e32 v28, v39
	v_cvt_f32_f16_e32 v33, v45
	v_cvt_f32_f16_e32 v36, v46
	v_pk_fma_f32 v[12:13], v[40:41], v[44:45], v[12:13] op_sel_hi:[1,0,1]
	v_pk_fma_f32 v[20:21], v[42:43], v[44:45], v[20:21] op_sel_hi:[1,0,1]
	v_cvt_f32_f16_e32 v37, v47
	v_cvt_f32_f16_e32 v38, v29
	s_delay_alu instid0(VALU_DEP_4) | instskip(NEXT) | instid1(VALU_DEP_4)
	v_pk_fma_f32 v[12:13], v[30:31], v[28:29], v[12:13] op_sel_hi:[1,0,1]
	v_pk_fma_f32 v[20:21], v[34:35], v[28:29], v[20:21] op_sel_hi:[1,0,1]
	s_delay_alu instid0(VALU_DEP_2) | instskip(NEXT) | instid1(VALU_DEP_2)
	v_pk_fma_f32 v[12:13], v[32:33], v[38:39], v[12:13] op_sel_hi:[1,0,1]
	v_pk_fma_f32 v[20:21], v[36:37], v[38:39], v[20:21] op_sel_hi:[1,0,1]
	s_and_not1_b32 exec_lo, exec_lo, s7
	s_cbranch_execnz .LBB104_19
; %bb.20:
	s_or_b32 exec_lo, exec_lo, s7
	s_delay_alu instid0(VALU_DEP_1)
	v_mov_b64_e32 v[22:23], v[20:21]
.LBB104_21:
	s_or_b32 exec_lo, exec_lo, s6
	s_delay_alu instid0(SALU_CYCLE_1)
	s_mov_b32 s6, exec_lo
	v_cmpx_lt_u64_e32 0xbf, v[24:25]
	s_cbranch_execz .LBB104_25
; %bb.22:
	v_lshl_add_u64 v[20:21], v[16:17], 3, s[8:9]
	s_mov_b32 s7, 0
	s_delay_alu instid0(VALU_DEP_1)
	v_add_nc_u64_e32 v[20:21], 0x400, v[20:21]
.LBB104_23:                             ; =>This Inner Loop Header: Depth=1
	s_clause 0x2
	global_load_b128 v[24:27], v[18:19], off
	global_load_b128 v[28:31], v[18:19], off offset:16
	global_load_b128 v[32:35], v[18:19], off offset:2048
	s_clause 0x3
	global_load_b64 v[44:45], v[20:21], off offset:-1024
	global_load_b64 v[46:47], v[20:21], off offset:-512
	global_load_b64 v[48:49], v[20:21], off
	global_load_b64 v[50:51], v[20:21], off offset:512
	s_clause 0x1
	global_load_b128 v[36:39], v[18:19], off offset:4096
	global_load_b128 v[40:43], v[18:19], off offset:2064
	v_add_nc_u64_e32 v[16:17], 0x100, v[16:17]
	s_wait_xcnt 0x2
	v_add_nc_u64_e32 v[20:21], 0x800, v[20:21]
	s_delay_alu instid0(VALU_DEP_2)
	v_cmp_ge_i64_e32 vcc_lo, v[16:17], v[8:9]
	s_or_b32 s7, vcc_lo, s7
	s_wait_loadcnt 0x8
	v_dual_lshrrev_b32 v64, 16, v25 :: v_dual_lshrrev_b32 v65, 16, v27
	s_wait_loadcnt 0x7
	v_dual_lshrrev_b32 v68, 16, v29 :: v_dual_lshrrev_b32 v69, 16, v31
	v_cvt_f32_f16_e32 v56, v28
	v_dual_lshrrev_b32 v70, 16, v30 :: v_dual_lshrrev_b32 v71, 16, v28
	v_cvt_f32_f16_e32 v58, v29
	s_wait_loadcnt 0x5
	v_sub_nc_u64_e32 v[28:29], v[44:45], v[4:5]
	v_cvt_f32_f16_e32 v57, v30
	v_cvt_f32_f16_e32 v59, v31
	s_wait_loadcnt 0x4
	v_sub_nc_u64_e32 v[30:31], v[46:47], v[4:5]
	v_cvt_f32_f16_e32 v60, v32
	v_dual_lshrrev_b32 v72, 16, v32 :: v_dual_lshrrev_b32 v73, 16, v34
	v_cvt_f32_f16_e32 v62, v33
	v_dual_lshrrev_b32 v74, 16, v33 :: v_dual_lshrrev_b32 v75, 16, v35
	s_wait_loadcnt 0x3
	v_sub_nc_u64_e32 v[32:33], v[48:49], v[4:5]
	v_cvt_f32_f16_e32 v61, v34
	v_cvt_f32_f16_e32 v63, v35
	s_wait_loadcnt 0x2
	v_sub_nc_u64_e32 v[34:35], v[50:51], v[4:5]
	s_wait_kmcnt 0x0
	v_lshl_add_u64 v[28:29], v[28:29], 3, s[4:5]
	v_lshl_add_u64 v[30:31], v[30:31], 3, s[4:5]
	v_cvt_f32_f16_e32 v53, v26
	v_lshl_add_u64 v[32:33], v[32:33], 3, s[4:5]
	v_cvt_f32_f16_e32 v52, v24
	v_dual_lshrrev_b32 v66, 16, v26 :: v_dual_lshrrev_b32 v67, 16, v24
	v_lshl_add_u64 v[34:35], v[34:35], 3, s[4:5]
	v_cvt_f32_f16_e32 v55, v27
	v_cvt_f32_f16_e32 v54, v25
	global_load_b128 v[24:27], v[18:19], off offset:4112
	s_clause 0x3
	global_load_b64 v[44:45], v[28:29], off
	global_load_b64 v[46:47], v[30:31], off
	;; [unrolled: 1-line block ×4, first 2 shown]
	s_wait_xcnt 0x2
	v_cvt_f32_f16_e32 v31, v70
	v_cvt_f32_f16_e32 v30, v71
	s_wait_loadcnt 0x6
	v_dual_lshrrev_b32 v78, 16, v37 :: v_dual_lshrrev_b32 v79, 16, v39
	v_dual_lshrrev_b32 v76, 16, v36 :: v_dual_lshrrev_b32 v77, 16, v38
	s_wait_loadcnt 0x3
	v_cvt_f32_f16_e32 v28, v44
	s_wait_xcnt 0x1
	v_lshrrev_b32_e32 v32, 16, v44
	v_lshrrev_b32_e32 v44, 16, v40
	s_delay_alu instid0(VALU_DEP_3)
	v_pk_fma_f32 v[12:13], v[52:53], v[28:29], v[12:13] op_sel_hi:[1,0,1]
	v_pk_fma_f32 v[22:23], v[56:57], v[28:29], v[22:23] op_sel_hi:[1,0,1]
	v_cvt_f32_f16_e32 v29, v66
	v_cvt_f32_f16_e32 v28, v67
	;; [unrolled: 1-line block ×7, first 2 shown]
	v_pk_fma_f32 v[12:13], v[28:29], v[32:33], v[12:13] op_sel_hi:[1,0,1]
	v_pk_fma_f32 v[22:23], v[30:31], v[32:33], v[22:23] op_sel_hi:[1,0,1]
	global_load_b128 v[28:31], v[18:19], off offset:6144
	v_cvt_f32_f16_e32 v32, v45
	s_delay_alu instid0(VALU_DEP_1)
	v_pk_fma_f32 v[12:13], v[54:55], v[32:33], v[12:13] op_sel_hi:[1,0,1]
	v_pk_fma_f32 v[22:23], v[58:59], v[32:33], v[22:23] op_sel_hi:[1,0,1]
	global_load_b128 v[32:35], v[18:19], off offset:6160
	s_wait_xcnt 0x0
	v_add_nc_u64_e32 v[18:19], 0x2000, v[18:19]
	s_wait_loadcnt 0x1
	v_cvt_f32_f16_e32 v37, v30
	v_dual_lshrrev_b32 v58, 16, v31 :: v_dual_lshrrev_b32 v59, 16, v30
	v_dual_lshrrev_b32 v66, 16, v28 :: v_dual_lshrrev_b32 v30, 16, v45
	v_cvt_f32_f16_e32 v36, v28
	v_cvt_f32_f16_e32 v38, v29
	v_lshrrev_b32_e32 v55, 16, v29
	v_cvt_f32_f16_e32 v28, v64
	v_cvt_f32_f16_e32 v29, v65
	;; [unrolled: 1-line block ×3, first 2 shown]
	v_dual_lshrrev_b32 v64, 16, v25 :: v_dual_lshrrev_b32 v65, 16, v27
	s_wait_loadcnt 0x0
	v_dual_lshrrev_b32 v67, 16, v33 :: v_dual_lshrrev_b32 v70, 16, v32
	s_delay_alu instid0(VALU_DEP_3)
	v_pk_fma_f32 v[12:13], v[28:29], v[30:31], v[12:13] op_sel_hi:[1,0,1]
	v_cvt_f32_f16_e32 v28, v68
	v_cvt_f32_f16_e32 v29, v69
	;; [unrolled: 1-line block ×3, first 2 shown]
	v_dual_lshrrev_b32 v45, 16, v41 :: v_dual_lshrrev_b32 v68, 16, v35
	v_lshrrev_b32_e32 v69, 16, v34
	s_delay_alu instid0(VALU_DEP_4)
	v_pk_fma_f32 v[22:23], v[28:29], v[30:31], v[22:23] op_sel_hi:[1,0,1]
	v_cvt_f32_f16_e32 v29, v42
	v_cvt_f32_f16_e32 v28, v40
	;; [unrolled: 1-line block ×3, first 2 shown]
	v_lshrrev_b32_e32 v42, 16, v42
	v_cvt_f32_f16_e32 v31, v43
	v_cvt_f32_f16_e32 v30, v41
	v_lshrrev_b32_e32 v43, 16, v43
	v_pk_fma_f32 v[12:13], v[60:61], v[40:41], v[12:13] op_sel_hi:[1,0,1]
	v_pk_fma_f32 v[22:23], v[28:29], v[40:41], v[22:23] op_sel_hi:[1,0,1]
	v_cvt_f32_f16_e32 v29, v26
	v_dual_lshrrev_b32 v60, 16, v24 :: v_dual_lshrrev_b32 v61, 16, v26
	v_lshrrev_b32_e32 v26, 16, v46
	v_cvt_f32_f16_e32 v28, v24
	v_cvt_f32_f16_e32 v40, v25
	;; [unrolled: 1-line block ×8, first 2 shown]
	s_delay_alu instid0(VALU_DEP_4)
	v_pk_fma_f32 v[12:13], v[24:25], v[26:27], v[12:13] op_sel_hi:[1,0,1]
	v_cvt_f32_f16_e32 v25, v42
	v_cvt_f32_f16_e32 v24, v44
	;; [unrolled: 1-line block ×5, first 2 shown]
	s_delay_alu instid0(VALU_DEP_4)
	v_pk_fma_f32 v[22:23], v[24:25], v[26:27], v[22:23] op_sel_hi:[1,0,1]
	v_cvt_f32_f16_e32 v26, v32
	v_cvt_f32_f16_e32 v32, v47
	;; [unrolled: 1-line block ×6, first 2 shown]
	v_pk_fma_f32 v[12:13], v[62:63], v[32:33], v[12:13] op_sel_hi:[1,0,1]
	v_lshrrev_b32_e32 v33, 16, v47
	v_cvt_f32_f16_e32 v34, v74
	v_cvt_f32_f16_e32 v47, v79
	s_delay_alu instid0(VALU_DEP_3)
	v_cvt_f32_f16_e32 v54, v33
	v_pk_fma_f32 v[22:23], v[30:31], v[32:33], v[22:23] op_sel_hi:[1,0,1]
	v_cvt_f32_f16_e32 v31, v59
	v_cvt_f32_f16_e32 v30, v48
	v_lshrrev_b32_e32 v48, 16, v48
	v_pk_fma_f32 v[12:13], v[34:35], v[54:55], v[12:13] op_sel_hi:[1,0,1]
	v_pk_fma_f32 v[22:23], v[42:43], v[54:55], v[22:23] op_sel_hi:[1,0,1]
	v_cvt_f32_f16_e32 v33, v61
	v_cvt_f32_f16_e32 v32, v60
	s_delay_alu instid0(VALU_DEP_4) | instskip(NEXT) | instid1(VALU_DEP_4)
	v_pk_fma_f32 v[12:13], v[52:53], v[30:31], v[12:13] op_sel_hi:[1,0,1]
	v_pk_fma_f32 v[22:23], v[28:29], v[30:31], v[22:23] op_sel_hi:[1,0,1]
	v_lshrrev_b32_e32 v29, 16, v49
	v_cvt_f32_f16_e32 v34, v48
	v_cvt_f32_f16_e32 v28, v49
	;; [unrolled: 1-line block ×3, first 2 shown]
	s_delay_alu instid0(VALU_DEP_3)
	v_pk_fma_f32 v[22:23], v[32:33], v[34:35], v[22:23] op_sel_hi:[1,0,1]
	v_pk_fma_f32 v[12:13], v[44:45], v[34:35], v[12:13] op_sel_hi:[1,0,1]
	v_cvt_f32_f16_e32 v33, v65
	v_cvt_f32_f16_e32 v32, v64
	;; [unrolled: 1-line block ×3, first 2 shown]
	v_pk_fma_f32 v[22:23], v[40:41], v[28:29], v[22:23] op_sel_hi:[1,0,1]
	v_lshrrev_b32_e32 v35, 16, v50
	v_pk_fma_f32 v[12:13], v[56:57], v[28:29], v[12:13] op_sel_hi:[1,0,1]
	v_cvt_f32_f16_e32 v29, v58
	v_cvt_f32_f16_e32 v28, v50
	s_delay_alu instid0(VALU_DEP_4) | instskip(SKIP_2) | instid1(VALU_DEP_3)
	v_pk_fma_f32 v[22:23], v[32:33], v[34:35], v[22:23] op_sel_hi:[1,0,1]
	v_cvt_f32_f16_e32 v33, v69
	v_cvt_f32_f16_e32 v32, v70
	v_pk_fma_f32 v[22:23], v[26:27], v[28:29], v[22:23] op_sel_hi:[1,0,1]
	v_lshrrev_b32_e32 v27, 16, v51
	v_pk_fma_f32 v[12:13], v[46:47], v[34:35], v[12:13] op_sel_hi:[1,0,1]
	v_cvt_f32_f16_e32 v34, v35
	v_cvt_f32_f16_e32 v26, v51
	s_delay_alu instid0(VALU_DEP_3) | instskip(NEXT) | instid1(VALU_DEP_3)
	v_pk_fma_f32 v[12:13], v[36:37], v[28:29], v[12:13] op_sel_hi:[1,0,1]
	v_pk_fma_f32 v[22:23], v[32:33], v[34:35], v[22:23] op_sel_hi:[1,0,1]
	v_cvt_f32_f16_e32 v28, v55
	v_cvt_f32_f16_e32 v32, v27
	s_delay_alu instid0(VALU_DEP_4) | instskip(SKIP_3) | instid1(VALU_DEP_4)
	v_pk_fma_f32 v[12:13], v[30:31], v[34:35], v[12:13] op_sel_hi:[1,0,1]
	v_cvt_f32_f16_e32 v31, v68
	v_cvt_f32_f16_e32 v30, v67
	v_pk_fma_f32 v[22:23], v[24:25], v[26:27], v[22:23] op_sel_hi:[1,0,1]
	v_pk_fma_f32 v[12:13], v[38:39], v[26:27], v[12:13] op_sel_hi:[1,0,1]
	s_delay_alu instid0(VALU_DEP_2) | instskip(NEXT) | instid1(VALU_DEP_2)
	v_pk_fma_f32 v[22:23], v[30:31], v[32:33], v[22:23] op_sel_hi:[1,0,1]
	v_pk_fma_f32 v[12:13], v[28:29], v[32:33], v[12:13] op_sel_hi:[1,0,1]
	s_and_not1_b32 exec_lo, exec_lo, s7
	s_cbranch_execnz .LBB104_23
; %bb.24:
	s_or_b32 exec_lo, exec_lo, s7
	v_dual_mov_b32 v21, v23 :: v_dual_mov_b32 v20, v22
.LBB104_25:
	s_or_b32 exec_lo, exec_lo, s6
.LBB104_26:
	s_delay_alu instid0(SALU_CYCLE_1)
	s_or_b32 exec_lo, exec_lo, s3
	s_cbranch_execz .LBB104_28
	s_branch .LBB104_39
.LBB104_27:
                                        ; implicit-def: $vgpr21
                                        ; implicit-def: $vgpr13
.LBB104_28:
	v_dual_mov_b32 v21, 0 :: v_dual_mov_b32 v20, 0
	v_dual_mov_b32 v13, 0 :: v_dual_mov_b32 v12, 0
	s_and_saveexec_b32 s3, s2
	s_cbranch_execz .LBB104_38
; %bb.29:
	v_dual_mov_b32 v13, v1 :: v_dual_bitop2_b32 v12, 64, v0 bitop3:0x54
	v_sub_nc_u64_e32 v[16:17], v[4:5], v[0:1]
	v_mov_b32_e32 v20, 0
	s_delay_alu instid0(VALU_DEP_3) | instskip(NEXT) | instid1(VALU_DEP_1)
	v_sub_nc_u64_e32 v[12:13], v[12:13], v[4:5]
	v_add_nc_u64_e32 v[12:13], v[12:13], v[14:15]
	v_not_b32_e32 v15, v15
	v_not_b32_e32 v14, v14
	s_delay_alu instid0(VALU_DEP_1) | instskip(NEXT) | instid1(VALU_DEP_4)
	v_add_nc_u64_e32 v[14:15], v[16:17], v[14:15]
	v_max_i64 v[12:13], v[12:13], v[8:9]
	v_mov_b32_e32 v17, v20
	s_delay_alu instid0(VALU_DEP_2) | instskip(SKIP_1) | instid1(VALU_DEP_2)
	v_add_nc_u64_e32 v[14:15], v[14:15], v[12:13]
	v_mov_b64_e32 v[12:13], 0
	v_and_b32_e32 v16, 0xc0, v14
	s_delay_alu instid0(VALU_DEP_1)
	v_cmp_ne_u64_e32 vcc_lo, 0xc0, v[16:17]
	v_mov_b64_e32 v[16:17], 0
	s_and_saveexec_b32 s2, vcc_lo
	s_cbranch_execz .LBB104_33
; %bb.30:
	v_dual_lshrrev_b32 v1, 6, v14 :: v_dual_mov_b32 v13, v20
	v_lshl_add_u64 v[16:17], v[6:7], 3, s[8:9]
	s_mov_b32 s6, 0
	s_delay_alu instid0(VALU_DEP_2) | instskip(NEXT) | instid1(VALU_DEP_1)
	v_dual_mov_b32 v21, v20 :: v_dual_add_nc_u32 v1, 1, v1
	v_and_b32_e32 v12, 3, v1
	s_delay_alu instid0(VALU_DEP_1)
	v_sub_nc_u64_e32 v[18:19], 0, v[12:13]
	v_mov_b32_e32 v12, v20
.LBB104_31:                             ; =>This Inner Loop Header: Depth=1
	global_load_b64 v[26:27], v[16:17], off
	global_load_b128 v[22:25], v[10:11], off
	v_add_nc_u64_e32 v[18:19], 1, v[18:19]
	v_add_nc_u64_e32 v[6:7], 64, v[6:7]
	s_wait_xcnt 0x1
	v_add_nc_u64_e32 v[16:17], 0x200, v[16:17]
	s_delay_alu instid0(VALU_DEP_3)
	v_cmp_eq_u64_e32 vcc_lo, 0, v[18:19]
	s_or_b32 s6, vcc_lo, s6
	s_wait_loadcnt 0x1
	v_sub_nc_u64_e32 v[26:27], v[26:27], v[4:5]
	s_wait_loadcnt 0x0
	v_lshrrev_b32_e32 v1, 16, v22
	v_cvt_f32_f16_e32 v22, v22
	v_cvt_f32_f16_e32 v34, v25
	v_lshrrev_b32_e32 v37, 16, v23
	s_wait_kmcnt 0x0
	v_lshl_add_u64 v[30:31], v[26:27], 3, s[4:5]
	global_load_b64 v[32:33], v[30:31], off
	global_load_b128 v[26:29], v[10:11], off offset:16
	s_wait_xcnt 0x1
	v_lshrrev_b32_e32 v31, 16, v24
	v_cvt_f32_f16_e32 v30, v23
	v_lshrrev_b32_e32 v39, 16, v25
	v_cvt_f32_f16_e32 v23, v1
	v_cvt_f32_f16_e32 v24, v24
	;; [unrolled: 1-line block ×3, first 2 shown]
	s_wait_xcnt 0x0
	v_add_nc_u64_e32 v[10:11], 0x800, v[10:11]
	v_cvt_f32_f16_e32 v31, v37
	s_wait_loadcnt 0x0
	v_dual_lshrrev_b32 v1, 16, v32 :: v_dual_lshrrev_b32 v35, 16, v26
	v_cvt_f32_f16_e32 v32, v32
	v_lshrrev_b32_e32 v41, 16, v27
	v_cvt_f32_f16_e32 v36, v27
	s_delay_alu instid0(VALU_DEP_4)
	v_cvt_f32_f16_e32 v40, v1
	v_cvt_f32_f16_e32 v27, v35
	v_cvt_f32_f16_e32 v35, v39
	v_pk_fma_f32 v[12:13], v[22:23], v[32:33], v[12:13] op_sel_hi:[1,0,1]
	v_cvt_f32_f16_e32 v26, v26
	v_dual_lshrrev_b32 v42, 16, v28 :: v_dual_lshrrev_b32 v43, 16, v29
	v_pk_fma_f32 v[20:21], v[30:31], v[32:33], v[20:21] op_sel_hi:[1,0,1]
	v_cvt_f32_f16_e32 v37, v41
	v_lshrrev_b32_e32 v1, 16, v33
	v_cvt_f32_f16_e32 v22, v33
	v_pk_fma_f32 v[12:13], v[24:25], v[40:41], v[12:13] op_sel_hi:[1,0,1]
	v_pk_fma_f32 v[20:21], v[34:35], v[40:41], v[20:21] op_sel_hi:[1,0,1]
	v_cvt_f32_f16_e32 v28, v28
	v_cvt_f32_f16_e32 v38, v29
	;; [unrolled: 1-line block ×5, first 2 shown]
	v_pk_fma_f32 v[12:13], v[26:27], v[22:23], v[12:13] op_sel_hi:[1,0,1]
	v_pk_fma_f32 v[20:21], v[36:37], v[22:23], v[20:21] op_sel_hi:[1,0,1]
	s_delay_alu instid0(VALU_DEP_2) | instskip(NEXT) | instid1(VALU_DEP_2)
	v_pk_fma_f32 v[12:13], v[28:29], v[24:25], v[12:13] op_sel_hi:[1,0,1]
	v_pk_fma_f32 v[20:21], v[38:39], v[24:25], v[20:21] op_sel_hi:[1,0,1]
	s_and_not1_b32 exec_lo, exec_lo, s6
	s_cbranch_execnz .LBB104_31
; %bb.32:
	s_or_b32 exec_lo, exec_lo, s6
	s_delay_alu instid0(VALU_DEP_1)
	v_mov_b64_e32 v[16:17], v[20:21]
.LBB104_33:
	s_or_b32 exec_lo, exec_lo, s2
	s_delay_alu instid0(SALU_CYCLE_1)
	s_mov_b32 s2, exec_lo
	v_cmpx_lt_u64_e32 0xbf, v[14:15]
	s_cbranch_execz .LBB104_37
; %bb.34:
	v_lshl_add_u64 v[14:15], v[6:7], 3, s[8:9]
	s_mov_b32 s6, 0
	s_delay_alu instid0(VALU_DEP_1)
	v_add_nc_u64_e32 v[14:15], 0x400, v[14:15]
.LBB104_35:                             ; =>This Inner Loop Header: Depth=1
	s_clause 0x3
	global_load_b64 v[46:47], v[14:15], off offset:-1024
	global_load_b64 v[48:49], v[14:15], off offset:-512
	global_load_b64 v[50:51], v[14:15], off
	global_load_b64 v[52:53], v[14:15], off offset:512
	s_clause 0x6
	global_load_b128 v[18:21], v[10:11], off
	global_load_b128 v[22:25], v[10:11], off offset:16
	global_load_b128 v[26:29], v[10:11], off offset:2048
	;; [unrolled: 1-line block ×6, first 2 shown]
	v_add_nc_u64_e32 v[6:7], 0x100, v[6:7]
	s_wait_xcnt 0x7
	v_add_nc_u64_e32 v[14:15], 0x800, v[14:15]
	s_delay_alu instid0(VALU_DEP_2)
	v_cmp_ge_i64_e32 vcc_lo, v[6:7], v[8:9]
	s_or_b32 s6, vcc_lo, s6
	s_wait_loadcnt 0xa
	v_sub_nc_u64_e32 v[46:47], v[46:47], v[4:5]
	s_wait_loadcnt 0x9
	v_sub_nc_u64_e32 v[48:49], v[48:49], v[4:5]
	;; [unrolled: 2-line block ×4, first 2 shown]
	s_wait_loadcnt 0x6
	v_lshrrev_b32_e32 v1, 16, v18
	s_wait_kmcnt 0x0
	v_lshl_add_u64 v[54:55], v[46:47], 3, s[4:5]
	v_lshl_add_u64 v[56:57], v[48:49], 3, s[4:5]
	;; [unrolled: 1-line block ×4, first 2 shown]
	s_clause 0x3
	global_load_b64 v[58:59], v[54:55], off
	global_load_b64 v[60:61], v[56:57], off
	;; [unrolled: 1-line block ×4, first 2 shown]
	global_load_b128 v[46:49], v[10:11], off offset:6160
	s_wait_xcnt 0x2
	v_cvt_f32_f16_e32 v50, v18
	s_wait_xcnt 0x1
	v_dual_lshrrev_b32 v52, 16, v20 :: v_dual_lshrrev_b32 v53, 16, v19
	v_cvt_f32_f16_e32 v51, v1
	s_wait_loadcnt 0xa
	v_lshrrev_b32_e32 v1, 16, v22
	v_cvt_f32_f16_e32 v22, v22
	s_wait_xcnt 0x0
	v_add_nc_u64_e32 v[10:11], 0x2000, v[10:11]
	s_wait_loadcnt 0x7
	v_lshrrev_b32_e32 v54, 16, v37
	s_wait_loadcnt 0x4
	v_cvt_f32_f16_e32 v18, v58
	s_wait_loadcnt 0x0
	v_dual_lshrrev_b32 v55, 16, v48 :: v_dual_lshrrev_b32 v56, 16, v49
	s_delay_alu instid0(VALU_DEP_2) | instskip(SKIP_3) | instid1(VALU_DEP_2)
	v_pk_fma_f32 v[12:13], v[50:51], v[18:19], v[12:13] op_sel_hi:[1,0,1]
	v_cvt_f32_f16_e32 v50, v19
	v_cvt_f32_f16_e32 v51, v53
	v_lshrrev_b32_e32 v53, 16, v26
	v_pk_fma_f32 v[16:17], v[50:51], v[18:19], v[16:17] op_sel_hi:[1,0,1]
	v_dual_lshrrev_b32 v50, 16, v21 :: v_dual_lshrrev_b32 v51, 16, v23
	v_cvt_f32_f16_e32 v18, v20
	v_cvt_f32_f16_e32 v20, v21
	;; [unrolled: 1-line block ×3, first 2 shown]
	s_delay_alu instid0(VALU_DEP_4) | instskip(SKIP_1) | instid1(VALU_DEP_1)
	v_cvt_f32_f16_e32 v21, v50
	v_dual_lshrrev_b32 v50, 16, v58 :: v_dual_lshrrev_b32 v52, 16, v25
	v_cvt_f32_f16_e32 v50, v50
	s_delay_alu instid0(VALU_DEP_1)
	v_pk_fma_f32 v[12:13], v[18:19], v[50:51], v[12:13] op_sel_hi:[1,0,1]
	v_cvt_f32_f16_e32 v18, v23
	v_pk_fma_f32 v[16:17], v[20:21], v[50:51], v[16:17] op_sel_hi:[1,0,1]
	v_cvt_f32_f16_e32 v23, v1
	v_cvt_f32_f16_e32 v50, v59
	;; [unrolled: 1-line block ×3, first 2 shown]
	v_lshrrev_b32_e32 v21, 16, v24
	v_cvt_f32_f16_e32 v20, v24
	v_cvt_f32_f16_e32 v24, v25
	v_pk_fma_f32 v[12:13], v[22:23], v[50:51], v[12:13] op_sel_hi:[1,0,1]
	v_pk_fma_f32 v[16:17], v[18:19], v[50:51], v[16:17] op_sel_hi:[1,0,1]
	v_dual_lshrrev_b32 v51, 16, v32 :: v_dual_lshrrev_b32 v19, 16, v59
	v_dual_lshrrev_b32 v1, 16, v28 :: v_dual_lshrrev_b32 v50, 16, v30
	v_cvt_f32_f16_e32 v18, v28
	v_cvt_f32_f16_e32 v21, v21
	;; [unrolled: 1-line block ×4, first 2 shown]
	v_lshrrev_b32_e32 v19, 16, v27
	v_cvt_f32_f16_e32 v22, v26
	v_cvt_f32_f16_e32 v26, v30
	;; [unrolled: 1-line block ×3, first 2 shown]
	v_pk_fma_f32 v[12:13], v[20:21], v[28:29], v[12:13] op_sel_hi:[1,0,1]
	v_pk_fma_f32 v[16:17], v[24:25], v[28:29], v[16:17] op_sel_hi:[1,0,1]
	v_lshrrev_b32_e32 v21, 16, v29
	v_cvt_f32_f16_e32 v30, v60
	v_cvt_f32_f16_e32 v25, v19
	;; [unrolled: 1-line block ×3, first 2 shown]
	v_lshrrev_b32_e32 v1, 16, v60
	v_cvt_f32_f16_e32 v20, v32
	v_cvt_f32_f16_e32 v24, v27
	v_pk_fma_f32 v[12:13], v[22:23], v[30:31], v[12:13] op_sel_hi:[1,0,1]
	v_cvt_f32_f16_e32 v28, v29
	v_cvt_f32_f16_e32 v32, v1
	v_lshrrev_b32_e32 v23, 16, v31
	v_pk_fma_f32 v[16:17], v[24:25], v[30:31], v[16:17] op_sel_hi:[1,0,1]
	v_cvt_f32_f16_e32 v24, v31
	v_lshrrev_b32_e32 v31, 16, v33
	v_cvt_f32_f16_e32 v30, v33
	v_pk_fma_f32 v[12:13], v[18:19], v[32:33], v[12:13] op_sel_hi:[1,0,1]
	v_cvt_f32_f16_e32 v29, v21
	v_dual_lshrrev_b32 v33, 16, v35 :: v_dual_lshrrev_b32 v52, 16, v34
	v_lshrrev_b32_e32 v53, 16, v36
	v_cvt_f32_f16_e32 v18, v36
	v_cvt_f32_f16_e32 v27, v50
	s_delay_alu instid0(VALU_DEP_4)
	v_pk_fma_f32 v[16:17], v[28:29], v[32:33], v[16:17] op_sel_hi:[1,0,1]
	v_cvt_f32_f16_e32 v25, v23
	v_cvt_f32_f16_e32 v36, v61
	v_lshrrev_b32_e32 v1, 16, v38
	v_cvt_f32_f16_e32 v32, v37
	v_dual_lshrrev_b32 v19, 16, v61 :: v_dual_lshrrev_b32 v29, 16, v40
	s_delay_alu instid0(VALU_DEP_4)
	v_pk_fma_f32 v[12:13], v[26:27], v[36:37], v[12:13] op_sel_hi:[1,0,1]
	v_pk_fma_f32 v[16:17], v[24:25], v[36:37], v[16:17] op_sel_hi:[1,0,1]
	v_lshrrev_b32_e32 v37, 16, v41
	v_cvt_f32_f16_e32 v36, v41
	v_lshrrev_b32_e32 v41, 16, v44
	v_cvt_f32_f16_e32 v26, v40
	v_cvt_f32_f16_e32 v21, v51
	;; [unrolled: 1-line block ×6, first 2 shown]
	v_lshrrev_b32_e32 v25, 16, v39
	v_lshrrev_b32_e32 v51, 16, v47
	v_pk_fma_f32 v[12:13], v[20:21], v[40:41], v[12:13] op_sel_hi:[1,0,1]
	v_pk_fma_f32 v[16:17], v[30:31], v[40:41], v[16:17] op_sel_hi:[1,0,1]
	v_lshrrev_b32_e32 v31, 16, v43
	v_cvt_f32_f16_e32 v30, v43
	v_lshrrev_b32_e32 v43, 16, v45
	v_cvt_f32_f16_e32 v40, v45
	;; [unrolled: 2-line block ×3, first 2 shown]
	v_cvt_f32_f16_e32 v50, v62
	v_cvt_f32_f16_e32 v35, v1
	;; [unrolled: 1-line block ×4, first 2 shown]
	v_lshrrev_b32_e32 v1, 16, v62
	v_pk_fma_f32 v[12:13], v[22:23], v[50:51], v[12:13] op_sel_hi:[1,0,1]
	v_cvt_f32_f16_e32 v19, v53
	v_cvt_f32_f16_e32 v33, v54
	v_pk_fma_f32 v[16:17], v[28:29], v[50:51], v[16:17] op_sel_hi:[1,0,1]
	v_cvt_f32_f16_e32 v22, v1
	v_cvt_f32_f16_e32 v34, v38
	;; [unrolled: 1-line block ×4, first 2 shown]
	v_lshrrev_b32_e32 v1, 16, v63
	v_cvt_f32_f16_e32 v28, v63
	v_pk_fma_f32 v[12:13], v[18:19], v[22:23], v[12:13] op_sel_hi:[1,0,1]
	v_pk_fma_f32 v[16:17], v[32:33], v[22:23], v[16:17] op_sel_hi:[1,0,1]
	v_lshrrev_b32_e32 v39, 16, v42
	v_cvt_f32_f16_e32 v37, v37
	v_cvt_f32_f16_e32 v18, v1
	v_pk_fma_f32 v[12:13], v[34:35], v[28:29], v[12:13] op_sel_hi:[1,0,1]
	v_pk_fma_f32 v[16:17], v[24:25], v[28:29], v[16:17] op_sel_hi:[1,0,1]
	v_cvt_f32_f16_e32 v38, v42
	v_cvt_f32_f16_e32 v39, v39
	v_cvt_f32_f16_e32 v31, v31
	v_lshrrev_b32_e32 v1, 16, v64
	v_cvt_f32_f16_e32 v22, v64
	v_pk_fma_f32 v[12:13], v[26:27], v[18:19], v[12:13] op_sel_hi:[1,0,1]
	v_pk_fma_f32 v[16:17], v[36:37], v[18:19], v[16:17] op_sel_hi:[1,0,1]
	v_cvt_f32_f16_e32 v20, v44
	v_cvt_f32_f16_e32 v21, v41
	;; [unrolled: 1-line block ×4, first 2 shown]
	v_pk_fma_f32 v[12:13], v[38:39], v[22:23], v[12:13] op_sel_hi:[1,0,1]
	v_pk_fma_f32 v[16:17], v[30:31], v[22:23], v[16:17] op_sel_hi:[1,0,1]
	v_cvt_f32_f16_e32 v42, v46
	v_cvt_f32_f16_e32 v44, v47
	v_cvt_f32_f16_e32 v43, v45
	v_cvt_f32_f16_e32 v45, v51
	v_lshrrev_b32_e32 v1, 16, v65
	v_cvt_f32_f16_e32 v22, v65
	v_pk_fma_f32 v[12:13], v[20:21], v[18:19], v[12:13] op_sel_hi:[1,0,1]
	v_pk_fma_f32 v[16:17], v[40:41], v[18:19], v[16:17] op_sel_hi:[1,0,1]
	v_cvt_f32_f16_e32 v46, v48
	v_cvt_f32_f16_e32 v48, v49
	v_cvt_f32_f16_e32 v47, v55
	v_cvt_f32_f16_e32 v49, v56
	v_cvt_f32_f16_e32 v18, v1
	v_pk_fma_f32 v[12:13], v[42:43], v[22:23], v[12:13] op_sel_hi:[1,0,1]
	v_pk_fma_f32 v[16:17], v[44:45], v[22:23], v[16:17] op_sel_hi:[1,0,1]
	s_delay_alu instid0(VALU_DEP_2) | instskip(NEXT) | instid1(VALU_DEP_2)
	v_pk_fma_f32 v[12:13], v[46:47], v[18:19], v[12:13] op_sel_hi:[1,0,1]
	v_pk_fma_f32 v[16:17], v[48:49], v[18:19], v[16:17] op_sel_hi:[1,0,1]
	s_and_not1_b32 exec_lo, exec_lo, s6
	s_cbranch_execnz .LBB104_35
; %bb.36:
	s_or_b32 exec_lo, exec_lo, s6
	s_delay_alu instid0(VALU_DEP_1)
	v_dual_mov_b32 v21, v17 :: v_dual_mov_b32 v20, v16
.LBB104_37:
	s_or_b32 exec_lo, exec_lo, s2
.LBB104_38:
	s_delay_alu instid0(SALU_CYCLE_1)
	s_or_b32 exec_lo, exec_lo, s3
.LBB104_39:
	v_mbcnt_lo_u32_b32 v1, -1, 0
	s_mov_b32 s2, -1
	s_delay_alu instid0(VALU_DEP_1) | instskip(SKIP_1) | instid1(VALU_DEP_1)
	v_xor_b32_e32 v8, 16, v1
	v_or_b32_e32 v4, 32, v1
	v_cmp_gt_i32_e32 vcc_lo, 32, v4
	v_cndmask_b32_e32 v4, v1, v4, vcc_lo
	s_delay_alu instid0(VALU_DEP_4) | instskip(NEXT) | instid1(VALU_DEP_2)
	v_cmp_gt_i32_e32 vcc_lo, 32, v8
	v_lshlrev_b32_e32 v7, 2, v4
	v_cndmask_b32_e32 v8, v1, v8, vcc_lo
	ds_bpermute_b32 v4, v7, v12
	ds_bpermute_b32 v5, v7, v13
	ds_bpermute_b32 v6, v7, v20
	ds_bpermute_b32 v7, v7, v21
	v_lshlrev_b32_e32 v11, 2, v8
	s_wait_dscnt 0x2
	v_pk_add_f32 v[4:5], v[12:13], v[4:5]
	v_xor_b32_e32 v12, 8, v1
	s_wait_dscnt 0x0
	v_pk_add_f32 v[6:7], v[20:21], v[6:7]
	ds_bpermute_b32 v8, v11, v4
	ds_bpermute_b32 v9, v11, v5
	ds_bpermute_b32 v10, v11, v6
	ds_bpermute_b32 v11, v11, v7
	v_cmp_gt_i32_e32 vcc_lo, 32, v12
	v_cndmask_b32_e32 v12, v1, v12, vcc_lo
	s_delay_alu instid0(VALU_DEP_1)
	v_lshlrev_b32_e32 v12, 2, v12
	s_wait_dscnt 0x2
	v_pk_add_f32 v[4:5], v[4:5], v[8:9]
	s_wait_dscnt 0x0
	v_pk_add_f32 v[6:7], v[6:7], v[10:11]
	ds_bpermute_b32 v8, v12, v4
	ds_bpermute_b32 v9, v12, v5
	;; [unrolled: 1-line block ×4, first 2 shown]
	v_xor_b32_e32 v12, 4, v1
	s_delay_alu instid0(VALU_DEP_1) | instskip(SKIP_1) | instid1(VALU_DEP_1)
	v_cmp_gt_i32_e32 vcc_lo, 32, v12
	v_cndmask_b32_e32 v12, v1, v12, vcc_lo
	v_lshlrev_b32_e32 v12, 2, v12
	s_wait_dscnt 0x2
	v_pk_add_f32 v[4:5], v[4:5], v[8:9]
	s_wait_dscnt 0x0
	v_pk_add_f32 v[6:7], v[6:7], v[10:11]
	ds_bpermute_b32 v8, v12, v4
	ds_bpermute_b32 v9, v12, v5
	;; [unrolled: 1-line block ×4, first 2 shown]
	v_xor_b32_e32 v12, 2, v1
	s_delay_alu instid0(VALU_DEP_1) | instskip(SKIP_1) | instid1(VALU_DEP_1)
	v_cmp_gt_i32_e32 vcc_lo, 32, v12
	v_cndmask_b32_e32 v12, v1, v12, vcc_lo
	v_lshlrev_b32_e32 v12, 2, v12
	s_wait_dscnt 0x2
	v_pk_add_f32 v[4:5], v[4:5], v[8:9]
	s_wait_dscnt 0x0
	v_pk_add_f32 v[6:7], v[6:7], v[10:11]
	ds_bpermute_b32 v8, v12, v4
	ds_bpermute_b32 v9, v12, v5
	;; [unrolled: 1-line block ×4, first 2 shown]
	v_xor_b32_e32 v12, 1, v1
	s_delay_alu instid0(VALU_DEP_1) | instskip(SKIP_2) | instid1(VALU_DEP_2)
	v_cmp_gt_i32_e32 vcc_lo, 32, v12
	v_cndmask_b32_e32 v1, v1, v12, vcc_lo
	v_cmp_eq_u32_e32 vcc_lo, 63, v0
	v_lshlrev_b32_e32 v1, 2, v1
	s_wait_dscnt 0x2
	v_pk_add_f32 v[4:5], v[4:5], v[8:9]
	s_wait_dscnt 0x0
	v_pk_add_f32 v[8:9], v[6:7], v[10:11]
	ds_bpermute_b32 v6, v1, v4
	ds_bpermute_b32 v7, v1, v5
	;; [unrolled: 1-line block ×4, first 2 shown]
	s_and_b32 exec_lo, exec_lo, vcc_lo
	s_cbranch_execz .LBB104_10
; %bb.40:
	s_load_b64 s[0:1], s[0:1], 0x58
	s_wait_dscnt 0x2
	v_pk_add_f32 v[6:7], v[4:5], v[6:7]
	s_wait_dscnt 0x0
	v_pk_add_f32 v[4:5], v[8:9], v[10:11]
	s_cmp_eq_f32 s16, 0
	s_wait_kmcnt 0x0
	v_lshl_add_u64 v[0:1], v[2:3], 4, s[0:1]
	s_cbranch_scc0 .LBB104_42
; %bb.41:
	v_pk_mul_f32 v[8:9], s[12:13], v[6:7] op_sel_hi:[0,1]
	v_pk_mul_f32 v[10:11], s[12:13], v[4:5] op_sel_hi:[0,1]
	s_mov_b32 s2, 0
	global_store_b128 v[0:1], v[8:11], off
.LBB104_42:
	s_and_not1_b32 vcc_lo, exec_lo, s2
	s_cbranch_vccnz .LBB104_10
; %bb.43:
	global_load_b128 v[8:11], v[0:1], off
	v_pk_mul_f32 v[2:3], s[12:13], v[6:7] op_sel_hi:[0,1]
	v_pk_mul_f32 v[4:5], s[12:13], v[4:5] op_sel_hi:[0,1]
	s_wait_loadcnt 0x0
	s_delay_alu instid0(VALU_DEP_2) | instskip(NEXT) | instid1(VALU_DEP_2)
	v_pk_fma_f32 v[2:3], s[16:17], v[8:9], v[2:3] op_sel_hi:[0,1,1]
	v_pk_fma_f32 v[4:5], s[16:17], v[10:11], v[4:5] op_sel_hi:[0,1,1]
	global_store_b128 v[0:1], v[2:5], off
	s_sendmsg sendmsg(MSG_DEALLOC_VGPRS)
	s_endpgm
	.section	.rodata,"a",@progbits
	.p2align	6, 0x0
	.amdhsa_kernel _ZN9rocsparseL18bsrxmvn_4x4_kernelILj128ELj64EfllDF16_DF16_fEEvT3_20rocsparse_direction_NS_24const_host_device_scalarIT1_EES1_PKS1_PKT2_SA_S7_PKT4_PKT5_S5_PT6_21rocsparse_index_base_b
		.amdhsa_group_segment_fixed_size 0
		.amdhsa_private_segment_fixed_size 0
		.amdhsa_kernarg_size 104
		.amdhsa_user_sgpr_count 2
		.amdhsa_user_sgpr_dispatch_ptr 0
		.amdhsa_user_sgpr_queue_ptr 0
		.amdhsa_user_sgpr_kernarg_segment_ptr 1
		.amdhsa_user_sgpr_dispatch_id 0
		.amdhsa_user_sgpr_kernarg_preload_length 0
		.amdhsa_user_sgpr_kernarg_preload_offset 0
		.amdhsa_user_sgpr_private_segment_size 0
		.amdhsa_wavefront_size32 1
		.amdhsa_uses_dynamic_stack 0
		.amdhsa_enable_private_segment 0
		.amdhsa_system_sgpr_workgroup_id_x 1
		.amdhsa_system_sgpr_workgroup_id_y 0
		.amdhsa_system_sgpr_workgroup_id_z 0
		.amdhsa_system_sgpr_workgroup_info 0
		.amdhsa_system_vgpr_workitem_id 0
		.amdhsa_next_free_vgpr 80
		.amdhsa_next_free_sgpr 18
		.amdhsa_named_barrier_count 0
		.amdhsa_reserve_vcc 1
		.amdhsa_float_round_mode_32 0
		.amdhsa_float_round_mode_16_64 0
		.amdhsa_float_denorm_mode_32 3
		.amdhsa_float_denorm_mode_16_64 3
		.amdhsa_fp16_overflow 0
		.amdhsa_memory_ordered 1
		.amdhsa_forward_progress 1
		.amdhsa_inst_pref_size 37
		.amdhsa_round_robin_scheduling 0
		.amdhsa_exception_fp_ieee_invalid_op 0
		.amdhsa_exception_fp_denorm_src 0
		.amdhsa_exception_fp_ieee_div_zero 0
		.amdhsa_exception_fp_ieee_overflow 0
		.amdhsa_exception_fp_ieee_underflow 0
		.amdhsa_exception_fp_ieee_inexact 0
		.amdhsa_exception_int_div_zero 0
	.end_amdhsa_kernel
	.section	.text._ZN9rocsparseL18bsrxmvn_4x4_kernelILj128ELj64EfllDF16_DF16_fEEvT3_20rocsparse_direction_NS_24const_host_device_scalarIT1_EES1_PKS1_PKT2_SA_S7_PKT4_PKT5_S5_PT6_21rocsparse_index_base_b,"axG",@progbits,_ZN9rocsparseL18bsrxmvn_4x4_kernelILj128ELj64EfllDF16_DF16_fEEvT3_20rocsparse_direction_NS_24const_host_device_scalarIT1_EES1_PKS1_PKT2_SA_S7_PKT4_PKT5_S5_PT6_21rocsparse_index_base_b,comdat
.Lfunc_end104:
	.size	_ZN9rocsparseL18bsrxmvn_4x4_kernelILj128ELj64EfllDF16_DF16_fEEvT3_20rocsparse_direction_NS_24const_host_device_scalarIT1_EES1_PKS1_PKT2_SA_S7_PKT4_PKT5_S5_PT6_21rocsparse_index_base_b, .Lfunc_end104-_ZN9rocsparseL18bsrxmvn_4x4_kernelILj128ELj64EfllDF16_DF16_fEEvT3_20rocsparse_direction_NS_24const_host_device_scalarIT1_EES1_PKS1_PKT2_SA_S7_PKT4_PKT5_S5_PT6_21rocsparse_index_base_b
                                        ; -- End function
	.set _ZN9rocsparseL18bsrxmvn_4x4_kernelILj128ELj64EfllDF16_DF16_fEEvT3_20rocsparse_direction_NS_24const_host_device_scalarIT1_EES1_PKS1_PKT2_SA_S7_PKT4_PKT5_S5_PT6_21rocsparse_index_base_b.num_vgpr, 80
	.set _ZN9rocsparseL18bsrxmvn_4x4_kernelILj128ELj64EfllDF16_DF16_fEEvT3_20rocsparse_direction_NS_24const_host_device_scalarIT1_EES1_PKS1_PKT2_SA_S7_PKT4_PKT5_S5_PT6_21rocsparse_index_base_b.num_agpr, 0
	.set _ZN9rocsparseL18bsrxmvn_4x4_kernelILj128ELj64EfllDF16_DF16_fEEvT3_20rocsparse_direction_NS_24const_host_device_scalarIT1_EES1_PKS1_PKT2_SA_S7_PKT4_PKT5_S5_PT6_21rocsparse_index_base_b.numbered_sgpr, 18
	.set _ZN9rocsparseL18bsrxmvn_4x4_kernelILj128ELj64EfllDF16_DF16_fEEvT3_20rocsparse_direction_NS_24const_host_device_scalarIT1_EES1_PKS1_PKT2_SA_S7_PKT4_PKT5_S5_PT6_21rocsparse_index_base_b.num_named_barrier, 0
	.set _ZN9rocsparseL18bsrxmvn_4x4_kernelILj128ELj64EfllDF16_DF16_fEEvT3_20rocsparse_direction_NS_24const_host_device_scalarIT1_EES1_PKS1_PKT2_SA_S7_PKT4_PKT5_S5_PT6_21rocsparse_index_base_b.private_seg_size, 0
	.set _ZN9rocsparseL18bsrxmvn_4x4_kernelILj128ELj64EfllDF16_DF16_fEEvT3_20rocsparse_direction_NS_24const_host_device_scalarIT1_EES1_PKS1_PKT2_SA_S7_PKT4_PKT5_S5_PT6_21rocsparse_index_base_b.uses_vcc, 1
	.set _ZN9rocsparseL18bsrxmvn_4x4_kernelILj128ELj64EfllDF16_DF16_fEEvT3_20rocsparse_direction_NS_24const_host_device_scalarIT1_EES1_PKS1_PKT2_SA_S7_PKT4_PKT5_S5_PT6_21rocsparse_index_base_b.uses_flat_scratch, 0
	.set _ZN9rocsparseL18bsrxmvn_4x4_kernelILj128ELj64EfllDF16_DF16_fEEvT3_20rocsparse_direction_NS_24const_host_device_scalarIT1_EES1_PKS1_PKT2_SA_S7_PKT4_PKT5_S5_PT6_21rocsparse_index_base_b.has_dyn_sized_stack, 0
	.set _ZN9rocsparseL18bsrxmvn_4x4_kernelILj128ELj64EfllDF16_DF16_fEEvT3_20rocsparse_direction_NS_24const_host_device_scalarIT1_EES1_PKS1_PKT2_SA_S7_PKT4_PKT5_S5_PT6_21rocsparse_index_base_b.has_recursion, 0
	.set _ZN9rocsparseL18bsrxmvn_4x4_kernelILj128ELj64EfllDF16_DF16_fEEvT3_20rocsparse_direction_NS_24const_host_device_scalarIT1_EES1_PKS1_PKT2_SA_S7_PKT4_PKT5_S5_PT6_21rocsparse_index_base_b.has_indirect_call, 0
	.section	.AMDGPU.csdata,"",@progbits
; Kernel info:
; codeLenInByte = 4712
; TotalNumSgprs: 20
; NumVgprs: 80
; ScratchSize: 0
; MemoryBound: 0
; FloatMode: 240
; IeeeMode: 1
; LDSByteSize: 0 bytes/workgroup (compile time only)
; SGPRBlocks: 0
; VGPRBlocks: 4
; NumSGPRsForWavesPerEU: 20
; NumVGPRsForWavesPerEU: 80
; NamedBarCnt: 0
; Occupancy: 12
; WaveLimiterHint : 1
; COMPUTE_PGM_RSRC2:SCRATCH_EN: 0
; COMPUTE_PGM_RSRC2:USER_SGPR: 2
; COMPUTE_PGM_RSRC2:TRAP_HANDLER: 0
; COMPUTE_PGM_RSRC2:TGID_X_EN: 1
; COMPUTE_PGM_RSRC2:TGID_Y_EN: 0
; COMPUTE_PGM_RSRC2:TGID_Z_EN: 0
; COMPUTE_PGM_RSRC2:TIDIG_COMP_CNT: 0
	.section	.text._ZN9rocsparseL18bsrxmvn_4x4_kernelILj128ELj4Efii18rocsparse_bfloat16S1_fEEvT3_20rocsparse_direction_NS_24const_host_device_scalarIT1_EES2_PKS2_PKT2_SB_S8_PKT4_PKT5_S6_PT6_21rocsparse_index_base_b,"axG",@progbits,_ZN9rocsparseL18bsrxmvn_4x4_kernelILj128ELj4Efii18rocsparse_bfloat16S1_fEEvT3_20rocsparse_direction_NS_24const_host_device_scalarIT1_EES2_PKS2_PKT2_SB_S8_PKT4_PKT5_S6_PT6_21rocsparse_index_base_b,comdat
	.globl	_ZN9rocsparseL18bsrxmvn_4x4_kernelILj128ELj4Efii18rocsparse_bfloat16S1_fEEvT3_20rocsparse_direction_NS_24const_host_device_scalarIT1_EES2_PKS2_PKT2_SB_S8_PKT4_PKT5_S6_PT6_21rocsparse_index_base_b ; -- Begin function _ZN9rocsparseL18bsrxmvn_4x4_kernelILj128ELj4Efii18rocsparse_bfloat16S1_fEEvT3_20rocsparse_direction_NS_24const_host_device_scalarIT1_EES2_PKS2_PKT2_SB_S8_PKT4_PKT5_S6_PT6_21rocsparse_index_base_b
	.p2align	8
	.type	_ZN9rocsparseL18bsrxmvn_4x4_kernelILj128ELj4Efii18rocsparse_bfloat16S1_fEEvT3_20rocsparse_direction_NS_24const_host_device_scalarIT1_EES2_PKS2_PKT2_SB_S8_PKT4_PKT5_S6_PT6_21rocsparse_index_base_b,@function
_ZN9rocsparseL18bsrxmvn_4x4_kernelILj128ELj4Efii18rocsparse_bfloat16S1_fEEvT3_20rocsparse_direction_NS_24const_host_device_scalarIT1_EES2_PKS2_PKT2_SB_S8_PKT4_PKT5_S6_PT6_21rocsparse_index_base_b: ; @_ZN9rocsparseL18bsrxmvn_4x4_kernelILj128ELj4Efii18rocsparse_bfloat16S1_fEEvT3_20rocsparse_direction_NS_24const_host_device_scalarIT1_EES2_PKS2_PKT2_SB_S8_PKT4_PKT5_S6_PT6_21rocsparse_index_base_b
; %bb.0:
	s_clause 0x2
	s_load_b64 s[16:17], s[0:1], 0x58
	s_load_b64 s[12:13], s[0:1], 0x8
	;; [unrolled: 1-line block ×3, first 2 shown]
	s_wait_kmcnt 0x0
	s_bitcmp1_b32 s17, 0
	s_cselect_b32 s2, -1, 0
	s_delay_alu instid0(SALU_CYCLE_1)
	s_and_b32 vcc_lo, exec_lo, s2
	s_xor_b32 s2, s2, -1
	s_cbranch_vccnz .LBB105_2
; %bb.1:
	s_load_b32 s12, s[12:13], 0x0
.LBB105_2:
	s_and_not1_b32 vcc_lo, exec_lo, s2
	s_cbranch_vccnz .LBB105_4
; %bb.3:
	s_load_b32 s14, s[14:15], 0x0
.LBB105_4:
	s_wait_kmcnt 0x0
	s_cmp_neq_f32 s12, 0
	s_mov_b32 s6, 0
	s_cselect_b32 s2, -1, 0
	s_cmp_neq_f32 s14, 1.0
	s_cselect_b32 s3, -1, 0
	s_delay_alu instid0(SALU_CYCLE_1) | instskip(NEXT) | instid1(SALU_CYCLE_1)
	s_or_b32 s2, s2, s3
	s_and_not1_b32 vcc_lo, exec_lo, s2
	s_cbranch_vccnz .LBB105_10
; %bb.5:
	s_clause 0x1
	s_load_b64 s[4:5], s[0:1], 0x18
	s_load_b64 s[2:3], s[0:1], 0x0
	s_bfe_u32 s7, ttmp6, 0x4000c
	s_and_b32 s8, ttmp6, 15
	s_add_co_i32 s7, s7, 1
	s_getreg_b32 s9, hwreg(HW_REG_IB_STS2, 6, 4)
	s_mul_i32 s7, ttmp9, s7
	v_lshrrev_b32_e32 v1, 2, v0
	s_add_co_i32 s8, s8, s7
	s_cmp_eq_u32 s9, 0
	s_cselect_b32 s7, ttmp9, s8
	s_delay_alu instid0(VALU_DEP_1) | instid1(SALU_CYCLE_1)
	v_lshl_or_b32 v2, s7, 5, v1
	s_wait_kmcnt 0x0
	s_cmp_lg_u64 s[4:5], 0
	s_cbranch_scc0 .LBB105_11
; %bb.6:
	s_load_b32 s6, s[0:1], 0x10
	s_mov_b32 s7, 0
                                        ; implicit-def: $vgpr1
	s_wait_kmcnt 0x0
	v_cmp_gt_i32_e32 vcc_lo, s6, v2
	s_mov_b32 s6, 0
	s_and_saveexec_b32 s8, vcc_lo
	s_delay_alu instid0(SALU_CYCLE_1)
	s_xor_b32 s8, exec_lo, s8
	s_cbranch_execz .LBB105_8
; %bb.7:
	global_load_b32 v1, v2, s[4:5] scale_offset
	s_mov_b32 s6, exec_lo
	s_wait_loadcnt 0x0
	v_subrev_nc_u32_e32 v1, s16, v1
.LBB105_8:
	s_or_b32 exec_lo, exec_lo, s8
	s_delay_alu instid0(SALU_CYCLE_1)
	s_and_b32 vcc_lo, exec_lo, s7
	s_cbranch_vccz .LBB105_12
.LBB105_9:
	v_cmp_gt_i32_e32 vcc_lo, s2, v2
	s_and_not1_b32 s2, s6, exec_lo
	s_and_b32 s4, vcc_lo, exec_lo
	s_delay_alu instid0(SALU_CYCLE_1) | instskip(NEXT) | instid1(SALU_CYCLE_1)
	s_or_b32 s6, s2, s4
	s_and_saveexec_b32 s2, s6
	s_cbranch_execnz .LBB105_13
.LBB105_10:
	s_sendmsg sendmsg(MSG_DEALLOC_VGPRS)
	s_endpgm
.LBB105_11:
                                        ; implicit-def: $vgpr1
	s_cbranch_execnz .LBB105_9
.LBB105_12:
	s_delay_alu instid0(VALU_DEP_1)
	v_mov_b32_e32 v2, v1
	s_and_saveexec_b32 s2, s6
	s_cbranch_execz .LBB105_10
.LBB105_13:
	s_load_b256 s[4:11], s[0:1], 0x20
	s_wait_kmcnt 0x0
	s_cmp_eq_u64 s[6:7], 0
	global_load_b32 v12, v2, s[4:5] scale_offset
	s_cselect_b32 vcc_lo, -1, 0
	v_ashrrev_i32_e32 v3, 31, v2
	s_cmp_eq_u32 s3, 1
	s_delay_alu instid0(VALU_DEP_1) | instskip(SKIP_1) | instid1(VALU_DEP_2)
	v_lshlrev_b64_e32 v[4:5], 2, v[2:3]
	v_and_b32_e32 v3, 3, v0
	v_add_nc_u64_e32 v[6:7], s[4:5], v[4:5]
	v_add_nc_u64_e32 v[4:5], s[6:7], v[4:5]
	s_wait_xcnt 0x0
	s_load_b64 s[4:5], s[0:1], 0x40
	s_delay_alu instid0(VALU_DEP_2) | instskip(NEXT) | instid1(VALU_DEP_1)
	v_add_nc_u64_e32 v[6:7], 4, v[6:7]
	v_dual_cndmask_b32 v5, v5, v7 :: v_dual_cndmask_b32 v4, v4, v6
	global_load_b32 v6, v[4:5], off
	s_wait_loadcnt 0x1
	v_subrev_nc_u32_e32 v0, s16, v12
	s_delay_alu instid0(VALU_DEP_1) | instskip(NEXT) | instid1(VALU_DEP_1)
	v_add_nc_u32_e32 v0, v0, v3
	v_ashrrev_i32_e32 v1, 31, v0
	s_wait_xcnt 0x0
	s_delay_alu instid0(VALU_DEP_1) | instskip(NEXT) | instid1(VALU_DEP_1)
	v_lshlrev_b64_e32 v[4:5], 5, v[0:1]
	v_add_nc_u64_e32 v[4:5], s[10:11], v[4:5]
	s_wait_loadcnt 0x0
	v_subrev_nc_u32_e32 v1, s16, v6
	s_delay_alu instid0(VALU_DEP_1)
	v_cmp_lt_i32_e64 s2, v0, v1
	s_cbranch_scc1 .LBB105_25
; %bb.14:
	v_dual_mov_b32 v7, 0 :: v_dual_mov_b32 v6, 0
	v_dual_mov_b32 v9, 0 :: v_dual_mov_b32 v8, 0
	s_and_saveexec_b32 s3, s2
	s_cbranch_execz .LBB105_24
; %bb.15:
	v_add_nc_u32_e32 v6, v12, v3
	v_not_b32_e32 v7, v12
	v_mov_b64_e32 v[8:9], 0
	v_mov_b32_e32 v13, v0
	s_delay_alu instid0(VALU_DEP_4) | instskip(NEXT) | instid1(VALU_DEP_1)
	v_subrev_nc_u32_e32 v6, s16, v6
	v_add_max_i32_e64 v6, v6, 4, v1
	s_delay_alu instid0(VALU_DEP_1) | instskip(NEXT) | instid1(VALU_DEP_1)
	v_add3_u32 v6, s16, v6, v7
	v_sub_nc_u32_e32 v14, v6, v3
	v_mov_b64_e32 v[6:7], 0
	s_delay_alu instid0(VALU_DEP_2) | instskip(NEXT) | instid1(VALU_DEP_1)
	v_and_b32_e32 v10, 12, v14
	v_cmp_ne_u32_e32 vcc_lo, 12, v10
	v_mov_b64_e32 v[10:11], v[4:5]
	s_and_saveexec_b32 s6, vcc_lo
	s_cbranch_execz .LBB105_19
; %bb.16:
	v_dual_lshrrev_b32 v6, 2, v14 :: v_dual_mov_b32 v8, 0
	v_mov_b64_e32 v[10:11], v[4:5]
	s_mov_b32 s7, 0
	s_delay_alu instid0(VALU_DEP_2) | instskip(NEXT) | instid1(VALU_DEP_1)
	v_dual_mov_b32 v13, v0 :: v_dual_add_nc_u32 v6, 1, v6
	v_dual_mov_b32 v9, v8 :: v_dual_bitop2_b32 v7, 3, v6 bitop3:0x40
	s_delay_alu instid0(VALU_DEP_1)
	v_dual_mov_b32 v6, v8 :: v_dual_sub_nc_u32 v15, 0, v7
	v_mov_b32_e32 v7, v8
.LBB105_17:                             ; =>This Inner Loop Header: Depth=1
	global_load_b32 v16, v13, s[8:9] scale_offset
	s_wait_xcnt 0x0
	v_add_nc_u32_e32 v13, 4, v13
	v_add_co_u32 v15, s10, v15, 1
	s_or_b32 s7, s10, s7
	s_wait_loadcnt 0x0
	v_subrev_nc_u32_e32 v16, s16, v16
	s_delay_alu instid0(VALU_DEP_1) | instskip(NEXT) | instid1(VALU_DEP_1)
	v_lshlrev_b32_e32 v16, 2, v16
	v_ashrrev_i32_e32 v17, 31, v16
	s_wait_kmcnt 0x0
	s_delay_alu instid0(VALU_DEP_1)
	v_lshl_add_u64 v[24:25], v[16:17], 1, s[4:5]
	s_clause 0x1
	global_load_b128 v[16:19], v[10:11], off
	global_load_b128 v[20:23], v[10:11], off offset:16
	global_load_b64 v[26:27], v[24:25], off
	s_wait_xcnt 0x1
	v_add_nc_u64_e32 v[10:11], 0x80, v[10:11]
	s_wait_loadcnt 0x2
	s_wait_xcnt 0x0
	v_dual_lshlrev_b32 v25, 16, v18 :: v_dual_lshlrev_b32 v24, 16, v16
	v_and_b32_e32 v29, 0xffff0000, v18
	v_and_b32_e32 v28, 0xffff0000, v16
	v_dual_lshlrev_b32 v31, 16, v19 :: v_dual_lshlrev_b32 v30, 16, v17
	v_and_b32_e32 v18, 0xffff0000, v17
	s_wait_loadcnt 0x1
	v_dual_lshlrev_b32 v17, 16, v22 :: v_dual_lshlrev_b32 v16, 16, v20
	s_wait_loadcnt 0x0
	v_lshlrev_b32_e32 v32, 16, v26
	v_and_b32_e32 v35, 0xffff0000, v22
	v_and_b32_e32 v34, 0xffff0000, v20
	;; [unrolled: 1-line block ×3, first 2 shown]
	v_lshlrev_b32_e32 v22, 16, v27
	v_pk_fma_f32 v[6:7], v[16:17], v[32:33], v[6:7] op_sel_hi:[1,0,1]
	v_lshlrev_b32_e32 v17, 16, v23
	v_pk_fma_f32 v[8:9], v[24:25], v[32:33], v[8:9] op_sel_hi:[1,0,1]
	v_lshlrev_b32_e32 v16, 16, v21
	v_and_b32_e32 v19, 0xffff0000, v19
	v_pk_fma_f32 v[6:7], v[34:35], v[20:21], v[6:7] op_sel_hi:[1,0,1]
	v_and_b32_e32 v25, 0xffff0000, v23
	v_pk_fma_f32 v[8:9], v[28:29], v[20:21], v[8:9] op_sel_hi:[1,0,1]
	v_and_b32_e32 v24, 0xffff0000, v21
	v_and_b32_e32 v20, 0xffff0000, v27
	v_pk_fma_f32 v[6:7], v[16:17], v[22:23], v[6:7] op_sel_hi:[1,0,1]
	s_delay_alu instid0(VALU_DEP_4) | instskip(NEXT) | instid1(VALU_DEP_2)
	v_pk_fma_f32 v[8:9], v[30:31], v[22:23], v[8:9] op_sel_hi:[1,0,1]
	v_pk_fma_f32 v[6:7], v[24:25], v[20:21], v[6:7] op_sel_hi:[1,0,1]
	s_delay_alu instid0(VALU_DEP_2)
	v_pk_fma_f32 v[8:9], v[18:19], v[20:21], v[8:9] op_sel_hi:[1,0,1]
	s_and_not1_b32 exec_lo, exec_lo, s7
	s_cbranch_execnz .LBB105_17
; %bb.18:
	s_or_b32 exec_lo, exec_lo, s7
.LBB105_19:
	s_delay_alu instid0(SALU_CYCLE_1) | instskip(NEXT) | instid1(SALU_CYCLE_1)
	s_or_b32 exec_lo, exec_lo, s6
	s_mov_b32 s6, exec_lo
	v_cmpx_lt_u32_e32 11, v14
	s_cbranch_execz .LBB105_23
; %bb.20:
	s_mov_b32 s7, 0
.LBB105_21:                             ; =>This Inner Loop Header: Depth=1
	s_clause 0x3
	global_load_b32 v30, v13, s[8:9] scale_offset
	global_load_b32 v31, v13, s[8:9] offset:16 scale_offset
	global_load_b32 v42, v13, s[8:9] offset:32 scale_offset
	;; [unrolled: 1-line block ×3, first 2 shown]
	s_clause 0x3
	global_load_b128 v[14:17], v[10:11], off
	global_load_b128 v[18:21], v[10:11], off offset:16
	global_load_b128 v[22:25], v[10:11], off offset:128
	;; [unrolled: 1-line block ×3, first 2 shown]
	s_wait_xcnt 0x4
	v_add_nc_u32_e32 v13, 16, v13
	s_delay_alu instid0(VALU_DEP_1)
	v_cmp_ge_i32_e32 vcc_lo, v13, v1
	s_or_b32 s7, vcc_lo, s7
	s_wait_loadcnt 0x7
	v_subrev_nc_u32_e32 v30, s16, v30
	s_wait_loadcnt 0x6
	v_subrev_nc_u32_e32 v31, s16, v31
	s_wait_loadcnt 0x3
	v_and_b32_e32 v57, 0xffff0000, v16
	s_delay_alu instid0(VALU_DEP_2) | instskip(SKIP_2) | instid1(VALU_DEP_3)
	v_dual_lshlrev_b32 v30, 2, v30 :: v_dual_lshlrev_b32 v38, 2, v31
	v_and_b32_e32 v56, 0xffff0000, v14
	v_dual_lshlrev_b32 v58, 16, v15 :: v_dual_lshlrev_b32 v59, 16, v17
	v_ashrrev_i32_e32 v31, 31, v30
	s_wait_loadcnt 0x2
	v_and_b32_e32 v61, 0xffff0000, v20
	v_and_b32_e32 v60, 0xffff0000, v18
	v_lshlrev_b32_e32 v63, 16, v21
	s_wait_loadcnt 0x1
	v_and_b32_e32 v64, 0xffff0000, v22
	s_wait_kmcnt 0x0
	v_lshl_add_u64 v[40:41], v[30:31], 1, s[4:5]
	global_load_b64 v[46:47], v[40:41], off
	s_clause 0x1
	global_load_b128 v[30:33], v[10:11], off offset:256
	global_load_b128 v[34:37], v[10:11], off offset:272
	s_wait_xcnt 0x2
	v_subrev_nc_u32_e32 v41, s16, v43
	v_ashrrev_i32_e32 v39, 31, v38
	v_subrev_nc_u32_e32 v40, s16, v42
	s_wait_loadcnt 0x3
	v_and_b32_e32 v68, 0xffff0000, v26
	v_dual_lshlrev_b32 v62, 16, v19 :: v_dual_lshlrev_b32 v42, 2, v41
	v_lshl_add_u64 v[38:39], v[38:39], 1, s[4:5]
	v_and_b32_e32 v65, 0xffff0000, v24
	v_lshlrev_b32_e32 v66, 16, v23
	v_and_b32_e32 v69, 0xffff0000, v28
	v_ashrrev_i32_e32 v43, 31, v42
	global_load_b64 v[48:49], v[38:39], off
	s_wait_xcnt 0x0
	v_dual_lshlrev_b32 v38, 2, v40 :: v_dual_lshlrev_b32 v70, 16, v27
	v_and_b32_e32 v17, 0xffff0000, v17
	v_lshl_add_u64 v[52:53], v[42:43], 1, s[4:5]
	v_and_b32_e32 v21, 0xffff0000, v21
	s_delay_alu instid0(VALU_DEP_4) | instskip(SKIP_3) | instid1(VALU_DEP_4)
	v_dual_ashrrev_i32 v39, 31, v38 :: v_dual_lshlrev_b32 v67, 16, v25
	v_lshlrev_b32_e32 v71, 16, v29
	v_and_b32_e32 v25, 0xffff0000, v25
	v_and_b32_e32 v29, 0xffff0000, v29
	v_lshl_add_u64 v[44:45], v[38:39], 1, s[4:5]
	global_load_b64 v[50:51], v[44:45], off
	s_clause 0x1
	global_load_b128 v[38:41], v[10:11], off offset:384
	global_load_b128 v[42:45], v[10:11], off offset:400
	global_load_b64 v[54:55], v[52:53], off
	s_wait_xcnt 0x0
	v_dual_lshlrev_b32 v53, 16, v16 :: v_dual_lshlrev_b32 v52, 16, v14
	v_and_b32_e32 v16, 0xffff0000, v15
	v_dual_lshlrev_b32 v15, 16, v20 :: v_dual_lshlrev_b32 v14, 16, v18
	v_lshlrev_b32_e32 v18, 16, v22
	v_lshlrev_b32_e32 v22, 16, v26
	v_and_b32_e32 v20, 0xffff0000, v19
	v_lshlrev_b32_e32 v19, 16, v24
	v_and_b32_e32 v24, 0xffff0000, v23
	;; [unrolled: 2-line block ×3, first 2 shown]
	v_add_nc_u64_e32 v[10:11], 0x200, v[10:11]
	s_wait_loadcnt 0x7
	v_lshlrev_b32_e32 v72, 16, v46
	s_wait_loadcnt 0x6
	v_lshlrev_b32_e32 v26, 16, v30
	v_and_b32_e32 v74, 0xffff0000, v30
	v_and_b32_e32 v30, 0xffff0000, v46
	v_lshlrev_b32_e32 v27, 16, v32
	v_pk_fma_f32 v[6:7], v[14:15], v[72:73], v[6:7] op_sel_hi:[1,0,1]
	v_lshlrev_b32_e32 v14, 16, v31
	v_pk_fma_f32 v[8:9], v[52:53], v[72:73], v[8:9] op_sel_hi:[1,0,1]
	v_and_b32_e32 v75, 0xffff0000, v32
	v_lshlrev_b32_e32 v32, 16, v47
	v_pk_fma_f32 v[6:7], v[60:61], v[30:31], v[6:7] op_sel_hi:[1,0,1]
	v_lshlrev_b32_e32 v15, 16, v33
	v_pk_fma_f32 v[8:9], v[56:57], v[30:31], v[8:9] op_sel_hi:[1,0,1]
	v_and_b32_e32 v30, 0xffff0000, v47
	v_and_b32_e32 v53, 0xffff0000, v33
	v_pk_fma_f32 v[6:7], v[62:63], v[32:33], v[6:7] op_sel_hi:[1,0,1]
	s_wait_loadcnt 0x4
	v_lshlrev_b32_e32 v46, 16, v48
	v_pk_fma_f32 v[8:9], v[58:59], v[32:33], v[8:9] op_sel_hi:[1,0,1]
	v_dual_lshlrev_b32 v32, 16, v34 :: v_dual_lshlrev_b32 v33, 16, v36
	v_pk_fma_f32 v[6:7], v[20:21], v[30:31], v[6:7] op_sel_hi:[1,0,1]
	v_and_b32_e32 v20, 0xffff0000, v48
	s_delay_alu instid0(VALU_DEP_4)
	v_pk_fma_f32 v[8:9], v[16:17], v[30:31], v[8:9] op_sel_hi:[1,0,1]
	v_and_b32_e32 v30, 0xffff0000, v49
	v_and_b32_e32 v16, 0xffff0000, v34
	v_pk_fma_f32 v[6:7], v[22:23], v[46:47], v[6:7] op_sel_hi:[1,0,1]
	v_lshlrev_b32_e32 v22, 16, v49
	v_pk_fma_f32 v[8:9], v[18:19], v[46:47], v[8:9] op_sel_hi:[1,0,1]
	v_and_b32_e32 v17, 0xffff0000, v36
	s_wait_loadcnt 0x3
	v_lshlrev_b32_e32 v34, 16, v50
	v_pk_fma_f32 v[6:7], v[68:69], v[20:21], v[6:7] op_sel_hi:[1,0,1]
	v_dual_lshlrev_b32 v19, 16, v37 :: v_dual_lshlrev_b32 v18, 16, v35
	v_pk_fma_f32 v[8:9], v[64:65], v[20:21], v[8:9] op_sel_hi:[1,0,1]
	v_and_b32_e32 v52, 0xffff0000, v31
	s_delay_alu instid0(VALU_DEP_4)
	v_pk_fma_f32 v[6:7], v[70:71], v[22:23], v[6:7] op_sel_hi:[1,0,1]
	v_and_b32_e32 v21, 0xffff0000, v37
	v_and_b32_e32 v20, 0xffff0000, v35
	v_pk_fma_f32 v[8:9], v[66:67], v[22:23], v[8:9] op_sel_hi:[1,0,1]
	s_wait_loadcnt 0x2
	v_lshlrev_b32_e32 v23, 16, v40
	v_pk_fma_f32 v[6:7], v[28:29], v[30:31], v[6:7] op_sel_hi:[1,0,1]
	v_and_b32_e32 v28, 0xffff0000, v50
	v_lshlrev_b32_e32 v22, 16, v38
	v_pk_fma_f32 v[8:9], v[24:25], v[30:31], v[8:9] op_sel_hi:[1,0,1]
	v_lshlrev_b32_e32 v30, 16, v51
	v_and_b32_e32 v25, 0xffff0000, v40
	v_and_b32_e32 v24, 0xffff0000, v38
	s_delay_alu instid0(VALU_DEP_4) | instskip(SKIP_3) | instid1(VALU_DEP_4)
	v_pk_fma_f32 v[8:9], v[26:27], v[34:35], v[8:9] op_sel_hi:[1,0,1]
	v_lshlrev_b32_e32 v26, 16, v39
	v_pk_fma_f32 v[6:7], v[32:33], v[34:35], v[6:7] op_sel_hi:[1,0,1]
	v_lshlrev_b32_e32 v27, 16, v41
	v_pk_fma_f32 v[8:9], v[74:75], v[28:29], v[8:9] op_sel_hi:[1,0,1]
	s_delay_alu instid0(VALU_DEP_3) | instskip(SKIP_2) | instid1(VALU_DEP_4)
	v_pk_fma_f32 v[6:7], v[16:17], v[28:29], v[6:7] op_sel_hi:[1,0,1]
	v_and_b32_e32 v28, 0xffff0000, v51
	v_and_b32_e32 v17, 0xffff0000, v41
	v_pk_fma_f32 v[8:9], v[14:15], v[30:31], v[8:9] op_sel_hi:[1,0,1]
	s_wait_loadcnt 0x1
	v_lshlrev_b32_e32 v15, 16, v44
	v_pk_fma_f32 v[6:7], v[18:19], v[30:31], v[6:7] op_sel_hi:[1,0,1]
	v_lshlrev_b32_e32 v14, 16, v42
	s_wait_loadcnt 0x0
	v_lshlrev_b32_e32 v18, 16, v54
	v_pk_fma_f32 v[8:9], v[52:53], v[28:29], v[8:9] op_sel_hi:[1,0,1]
	v_and_b32_e32 v16, 0xffff0000, v39
	v_pk_fma_f32 v[6:7], v[20:21], v[28:29], v[6:7] op_sel_hi:[1,0,1]
	v_and_b32_e32 v21, 0xffff0000, v44
	v_and_b32_e32 v20, 0xffff0000, v42
	v_and_b32_e32 v28, 0xffff0000, v54
	s_delay_alu instid0(VALU_DEP_4) | instskip(SKIP_3) | instid1(VALU_DEP_4)
	v_pk_fma_f32 v[6:7], v[14:15], v[18:19], v[6:7] op_sel_hi:[1,0,1]
	v_lshlrev_b32_e32 v14, 16, v43
	v_pk_fma_f32 v[8:9], v[22:23], v[18:19], v[8:9] op_sel_hi:[1,0,1]
	v_dual_lshlrev_b32 v15, 16, v45 :: v_dual_lshlrev_b32 v18, 16, v55
	v_pk_fma_f32 v[6:7], v[20:21], v[28:29], v[6:7] op_sel_hi:[1,0,1]
	v_and_b32_e32 v21, 0xffff0000, v45
	s_delay_alu instid0(VALU_DEP_4) | instskip(SKIP_3) | instid1(VALU_DEP_4)
	v_pk_fma_f32 v[8:9], v[24:25], v[28:29], v[8:9] op_sel_hi:[1,0,1]
	v_and_b32_e32 v20, 0xffff0000, v43
	v_and_b32_e32 v22, 0xffff0000, v55
	v_pk_fma_f32 v[6:7], v[14:15], v[18:19], v[6:7] op_sel_hi:[1,0,1]
	v_pk_fma_f32 v[8:9], v[26:27], v[18:19], v[8:9] op_sel_hi:[1,0,1]
	s_delay_alu instid0(VALU_DEP_2) | instskip(NEXT) | instid1(VALU_DEP_2)
	v_pk_fma_f32 v[6:7], v[20:21], v[22:23], v[6:7] op_sel_hi:[1,0,1]
	v_pk_fma_f32 v[8:9], v[16:17], v[22:23], v[8:9] op_sel_hi:[1,0,1]
	s_and_not1_b32 exec_lo, exec_lo, s7
	s_cbranch_execnz .LBB105_21
; %bb.22:
	s_or_b32 exec_lo, exec_lo, s7
.LBB105_23:
	s_delay_alu instid0(SALU_CYCLE_1)
	s_or_b32 exec_lo, exec_lo, s6
.LBB105_24:
	s_delay_alu instid0(SALU_CYCLE_1)
	s_or_b32 exec_lo, exec_lo, s3
	s_cbranch_execz .LBB105_26
	s_branch .LBB105_37
.LBB105_25:
                                        ; implicit-def: $vgpr7
                                        ; implicit-def: $vgpr9
.LBB105_26:
	v_dual_mov_b32 v7, 0 :: v_dual_mov_b32 v6, 0
	v_dual_mov_b32 v9, 0 :: v_dual_mov_b32 v8, 0
	s_and_saveexec_b32 s3, s2
	s_cbranch_execz .LBB105_36
; %bb.27:
	v_add_nc_u32_e32 v6, v12, v3
	v_not_b32_e32 v7, v12
	v_mov_b64_e32 v[8:9], 0
	s_mov_b32 s2, exec_lo
	s_delay_alu instid0(VALU_DEP_3) | instskip(NEXT) | instid1(VALU_DEP_1)
	v_subrev_nc_u32_e32 v6, s16, v6
	v_add_max_i32_e64 v6, v6, 4, v1
	s_delay_alu instid0(VALU_DEP_1) | instskip(NEXT) | instid1(VALU_DEP_1)
	v_add3_u32 v6, s16, v6, v7
	v_sub_nc_u32_e32 v10, v6, v3
	v_mov_b64_e32 v[6:7], 0
	s_delay_alu instid0(VALU_DEP_2) | instskip(NEXT) | instid1(VALU_DEP_1)
	v_and_b32_e32 v11, 12, v10
	v_cmpx_ne_u32_e32 12, v11
	s_cbranch_execz .LBB105_31
; %bb.28:
	v_dual_lshrrev_b32 v6, 2, v10 :: v_dual_mov_b32 v8, 0
	s_mov_b32 s6, 0
	s_delay_alu instid0(VALU_DEP_1) | instskip(NEXT) | instid1(VALU_DEP_1)
	v_dual_mov_b32 v9, v8 :: v_dual_add_nc_u32 v6, 1, v6
	v_dual_mov_b32 v6, v8 :: v_dual_bitop2_b32 v7, 3, v6 bitop3:0x40
	s_delay_alu instid0(VALU_DEP_1)
	v_dual_sub_nc_u32 v11, 0, v7 :: v_dual_mov_b32 v7, v8
.LBB105_29:                             ; =>This Inner Loop Header: Depth=1
	global_load_b32 v16, v0, s[8:9] scale_offset
	global_load_b128 v[12:15], v[4:5], off
	v_add_co_u32 v11, s7, v11, 1
	s_or_b32 s6, s7, s6
	s_wait_xcnt 0x1
	v_add_nc_u32_e32 v0, 4, v0
	s_wait_loadcnt 0x1
	v_subrev_nc_u32_e32 v16, s16, v16
	s_wait_loadcnt 0x0
	v_lshlrev_b32_e32 v24, 16, v14
	v_and_b32_e32 v31, 0xffff0000, v13
	v_and_b32_e32 v25, 0xffff0000, v14
	;; [unrolled: 1-line block ×3, first 2 shown]
	v_lshlrev_b32_e32 v16, 2, v16
	s_delay_alu instid0(VALU_DEP_1) | instskip(SKIP_1) | instid1(VALU_DEP_1)
	v_ashrrev_i32_e32 v17, 31, v16
	s_wait_kmcnt 0x0
	v_lshl_add_u64 v[20:21], v[16:17], 1, s[4:5]
	global_load_b64 v[22:23], v[20:21], off
	global_load_b128 v[16:19], v[4:5], off offset:16
	s_wait_xcnt 0x1
	v_and_b32_e32 v21, 0xffff0000, v12
	v_dual_lshlrev_b32 v20, 16, v12 :: v_dual_lshlrev_b32 v30, 16, v13
	v_lshlrev_b32_e32 v32, 16, v15
	s_wait_xcnt 0x0
	v_add_nc_u64_e32 v[4:5], 0x80, v[4:5]
	s_wait_loadcnt 0x1
	v_lshlrev_b32_e32 v12, 16, v22
	s_wait_loadcnt 0x0
	v_lshlrev_b32_e32 v28, 16, v18
	v_and_b32_e32 v14, 0xffff0000, v22
	v_and_b32_e32 v27, 0xffff0000, v16
	v_lshlrev_b32_e32 v26, 16, v16
	v_pk_fma_f32 v[8:9], v[20:21], v[12:13], v[8:9] op_sel_hi:[1,0,1]
	v_pk_fma_f32 v[6:7], v[30:31], v[12:13], v[6:7] op_sel_hi:[1,0,1]
	v_and_b32_e32 v13, 0xffff0000, v17
	v_dual_lshlrev_b32 v12, 16, v17 :: v_dual_lshlrev_b32 v16, 16, v23
	s_delay_alu instid0(VALU_DEP_4) | instskip(NEXT) | instid1(VALU_DEP_4)
	v_pk_fma_f32 v[8:9], v[24:25], v[14:15], v[8:9] op_sel_hi:[1,0,1]
	v_pk_fma_f32 v[6:7], v[32:33], v[14:15], v[6:7] op_sel_hi:[1,0,1]
	v_and_b32_e32 v29, 0xffff0000, v18
	v_and_b32_e32 v15, 0xffff0000, v19
	v_lshlrev_b32_e32 v14, 16, v19
	v_and_b32_e32 v18, 0xffff0000, v23
	v_pk_fma_f32 v[8:9], v[26:27], v[16:17], v[8:9] op_sel_hi:[1,0,1]
	v_pk_fma_f32 v[6:7], v[12:13], v[16:17], v[6:7] op_sel_hi:[1,0,1]
	s_delay_alu instid0(VALU_DEP_2) | instskip(NEXT) | instid1(VALU_DEP_2)
	v_pk_fma_f32 v[8:9], v[28:29], v[18:19], v[8:9] op_sel_hi:[1,0,1]
	v_pk_fma_f32 v[6:7], v[14:15], v[18:19], v[6:7] op_sel_hi:[1,0,1]
	s_and_not1_b32 exec_lo, exec_lo, s6
	s_cbranch_execnz .LBB105_29
; %bb.30:
	s_or_b32 exec_lo, exec_lo, s6
.LBB105_31:
	s_delay_alu instid0(SALU_CYCLE_1) | instskip(NEXT) | instid1(SALU_CYCLE_1)
	s_or_b32 exec_lo, exec_lo, s2
	s_mov_b32 s2, exec_lo
	v_cmpx_lt_u32_e32 11, v10
	s_cbranch_execz .LBB105_35
; %bb.32:
	s_mov_b32 s6, 0
.LBB105_33:                             ; =>This Inner Loop Header: Depth=1
	s_clause 0x4
	global_load_b128 v[10:13], v[4:5], off
	global_load_b128 v[14:17], v[4:5], off offset:16
	global_load_b128 v[18:21], v[4:5], off offset:128
	;; [unrolled: 1-line block ×4, first 2 shown]
	s_clause 0x2
	global_load_b32 v56, v0, s[8:9] scale_offset
	global_load_b32 v57, v0, s[8:9] offset:16 scale_offset
	global_load_b32 v58, v0, s[8:9] offset:32 scale_offset
	global_load_b128 v[30:33], v[4:5], off offset:272
	s_wait_loadcnt 0x8
	v_and_b32_e32 v35, 0xffff0000, v10
	v_dual_lshlrev_b32 v34, 16, v10 :: v_dual_lshlrev_b32 v36, 16, v12
	s_wait_loadcnt 0x5
	v_dual_lshlrev_b32 v46, 16, v22 :: v_dual_lshlrev_b32 v48, 16, v24
	v_and_b32_e32 v49, 0xffff0000, v24
	s_wait_loadcnt 0x4
	v_dual_lshlrev_b32 v24, 16, v26 :: v_dual_lshlrev_b32 v52, 16, v28
	v_and_b32_e32 v53, 0xffff0000, v28
	global_load_b32 v28, v0, s[8:9] offset:48 scale_offset
	v_and_b32_e32 v37, 0xffff0000, v12
	v_and_b32_e32 v39, 0xffff0000, v14
	v_dual_lshlrev_b32 v38, 16, v14 :: v_dual_lshlrev_b32 v40, 16, v16
	v_and_b32_e32 v41, 0xffff0000, v16
	v_and_b32_e32 v43, 0xffff0000, v11
	v_dual_lshlrev_b32 v42, 16, v11 :: v_dual_lshlrev_b32 v10, 16, v13
	;; [unrolled: 3-line block ×4, first 2 shown]
	v_and_b32_e32 v45, 0xffff0000, v20
	v_and_b32_e32 v47, 0xffff0000, v22
	;; [unrolled: 1-line block ×3, first 2 shown]
	v_dual_lshlrev_b32 v50, 16, v19 :: v_dual_lshlrev_b32 v18, 16, v21
	v_and_b32_e32 v19, 0xffff0000, v21
	v_and_b32_e32 v21, 0xffff0000, v23
	v_dual_lshlrev_b32 v20, 16, v23 :: v_dual_lshlrev_b32 v22, 16, v25
	v_and_b32_e32 v23, 0xffff0000, v25
	v_and_b32_e32 v25, 0xffff0000, v26
	;; [unrolled: 1-line block ×3, first 2 shown]
	v_dual_lshlrev_b32 v54, 16, v27 :: v_dual_lshlrev_b32 v26, 16, v29
	v_and_b32_e32 v27, 0xffff0000, v29
	s_wait_loadcnt 0x4
	v_subrev_nc_u32_e32 v29, s16, v56
	s_wait_loadcnt 0x3
	v_subrev_nc_u32_e32 v56, s16, v57
	;; [unrolled: 2-line block ×3, first 2 shown]
	s_wait_xcnt 0x0
	v_add_nc_u32_e32 v0, 16, v0
	s_delay_alu instid0(VALU_DEP_2) | instskip(NEXT) | instid1(VALU_DEP_1)
	v_dual_lshlrev_b32 v56, 2, v56 :: v_dual_lshlrev_b32 v58, 2, v57
	v_dual_ashrrev_i32 v57, 31, v56 :: v_dual_ashrrev_i32 v59, 31, v58
	s_wait_kmcnt 0x0
	s_delay_alu instid0(VALU_DEP_1) | instskip(NEXT) | instid1(VALU_DEP_2)
	v_lshl_add_u64 v[56:57], v[56:57], 1, s[4:5]
	v_lshl_add_u64 v[58:59], v[58:59], 1, s[4:5]
	s_wait_loadcnt 0x0
	v_subrev_nc_u32_e32 v60, s16, v28
	v_lshlrev_b32_e32 v28, 2, v29
	s_delay_alu instid0(VALU_DEP_1) | instskip(NEXT) | instid1(VALU_DEP_1)
	v_ashrrev_i32_e32 v29, 31, v28
	v_lshl_add_u64 v[28:29], v[28:29], 1, s[4:5]
	global_load_b64 v[28:29], v[28:29], off
	v_lshlrev_b32_e32 v60, 2, v60
	s_delay_alu instid0(VALU_DEP_1) | instskip(NEXT) | instid1(VALU_DEP_1)
	v_ashrrev_i32_e32 v61, 31, v60
	v_lshl_add_u64 v[60:61], v[60:61], 1, s[4:5]
	s_clause 0x2
	global_load_b64 v[62:63], v[56:57], off
	global_load_b64 v[64:65], v[58:59], off
	;; [unrolled: 1-line block ×3, first 2 shown]
	s_wait_loadcnt 0x3
	s_wait_xcnt 0x2
	v_lshlrev_b32_e32 v56, 16, v28
	v_and_b32_e32 v28, 0xffff0000, v28
	s_delay_alu instid0(VALU_DEP_2) | instskip(SKIP_1) | instid1(VALU_DEP_2)
	v_pk_fma_f32 v[8:9], v[34:35], v[56:57], v[8:9] op_sel_hi:[1,0,1]
	v_pk_fma_f32 v[6:7], v[42:43], v[56:57], v[6:7] op_sel_hi:[1,0,1]
	;; [unrolled: 1-line block ×3, first 2 shown]
	s_delay_alu instid0(VALU_DEP_2) | instskip(SKIP_2) | instid1(VALU_DEP_1)
	v_pk_fma_f32 v[10:11], v[10:11], v[28:29], v[6:7] op_sel_hi:[1,0,1]
	global_load_b128 v[6:9], v[4:5], off offset:384
	v_lshlrev_b32_e32 v28, 16, v29
	v_pk_fma_f32 v[36:37], v[12:13], v[28:29], v[10:11] op_sel_hi:[1,0,1]
	global_load_b128 v[10:13], v[4:5], off offset:400
	v_pk_fma_f32 v[34:35], v[38:39], v[28:29], v[34:35] op_sel_hi:[1,0,1]
	v_and_b32_e32 v28, 0xffff0000, v29
	v_and_b32_e32 v39, 0xffff0000, v30
	v_lshlrev_b32_e32 v38, 16, v30
	s_wait_loadcnt 0x4
	v_lshlrev_b32_e32 v30, 16, v62
	s_wait_xcnt 0x0
	v_add_nc_u64_e32 v[4:5], 0x200, v[4:5]
	v_pk_fma_f32 v[34:35], v[40:41], v[28:29], v[34:35] op_sel_hi:[1,0,1]
	v_pk_fma_f32 v[14:15], v[14:15], v[28:29], v[36:37] op_sel_hi:[1,0,1]
	v_and_b32_e32 v29, 0xffff0000, v32
	v_lshlrev_b32_e32 v28, 16, v32
	v_and_b32_e32 v32, 0xffff0000, v62
	v_pk_fma_f32 v[16:17], v[16:17], v[30:31], v[34:35] op_sel_hi:[1,0,1]
	v_pk_fma_f32 v[14:15], v[50:51], v[30:31], v[14:15] op_sel_hi:[1,0,1]
	v_lshlrev_b32_e32 v30, 16, v63
	v_and_b32_e32 v35, 0xffff0000, v31
	v_lshlrev_b32_e32 v34, 16, v31
	v_pk_fma_f32 v[16:17], v[44:45], v[32:33], v[16:17] op_sel_hi:[1,0,1]
	v_pk_fma_f32 v[14:15], v[18:19], v[32:33], v[14:15] op_sel_hi:[1,0,1]
	v_and_b32_e32 v32, 0xffff0000, v63
	v_lshlrev_b32_e32 v18, 16, v33
	v_and_b32_e32 v19, 0xffff0000, v33
	v_pk_fma_f32 v[16:17], v[46:47], v[30:31], v[16:17] op_sel_hi:[1,0,1]
	v_pk_fma_f32 v[14:15], v[20:21], v[30:31], v[14:15] op_sel_hi:[1,0,1]
	v_cmp_ge_i32_e32 vcc_lo, v0, v1
	s_delay_alu instid0(VALU_DEP_3) | instskip(NEXT) | instid1(VALU_DEP_3)
	v_pk_fma_f32 v[16:17], v[48:49], v[32:33], v[16:17] op_sel_hi:[1,0,1]
	v_pk_fma_f32 v[14:15], v[22:23], v[32:33], v[14:15] op_sel_hi:[1,0,1]
	s_or_b32 s6, vcc_lo, s6
	s_wait_loadcnt 0x1
	v_and_b32_e32 v21, 0xffff0000, v6
	v_dual_lshlrev_b32 v20, 16, v6 :: v_dual_lshlrev_b32 v6, 16, v64
	v_and_b32_e32 v23, 0xffff0000, v8
	v_lshlrev_b32_e32 v22, 16, v8
	v_and_b32_e32 v8, 0xffff0000, v64
	v_and_b32_e32 v31, 0xffff0000, v7
	v_pk_fma_f32 v[16:17], v[24:25], v[6:7], v[16:17] op_sel_hi:[1,0,1]
	s_wait_loadcnt 0x0
	v_lshlrev_b32_e32 v24, 16, v10
	v_pk_fma_f32 v[14:15], v[54:55], v[6:7], v[14:15] op_sel_hi:[1,0,1]
	v_dual_lshlrev_b32 v6, 16, v65 :: v_dual_lshlrev_b32 v30, 16, v7
	v_pk_fma_f32 v[16:17], v[52:53], v[8:9], v[16:17] op_sel_hi:[1,0,1]
	v_and_b32_e32 v25, 0xffff0000, v10
	s_delay_alu instid0(VALU_DEP_4)
	v_pk_fma_f32 v[14:15], v[26:27], v[8:9], v[14:15] op_sel_hi:[1,0,1]
	v_and_b32_e32 v8, 0xffff0000, v65
	v_lshlrev_b32_e32 v26, 16, v12
	v_pk_fma_f32 v[16:17], v[38:39], v[6:7], v[16:17] op_sel_hi:[1,0,1]
	v_lshlrev_b32_e32 v10, 16, v67
	v_pk_fma_f32 v[14:15], v[34:35], v[6:7], v[14:15] op_sel_hi:[1,0,1]
	v_lshlrev_b32_e32 v6, 16, v66
	v_and_b32_e32 v27, 0xffff0000, v12
	v_pk_fma_f32 v[16:17], v[28:29], v[8:9], v[16:17] op_sel_hi:[1,0,1]
	v_and_b32_e32 v12, 0xffff0000, v67
	v_pk_fma_f32 v[14:15], v[18:19], v[8:9], v[14:15] op_sel_hi:[1,0,1]
	v_and_b32_e32 v19, 0xffff0000, v9
	v_lshlrev_b32_e32 v18, 16, v9
	v_and_b32_e32 v8, 0xffff0000, v66
	v_pk_fma_f32 v[16:17], v[20:21], v[6:7], v[16:17] op_sel_hi:[1,0,1]
	v_pk_fma_f32 v[6:7], v[30:31], v[6:7], v[14:15] op_sel_hi:[1,0,1]
	v_and_b32_e32 v15, 0xffff0000, v11
	v_lshlrev_b32_e32 v14, 16, v11
	s_delay_alu instid0(VALU_DEP_4) | instskip(NEXT) | instid1(VALU_DEP_4)
	v_pk_fma_f32 v[16:17], v[22:23], v[8:9], v[16:17] op_sel_hi:[1,0,1]
	v_pk_fma_f32 v[6:7], v[18:19], v[8:9], v[6:7] op_sel_hi:[1,0,1]
	v_and_b32_e32 v19, 0xffff0000, v13
	v_lshlrev_b32_e32 v18, 16, v13
	s_delay_alu instid0(VALU_DEP_4) | instskip(NEXT) | instid1(VALU_DEP_4)
	v_pk_fma_f32 v[8:9], v[24:25], v[10:11], v[16:17] op_sel_hi:[1,0,1]
	v_pk_fma_f32 v[6:7], v[14:15], v[10:11], v[6:7] op_sel_hi:[1,0,1]
	s_delay_alu instid0(VALU_DEP_2) | instskip(NEXT) | instid1(VALU_DEP_2)
	v_pk_fma_f32 v[8:9], v[26:27], v[12:13], v[8:9] op_sel_hi:[1,0,1]
	v_pk_fma_f32 v[6:7], v[18:19], v[12:13], v[6:7] op_sel_hi:[1,0,1]
	s_and_not1_b32 exec_lo, exec_lo, s6
	s_cbranch_execnz .LBB105_33
; %bb.34:
	s_or_b32 exec_lo, exec_lo, s6
.LBB105_35:
	s_delay_alu instid0(SALU_CYCLE_1)
	s_or_b32 exec_lo, exec_lo, s2
.LBB105_36:
	s_delay_alu instid0(SALU_CYCLE_1)
	s_or_b32 exec_lo, exec_lo, s3
.LBB105_37:
	v_mbcnt_lo_u32_b32 v10, -1, 0
	s_mov_b32 s2, -1
	s_delay_alu instid0(VALU_DEP_1) | instskip(SKIP_1) | instid1(VALU_DEP_1)
	v_xor_b32_e32 v11, 1, v10
	v_xor_b32_e32 v0, 2, v10
	v_cmp_gt_i32_e32 vcc_lo, 32, v0
	v_cndmask_b32_e32 v0, v10, v0, vcc_lo
	s_delay_alu instid0(VALU_DEP_4) | instskip(SKIP_2) | instid1(VALU_DEP_2)
	v_cmp_gt_i32_e32 vcc_lo, 32, v11
	v_cndmask_b32_e32 v10, v10, v11, vcc_lo
	v_cmp_eq_u32_e32 vcc_lo, 3, v3
	v_dual_lshlrev_b32 v10, 2, v10 :: v_dual_lshlrev_b32 v5, 2, v0
	ds_bpermute_b32 v0, v5, v8
	ds_bpermute_b32 v1, v5, v9
	;; [unrolled: 1-line block ×4, first 2 shown]
	s_wait_dscnt 0x2
	v_pk_add_f32 v[0:1], v[8:9], v[0:1]
	s_wait_dscnt 0x0
	v_pk_add_f32 v[6:7], v[6:7], v[4:5]
	ds_bpermute_b32 v4, v10, v0
	ds_bpermute_b32 v5, v10, v1
	;; [unrolled: 1-line block ×4, first 2 shown]
	s_and_b32 exec_lo, exec_lo, vcc_lo
	s_cbranch_execz .LBB105_10
; %bb.38:
	s_load_b64 s[0:1], s[0:1], 0x50
	s_wait_dscnt 0x2
	v_pk_add_f32 v[4:5], v[0:1], v[4:5]
	s_wait_dscnt 0x0
	v_pk_add_f32 v[0:1], v[6:7], v[8:9]
	v_lshlrev_b32_e32 v2, 2, v2
	s_cmp_eq_f32 s14, 0
	s_cbranch_scc0 .LBB105_40
; %bb.39:
	s_delay_alu instid0(VALU_DEP_1)
	v_ashrrev_i32_e32 v3, 31, v2
	v_pk_mul_f32 v[6:7], s[12:13], v[4:5] op_sel_hi:[0,1]
	v_pk_mul_f32 v[8:9], s[12:13], v[0:1] op_sel_hi:[0,1]
	s_mov_b32 s2, 0
	s_wait_kmcnt 0x0
	v_lshl_add_u64 v[10:11], v[2:3], 2, s[0:1]
	global_store_b128 v[10:11], v[6:9], off
.LBB105_40:
	s_and_not1_b32 vcc_lo, exec_lo, s2
	s_cbranch_vccnz .LBB105_10
; %bb.41:
	v_ashrrev_i32_e32 v3, 31, v2
	s_wait_kmcnt 0x0
	s_delay_alu instid0(VALU_DEP_1)
	v_lshl_add_u64 v[10:11], v[2:3], 2, s[0:1]
	v_pk_mul_f32 v[2:3], s[12:13], v[4:5] op_sel_hi:[0,1]
	v_pk_mul_f32 v[4:5], s[12:13], v[0:1] op_sel_hi:[0,1]
	global_load_b128 v[6:9], v[10:11], off
	s_wait_loadcnt 0x0
	v_pk_fma_f32 v[0:1], s[14:15], v[6:7], v[2:3] op_sel_hi:[0,1,1]
	v_pk_fma_f32 v[2:3], s[14:15], v[8:9], v[4:5] op_sel_hi:[0,1,1]
	global_store_b128 v[10:11], v[0:3], off
	s_sendmsg sendmsg(MSG_DEALLOC_VGPRS)
	s_endpgm
	.section	.rodata,"a",@progbits
	.p2align	6, 0x0
	.amdhsa_kernel _ZN9rocsparseL18bsrxmvn_4x4_kernelILj128ELj4Efii18rocsparse_bfloat16S1_fEEvT3_20rocsparse_direction_NS_24const_host_device_scalarIT1_EES2_PKS2_PKT2_SB_S8_PKT4_PKT5_S6_PT6_21rocsparse_index_base_b
		.amdhsa_group_segment_fixed_size 0
		.amdhsa_private_segment_fixed_size 0
		.amdhsa_kernarg_size 96
		.amdhsa_user_sgpr_count 2
		.amdhsa_user_sgpr_dispatch_ptr 0
		.amdhsa_user_sgpr_queue_ptr 0
		.amdhsa_user_sgpr_kernarg_segment_ptr 1
		.amdhsa_user_sgpr_dispatch_id 0
		.amdhsa_user_sgpr_kernarg_preload_length 0
		.amdhsa_user_sgpr_kernarg_preload_offset 0
		.amdhsa_user_sgpr_private_segment_size 0
		.amdhsa_wavefront_size32 1
		.amdhsa_uses_dynamic_stack 0
		.amdhsa_enable_private_segment 0
		.amdhsa_system_sgpr_workgroup_id_x 1
		.amdhsa_system_sgpr_workgroup_id_y 0
		.amdhsa_system_sgpr_workgroup_id_z 0
		.amdhsa_system_sgpr_workgroup_info 0
		.amdhsa_system_vgpr_workitem_id 0
		.amdhsa_next_free_vgpr 76
		.amdhsa_next_free_sgpr 18
		.amdhsa_named_barrier_count 0
		.amdhsa_reserve_vcc 1
		.amdhsa_float_round_mode_32 0
		.amdhsa_float_round_mode_16_64 0
		.amdhsa_float_denorm_mode_32 3
		.amdhsa_float_denorm_mode_16_64 3
		.amdhsa_fp16_overflow 0
		.amdhsa_memory_ordered 1
		.amdhsa_forward_progress 1
		.amdhsa_inst_pref_size 35
		.amdhsa_round_robin_scheduling 0
		.amdhsa_exception_fp_ieee_invalid_op 0
		.amdhsa_exception_fp_denorm_src 0
		.amdhsa_exception_fp_ieee_div_zero 0
		.amdhsa_exception_fp_ieee_overflow 0
		.amdhsa_exception_fp_ieee_underflow 0
		.amdhsa_exception_fp_ieee_inexact 0
		.amdhsa_exception_int_div_zero 0
	.end_amdhsa_kernel
	.section	.text._ZN9rocsparseL18bsrxmvn_4x4_kernelILj128ELj4Efii18rocsparse_bfloat16S1_fEEvT3_20rocsparse_direction_NS_24const_host_device_scalarIT1_EES2_PKS2_PKT2_SB_S8_PKT4_PKT5_S6_PT6_21rocsparse_index_base_b,"axG",@progbits,_ZN9rocsparseL18bsrxmvn_4x4_kernelILj128ELj4Efii18rocsparse_bfloat16S1_fEEvT3_20rocsparse_direction_NS_24const_host_device_scalarIT1_EES2_PKS2_PKT2_SB_S8_PKT4_PKT5_S6_PT6_21rocsparse_index_base_b,comdat
.Lfunc_end105:
	.size	_ZN9rocsparseL18bsrxmvn_4x4_kernelILj128ELj4Efii18rocsparse_bfloat16S1_fEEvT3_20rocsparse_direction_NS_24const_host_device_scalarIT1_EES2_PKS2_PKT2_SB_S8_PKT4_PKT5_S6_PT6_21rocsparse_index_base_b, .Lfunc_end105-_ZN9rocsparseL18bsrxmvn_4x4_kernelILj128ELj4Efii18rocsparse_bfloat16S1_fEEvT3_20rocsparse_direction_NS_24const_host_device_scalarIT1_EES2_PKS2_PKT2_SB_S8_PKT4_PKT5_S6_PT6_21rocsparse_index_base_b
                                        ; -- End function
	.set _ZN9rocsparseL18bsrxmvn_4x4_kernelILj128ELj4Efii18rocsparse_bfloat16S1_fEEvT3_20rocsparse_direction_NS_24const_host_device_scalarIT1_EES2_PKS2_PKT2_SB_S8_PKT4_PKT5_S6_PT6_21rocsparse_index_base_b.num_vgpr, 76
	.set _ZN9rocsparseL18bsrxmvn_4x4_kernelILj128ELj4Efii18rocsparse_bfloat16S1_fEEvT3_20rocsparse_direction_NS_24const_host_device_scalarIT1_EES2_PKS2_PKT2_SB_S8_PKT4_PKT5_S6_PT6_21rocsparse_index_base_b.num_agpr, 0
	.set _ZN9rocsparseL18bsrxmvn_4x4_kernelILj128ELj4Efii18rocsparse_bfloat16S1_fEEvT3_20rocsparse_direction_NS_24const_host_device_scalarIT1_EES2_PKS2_PKT2_SB_S8_PKT4_PKT5_S6_PT6_21rocsparse_index_base_b.numbered_sgpr, 18
	.set _ZN9rocsparseL18bsrxmvn_4x4_kernelILj128ELj4Efii18rocsparse_bfloat16S1_fEEvT3_20rocsparse_direction_NS_24const_host_device_scalarIT1_EES2_PKS2_PKT2_SB_S8_PKT4_PKT5_S6_PT6_21rocsparse_index_base_b.num_named_barrier, 0
	.set _ZN9rocsparseL18bsrxmvn_4x4_kernelILj128ELj4Efii18rocsparse_bfloat16S1_fEEvT3_20rocsparse_direction_NS_24const_host_device_scalarIT1_EES2_PKS2_PKT2_SB_S8_PKT4_PKT5_S6_PT6_21rocsparse_index_base_b.private_seg_size, 0
	.set _ZN9rocsparseL18bsrxmvn_4x4_kernelILj128ELj4Efii18rocsparse_bfloat16S1_fEEvT3_20rocsparse_direction_NS_24const_host_device_scalarIT1_EES2_PKS2_PKT2_SB_S8_PKT4_PKT5_S6_PT6_21rocsparse_index_base_b.uses_vcc, 1
	.set _ZN9rocsparseL18bsrxmvn_4x4_kernelILj128ELj4Efii18rocsparse_bfloat16S1_fEEvT3_20rocsparse_direction_NS_24const_host_device_scalarIT1_EES2_PKS2_PKT2_SB_S8_PKT4_PKT5_S6_PT6_21rocsparse_index_base_b.uses_flat_scratch, 0
	.set _ZN9rocsparseL18bsrxmvn_4x4_kernelILj128ELj4Efii18rocsparse_bfloat16S1_fEEvT3_20rocsparse_direction_NS_24const_host_device_scalarIT1_EES2_PKS2_PKT2_SB_S8_PKT4_PKT5_S6_PT6_21rocsparse_index_base_b.has_dyn_sized_stack, 0
	.set _ZN9rocsparseL18bsrxmvn_4x4_kernelILj128ELj4Efii18rocsparse_bfloat16S1_fEEvT3_20rocsparse_direction_NS_24const_host_device_scalarIT1_EES2_PKS2_PKT2_SB_S8_PKT4_PKT5_S6_PT6_21rocsparse_index_base_b.has_recursion, 0
	.set _ZN9rocsparseL18bsrxmvn_4x4_kernelILj128ELj4Efii18rocsparse_bfloat16S1_fEEvT3_20rocsparse_direction_NS_24const_host_device_scalarIT1_EES2_PKS2_PKT2_SB_S8_PKT4_PKT5_S6_PT6_21rocsparse_index_base_b.has_indirect_call, 0
	.section	.AMDGPU.csdata,"",@progbits
; Kernel info:
; codeLenInByte = 4356
; TotalNumSgprs: 20
; NumVgprs: 76
; ScratchSize: 0
; MemoryBound: 0
; FloatMode: 240
; IeeeMode: 1
; LDSByteSize: 0 bytes/workgroup (compile time only)
; SGPRBlocks: 0
; VGPRBlocks: 4
; NumSGPRsForWavesPerEU: 20
; NumVGPRsForWavesPerEU: 76
; NamedBarCnt: 0
; Occupancy: 12
; WaveLimiterHint : 1
; COMPUTE_PGM_RSRC2:SCRATCH_EN: 0
; COMPUTE_PGM_RSRC2:USER_SGPR: 2
; COMPUTE_PGM_RSRC2:TRAP_HANDLER: 0
; COMPUTE_PGM_RSRC2:TGID_X_EN: 1
; COMPUTE_PGM_RSRC2:TGID_Y_EN: 0
; COMPUTE_PGM_RSRC2:TGID_Z_EN: 0
; COMPUTE_PGM_RSRC2:TIDIG_COMP_CNT: 0
	.section	.text._ZN9rocsparseL18bsrxmvn_4x4_kernelILj128ELj8Efii18rocsparse_bfloat16S1_fEEvT3_20rocsparse_direction_NS_24const_host_device_scalarIT1_EES2_PKS2_PKT2_SB_S8_PKT4_PKT5_S6_PT6_21rocsparse_index_base_b,"axG",@progbits,_ZN9rocsparseL18bsrxmvn_4x4_kernelILj128ELj8Efii18rocsparse_bfloat16S1_fEEvT3_20rocsparse_direction_NS_24const_host_device_scalarIT1_EES2_PKS2_PKT2_SB_S8_PKT4_PKT5_S6_PT6_21rocsparse_index_base_b,comdat
	.globl	_ZN9rocsparseL18bsrxmvn_4x4_kernelILj128ELj8Efii18rocsparse_bfloat16S1_fEEvT3_20rocsparse_direction_NS_24const_host_device_scalarIT1_EES2_PKS2_PKT2_SB_S8_PKT4_PKT5_S6_PT6_21rocsparse_index_base_b ; -- Begin function _ZN9rocsparseL18bsrxmvn_4x4_kernelILj128ELj8Efii18rocsparse_bfloat16S1_fEEvT3_20rocsparse_direction_NS_24const_host_device_scalarIT1_EES2_PKS2_PKT2_SB_S8_PKT4_PKT5_S6_PT6_21rocsparse_index_base_b
	.p2align	8
	.type	_ZN9rocsparseL18bsrxmvn_4x4_kernelILj128ELj8Efii18rocsparse_bfloat16S1_fEEvT3_20rocsparse_direction_NS_24const_host_device_scalarIT1_EES2_PKS2_PKT2_SB_S8_PKT4_PKT5_S6_PT6_21rocsparse_index_base_b,@function
_ZN9rocsparseL18bsrxmvn_4x4_kernelILj128ELj8Efii18rocsparse_bfloat16S1_fEEvT3_20rocsparse_direction_NS_24const_host_device_scalarIT1_EES2_PKS2_PKT2_SB_S8_PKT4_PKT5_S6_PT6_21rocsparse_index_base_b: ; @_ZN9rocsparseL18bsrxmvn_4x4_kernelILj128ELj8Efii18rocsparse_bfloat16S1_fEEvT3_20rocsparse_direction_NS_24const_host_device_scalarIT1_EES2_PKS2_PKT2_SB_S8_PKT4_PKT5_S6_PT6_21rocsparse_index_base_b
; %bb.0:
	s_clause 0x2
	s_load_b64 s[16:17], s[0:1], 0x58
	s_load_b64 s[12:13], s[0:1], 0x8
	;; [unrolled: 1-line block ×3, first 2 shown]
	s_wait_kmcnt 0x0
	s_bitcmp1_b32 s17, 0
	s_cselect_b32 s2, -1, 0
	s_delay_alu instid0(SALU_CYCLE_1)
	s_and_b32 vcc_lo, exec_lo, s2
	s_xor_b32 s2, s2, -1
	s_cbranch_vccnz .LBB106_2
; %bb.1:
	s_load_b32 s12, s[12:13], 0x0
.LBB106_2:
	s_and_not1_b32 vcc_lo, exec_lo, s2
	s_cbranch_vccnz .LBB106_4
; %bb.3:
	s_load_b32 s14, s[14:15], 0x0
.LBB106_4:
	s_wait_kmcnt 0x0
	s_cmp_neq_f32 s12, 0
	s_mov_b32 s6, 0
	s_cselect_b32 s2, -1, 0
	s_cmp_neq_f32 s14, 1.0
	s_cselect_b32 s3, -1, 0
	s_delay_alu instid0(SALU_CYCLE_1) | instskip(NEXT) | instid1(SALU_CYCLE_1)
	s_or_b32 s2, s2, s3
	s_and_not1_b32 vcc_lo, exec_lo, s2
	s_cbranch_vccnz .LBB106_10
; %bb.5:
	s_clause 0x1
	s_load_b64 s[4:5], s[0:1], 0x18
	s_load_b64 s[2:3], s[0:1], 0x0
	s_bfe_u32 s7, ttmp6, 0x4000c
	s_and_b32 s8, ttmp6, 15
	s_add_co_i32 s7, s7, 1
	s_getreg_b32 s9, hwreg(HW_REG_IB_STS2, 6, 4)
	s_mul_i32 s7, ttmp9, s7
	v_lshrrev_b32_e32 v1, 3, v0
	s_add_co_i32 s8, s8, s7
	s_cmp_eq_u32 s9, 0
	s_cselect_b32 s7, ttmp9, s8
	s_delay_alu instid0(VALU_DEP_1) | instid1(SALU_CYCLE_1)
	v_lshl_or_b32 v2, s7, 4, v1
	s_wait_kmcnt 0x0
	s_cmp_lg_u64 s[4:5], 0
	s_cbranch_scc0 .LBB106_11
; %bb.6:
	s_load_b32 s6, s[0:1], 0x10
	s_mov_b32 s7, 0
                                        ; implicit-def: $vgpr1
	s_wait_kmcnt 0x0
	v_cmp_gt_i32_e32 vcc_lo, s6, v2
	s_mov_b32 s6, 0
	s_and_saveexec_b32 s8, vcc_lo
	s_delay_alu instid0(SALU_CYCLE_1)
	s_xor_b32 s8, exec_lo, s8
	s_cbranch_execz .LBB106_8
; %bb.7:
	global_load_b32 v1, v2, s[4:5] scale_offset
	s_mov_b32 s6, exec_lo
	s_wait_loadcnt 0x0
	v_subrev_nc_u32_e32 v1, s16, v1
.LBB106_8:
	s_or_b32 exec_lo, exec_lo, s8
	s_delay_alu instid0(SALU_CYCLE_1)
	s_and_b32 vcc_lo, exec_lo, s7
	s_cbranch_vccz .LBB106_12
.LBB106_9:
	v_cmp_gt_i32_e32 vcc_lo, s2, v2
	s_and_not1_b32 s2, s6, exec_lo
	s_and_b32 s4, vcc_lo, exec_lo
	s_delay_alu instid0(SALU_CYCLE_1) | instskip(NEXT) | instid1(SALU_CYCLE_1)
	s_or_b32 s6, s2, s4
	s_and_saveexec_b32 s2, s6
	s_cbranch_execnz .LBB106_13
.LBB106_10:
	s_sendmsg sendmsg(MSG_DEALLOC_VGPRS)
	s_endpgm
.LBB106_11:
                                        ; implicit-def: $vgpr1
	s_cbranch_execnz .LBB106_9
.LBB106_12:
	s_delay_alu instid0(VALU_DEP_1)
	v_mov_b32_e32 v2, v1
	s_and_saveexec_b32 s2, s6
	s_cbranch_execz .LBB106_10
.LBB106_13:
	s_load_b256 s[4:11], s[0:1], 0x20
	s_wait_kmcnt 0x0
	s_cmp_eq_u64 s[6:7], 0
	global_load_b32 v12, v2, s[4:5] scale_offset
	s_cselect_b32 vcc_lo, -1, 0
	v_ashrrev_i32_e32 v3, 31, v2
	s_cmp_eq_u32 s3, 1
	s_delay_alu instid0(VALU_DEP_1) | instskip(SKIP_1) | instid1(VALU_DEP_2)
	v_lshlrev_b64_e32 v[4:5], 2, v[2:3]
	v_and_b32_e32 v3, 7, v0
	v_add_nc_u64_e32 v[6:7], s[4:5], v[4:5]
	v_add_nc_u64_e32 v[4:5], s[6:7], v[4:5]
	s_wait_xcnt 0x0
	s_load_b64 s[4:5], s[0:1], 0x40
	s_delay_alu instid0(VALU_DEP_2) | instskip(NEXT) | instid1(VALU_DEP_1)
	v_add_nc_u64_e32 v[6:7], 4, v[6:7]
	v_dual_cndmask_b32 v5, v5, v7 :: v_dual_cndmask_b32 v4, v4, v6
	global_load_b32 v6, v[4:5], off
	s_wait_loadcnt 0x1
	v_subrev_nc_u32_e32 v0, s16, v12
	s_delay_alu instid0(VALU_DEP_1) | instskip(NEXT) | instid1(VALU_DEP_1)
	v_add_nc_u32_e32 v0, v0, v3
	v_ashrrev_i32_e32 v1, 31, v0
	s_wait_xcnt 0x0
	s_delay_alu instid0(VALU_DEP_1) | instskip(NEXT) | instid1(VALU_DEP_1)
	v_lshlrev_b64_e32 v[4:5], 5, v[0:1]
	v_add_nc_u64_e32 v[4:5], s[10:11], v[4:5]
	s_wait_loadcnt 0x0
	v_subrev_nc_u32_e32 v1, s16, v6
	s_delay_alu instid0(VALU_DEP_1)
	v_cmp_lt_i32_e64 s2, v0, v1
	s_cbranch_scc1 .LBB106_25
; %bb.14:
	v_dual_mov_b32 v7, 0 :: v_dual_mov_b32 v6, 0
	v_dual_mov_b32 v9, 0 :: v_dual_mov_b32 v8, 0
	s_and_saveexec_b32 s3, s2
	s_cbranch_execz .LBB106_24
; %bb.15:
	v_add_nc_u32_e32 v6, v12, v3
	v_not_b32_e32 v7, v12
	v_mov_b64_e32 v[8:9], 0
	v_mov_b32_e32 v13, v0
	s_delay_alu instid0(VALU_DEP_4) | instskip(NEXT) | instid1(VALU_DEP_1)
	v_subrev_nc_u32_e32 v6, s16, v6
	v_add_max_i32_e64 v6, v6, 8, v1
	s_delay_alu instid0(VALU_DEP_1) | instskip(NEXT) | instid1(VALU_DEP_1)
	v_add3_u32 v6, s16, v6, v7
	v_sub_nc_u32_e32 v14, v6, v3
	v_mov_b64_e32 v[6:7], 0
	s_delay_alu instid0(VALU_DEP_2) | instskip(NEXT) | instid1(VALU_DEP_1)
	v_and_b32_e32 v10, 24, v14
	v_cmp_ne_u32_e32 vcc_lo, 24, v10
	v_mov_b64_e32 v[10:11], v[4:5]
	s_and_saveexec_b32 s6, vcc_lo
	s_cbranch_execz .LBB106_19
; %bb.16:
	v_dual_lshrrev_b32 v6, 3, v14 :: v_dual_mov_b32 v8, 0
	v_mov_b64_e32 v[10:11], v[4:5]
	s_mov_b32 s7, 0
	s_delay_alu instid0(VALU_DEP_2) | instskip(NEXT) | instid1(VALU_DEP_1)
	v_dual_mov_b32 v13, v0 :: v_dual_add_nc_u32 v6, 1, v6
	v_dual_mov_b32 v9, v8 :: v_dual_bitop2_b32 v7, 3, v6 bitop3:0x40
	s_delay_alu instid0(VALU_DEP_1)
	v_dual_mov_b32 v6, v8 :: v_dual_sub_nc_u32 v15, 0, v7
	v_mov_b32_e32 v7, v8
.LBB106_17:                             ; =>This Inner Loop Header: Depth=1
	global_load_b32 v16, v13, s[8:9] scale_offset
	s_wait_xcnt 0x0
	v_add_nc_u32_e32 v13, 8, v13
	v_add_co_u32 v15, s10, v15, 1
	s_or_b32 s7, s10, s7
	s_wait_loadcnt 0x0
	v_subrev_nc_u32_e32 v16, s16, v16
	s_delay_alu instid0(VALU_DEP_1) | instskip(NEXT) | instid1(VALU_DEP_1)
	v_lshlrev_b32_e32 v16, 2, v16
	v_ashrrev_i32_e32 v17, 31, v16
	s_wait_kmcnt 0x0
	s_delay_alu instid0(VALU_DEP_1)
	v_lshl_add_u64 v[24:25], v[16:17], 1, s[4:5]
	s_clause 0x1
	global_load_b128 v[16:19], v[10:11], off
	global_load_b128 v[20:23], v[10:11], off offset:16
	global_load_b64 v[26:27], v[24:25], off
	s_wait_xcnt 0x1
	v_add_nc_u64_e32 v[10:11], 0x100, v[10:11]
	s_wait_loadcnt 0x2
	s_wait_xcnt 0x0
	v_dual_lshlrev_b32 v24, 16, v16 :: v_dual_lshlrev_b32 v25, 16, v18
	v_and_b32_e32 v29, 0xffff0000, v18
	v_and_b32_e32 v28, 0xffff0000, v16
	v_dual_lshlrev_b32 v31, 16, v19 :: v_dual_lshlrev_b32 v30, 16, v17
	v_and_b32_e32 v18, 0xffff0000, v17
	s_wait_loadcnt 0x1
	v_dual_lshlrev_b32 v16, 16, v20 :: v_dual_lshlrev_b32 v17, 16, v22
	s_wait_loadcnt 0x0
	v_lshlrev_b32_e32 v32, 16, v26
	v_and_b32_e32 v35, 0xffff0000, v22
	v_and_b32_e32 v34, 0xffff0000, v20
	v_and_b32_e32 v20, 0xffff0000, v26
	v_lshlrev_b32_e32 v22, 16, v27
	v_pk_fma_f32 v[6:7], v[16:17], v[32:33], v[6:7] op_sel_hi:[1,0,1]
	v_lshlrev_b32_e32 v17, 16, v23
	v_pk_fma_f32 v[8:9], v[24:25], v[32:33], v[8:9] op_sel_hi:[1,0,1]
	v_lshlrev_b32_e32 v16, 16, v21
	v_and_b32_e32 v19, 0xffff0000, v19
	v_pk_fma_f32 v[6:7], v[34:35], v[20:21], v[6:7] op_sel_hi:[1,0,1]
	v_and_b32_e32 v25, 0xffff0000, v23
	v_pk_fma_f32 v[8:9], v[28:29], v[20:21], v[8:9] op_sel_hi:[1,0,1]
	v_and_b32_e32 v24, 0xffff0000, v21
	v_and_b32_e32 v20, 0xffff0000, v27
	v_pk_fma_f32 v[6:7], v[16:17], v[22:23], v[6:7] op_sel_hi:[1,0,1]
	s_delay_alu instid0(VALU_DEP_4) | instskip(NEXT) | instid1(VALU_DEP_2)
	v_pk_fma_f32 v[8:9], v[30:31], v[22:23], v[8:9] op_sel_hi:[1,0,1]
	v_pk_fma_f32 v[6:7], v[24:25], v[20:21], v[6:7] op_sel_hi:[1,0,1]
	s_delay_alu instid0(VALU_DEP_2)
	v_pk_fma_f32 v[8:9], v[18:19], v[20:21], v[8:9] op_sel_hi:[1,0,1]
	s_and_not1_b32 exec_lo, exec_lo, s7
	s_cbranch_execnz .LBB106_17
; %bb.18:
	s_or_b32 exec_lo, exec_lo, s7
.LBB106_19:
	s_delay_alu instid0(SALU_CYCLE_1) | instskip(NEXT) | instid1(SALU_CYCLE_1)
	s_or_b32 exec_lo, exec_lo, s6
	s_mov_b32 s6, exec_lo
	v_cmpx_lt_u32_e32 23, v14
	s_cbranch_execz .LBB106_23
; %bb.20:
	s_mov_b32 s7, 0
.LBB106_21:                             ; =>This Inner Loop Header: Depth=1
	s_clause 0x3
	global_load_b32 v30, v13, s[8:9] scale_offset
	global_load_b32 v31, v13, s[8:9] offset:32 scale_offset
	global_load_b32 v42, v13, s[8:9] offset:64 scale_offset
	;; [unrolled: 1-line block ×3, first 2 shown]
	s_clause 0x3
	global_load_b128 v[14:17], v[10:11], off
	global_load_b128 v[18:21], v[10:11], off offset:16
	global_load_b128 v[22:25], v[10:11], off offset:256
	;; [unrolled: 1-line block ×3, first 2 shown]
	s_wait_xcnt 0x4
	v_add_nc_u32_e32 v13, 32, v13
	s_delay_alu instid0(VALU_DEP_1)
	v_cmp_ge_i32_e32 vcc_lo, v13, v1
	s_or_b32 s7, vcc_lo, s7
	s_wait_loadcnt 0x7
	v_subrev_nc_u32_e32 v30, s16, v30
	s_wait_loadcnt 0x6
	v_subrev_nc_u32_e32 v31, s16, v31
	s_wait_loadcnt 0x3
	v_and_b32_e32 v57, 0xffff0000, v16
	s_delay_alu instid0(VALU_DEP_2)
	v_dual_lshlrev_b32 v30, 2, v30 :: v_dual_lshlrev_b32 v38, 2, v31
	v_and_b32_e32 v56, 0xffff0000, v14
	v_lshlrev_b32_e32 v58, 16, v15
	s_wait_loadcnt 0x2
	v_and_b32_e32 v61, 0xffff0000, v20
	v_dual_ashrrev_i32 v31, 31, v30 :: v_dual_lshlrev_b32 v62, 16, v19
	s_wait_loadcnt 0x1
	v_and_b32_e32 v65, 0xffff0000, v24
	v_lshlrev_b32_e32 v66, 16, v23
	s_wait_loadcnt 0x0
	v_and_b32_e32 v69, 0xffff0000, v28
	s_wait_kmcnt 0x0
	v_lshl_add_u64 v[40:41], v[30:31], 1, s[4:5]
	global_load_b64 v[46:47], v[40:41], off
	s_clause 0x1
	global_load_b128 v[30:33], v[10:11], off offset:512
	global_load_b128 v[34:37], v[10:11], off offset:528
	s_wait_xcnt 0x2
	v_subrev_nc_u32_e32 v41, s16, v43
	v_ashrrev_i32_e32 v39, 31, v38
	v_subrev_nc_u32_e32 v40, s16, v42
	v_dual_lshlrev_b32 v70, 16, v27 :: v_dual_lshlrev_b32 v59, 16, v17
	s_delay_alu instid0(VALU_DEP_4) | instskip(NEXT) | instid1(VALU_DEP_4)
	v_lshlrev_b32_e32 v42, 2, v41
	v_lshl_add_u64 v[38:39], v[38:39], 1, s[4:5]
	v_and_b32_e32 v60, 0xffff0000, v18
	v_lshlrev_b32_e32 v63, 16, v21
	v_and_b32_e32 v64, 0xffff0000, v22
	v_ashrrev_i32_e32 v43, 31, v42
	global_load_b64 v[48:49], v[38:39], off
	s_wait_xcnt 0x0
	v_lshlrev_b32_e32 v38, 2, v40
	v_and_b32_e32 v68, 0xffff0000, v26
	v_and_b32_e32 v17, 0xffff0000, v17
	v_lshl_add_u64 v[52:53], v[42:43], 1, s[4:5]
	v_and_b32_e32 v21, 0xffff0000, v21
	v_dual_ashrrev_i32 v39, 31, v38 :: v_dual_lshlrev_b32 v67, 16, v25
	v_lshlrev_b32_e32 v71, 16, v29
	v_and_b32_e32 v25, 0xffff0000, v25
	v_and_b32_e32 v29, 0xffff0000, v29
	s_delay_alu instid0(VALU_DEP_4)
	v_lshl_add_u64 v[44:45], v[38:39], 1, s[4:5]
	global_load_b64 v[50:51], v[44:45], off
	s_clause 0x1
	global_load_b128 v[38:41], v[10:11], off offset:768
	global_load_b128 v[42:45], v[10:11], off offset:784
	global_load_b64 v[54:55], v[52:53], off
	s_wait_xcnt 0x0
	v_dual_lshlrev_b32 v52, 16, v14 :: v_dual_lshlrev_b32 v53, 16, v16
	v_and_b32_e32 v16, 0xffff0000, v15
	v_dual_lshlrev_b32 v14, 16, v18 :: v_dual_lshlrev_b32 v15, 16, v20
	v_and_b32_e32 v20, 0xffff0000, v19
	v_lshlrev_b32_e32 v19, 16, v24
	v_and_b32_e32 v24, 0xffff0000, v23
	v_lshlrev_b32_e32 v23, 16, v28
	;; [unrolled: 2-line block ×3, first 2 shown]
	v_lshlrev_b32_e32 v22, 16, v26
	v_add_nc_u64_e32 v[10:11], 0x400, v[10:11]
	s_wait_loadcnt 0x6
	v_dual_lshlrev_b32 v72, 16, v46 :: v_dual_lshlrev_b32 v27, 16, v32
	v_lshlrev_b32_e32 v26, 16, v30
	v_and_b32_e32 v74, 0xffff0000, v30
	v_and_b32_e32 v30, 0xffff0000, v46
	;; [unrolled: 1-line block ×3, first 2 shown]
	v_pk_fma_f32 v[8:9], v[52:53], v[72:73], v[8:9] op_sel_hi:[1,0,1]
	v_pk_fma_f32 v[6:7], v[14:15], v[72:73], v[6:7] op_sel_hi:[1,0,1]
	v_dual_lshlrev_b32 v32, 16, v47 :: v_dual_lshlrev_b32 v15, 16, v33
	v_lshlrev_b32_e32 v14, 16, v31
	s_delay_alu instid0(VALU_DEP_4) | instskip(NEXT) | instid1(VALU_DEP_4)
	v_pk_fma_f32 v[8:9], v[56:57], v[30:31], v[8:9] op_sel_hi:[1,0,1]
	v_pk_fma_f32 v[6:7], v[60:61], v[30:31], v[6:7] op_sel_hi:[1,0,1]
	v_and_b32_e32 v30, 0xffff0000, v47
	v_and_b32_e32 v53, 0xffff0000, v33
	;; [unrolled: 1-line block ×3, first 2 shown]
	v_pk_fma_f32 v[8:9], v[58:59], v[32:33], v[8:9] op_sel_hi:[1,0,1]
	v_pk_fma_f32 v[6:7], v[62:63], v[32:33], v[6:7] op_sel_hi:[1,0,1]
	s_wait_loadcnt 0x4
	v_dual_lshlrev_b32 v32, 16, v34 :: v_dual_lshlrev_b32 v46, 16, v48
	v_lshlrev_b32_e32 v33, 16, v36
	v_pk_fma_f32 v[8:9], v[16:17], v[30:31], v[8:9] op_sel_hi:[1,0,1]
	v_pk_fma_f32 v[6:7], v[20:21], v[30:31], v[6:7] op_sel_hi:[1,0,1]
	v_and_b32_e32 v20, 0xffff0000, v48
	v_and_b32_e32 v30, 0xffff0000, v49
	v_and_b32_e32 v16, 0xffff0000, v34
	v_pk_fma_f32 v[8:9], v[18:19], v[46:47], v[8:9] op_sel_hi:[1,0,1]
	v_pk_fma_f32 v[6:7], v[22:23], v[46:47], v[6:7] op_sel_hi:[1,0,1]
	s_wait_loadcnt 0x3
	v_dual_lshlrev_b32 v22, 16, v49 :: v_dual_lshlrev_b32 v34, 16, v50
	v_and_b32_e32 v17, 0xffff0000, v36
	v_pk_fma_f32 v[8:9], v[64:65], v[20:21], v[8:9] op_sel_hi:[1,0,1]
	v_pk_fma_f32 v[6:7], v[68:69], v[20:21], v[6:7] op_sel_hi:[1,0,1]
	v_dual_lshlrev_b32 v19, 16, v37 :: v_dual_lshlrev_b32 v18, 16, v35
	v_and_b32_e32 v21, 0xffff0000, v37
	s_delay_alu instid0(VALU_DEP_4) | instskip(NEXT) | instid1(VALU_DEP_4)
	v_pk_fma_f32 v[8:9], v[66:67], v[22:23], v[8:9] op_sel_hi:[1,0,1]
	v_pk_fma_f32 v[6:7], v[70:71], v[22:23], v[6:7] op_sel_hi:[1,0,1]
	v_and_b32_e32 v20, 0xffff0000, v35
	s_wait_loadcnt 0x2
	v_dual_lshlrev_b32 v22, 16, v38 :: v_dual_lshlrev_b32 v23, 16, v40
	v_pk_fma_f32 v[8:9], v[24:25], v[30:31], v[8:9] op_sel_hi:[1,0,1]
	v_pk_fma_f32 v[6:7], v[28:29], v[30:31], v[6:7] op_sel_hi:[1,0,1]
	v_and_b32_e32 v28, 0xffff0000, v50
	v_lshlrev_b32_e32 v30, 16, v51
	v_and_b32_e32 v25, 0xffff0000, v40
	v_pk_fma_f32 v[8:9], v[26:27], v[34:35], v[8:9] op_sel_hi:[1,0,1]
	v_lshlrev_b32_e32 v26, 16, v39
	v_pk_fma_f32 v[6:7], v[32:33], v[34:35], v[6:7] op_sel_hi:[1,0,1]
	v_and_b32_e32 v24, 0xffff0000, v38
	v_lshlrev_b32_e32 v27, 16, v41
	v_pk_fma_f32 v[8:9], v[74:75], v[28:29], v[8:9] op_sel_hi:[1,0,1]
	s_delay_alu instid0(VALU_DEP_4) | instskip(SKIP_2) | instid1(VALU_DEP_4)
	v_pk_fma_f32 v[6:7], v[16:17], v[28:29], v[6:7] op_sel_hi:[1,0,1]
	v_and_b32_e32 v28, 0xffff0000, v51
	v_and_b32_e32 v17, 0xffff0000, v41
	v_pk_fma_f32 v[8:9], v[14:15], v[30:31], v[8:9] op_sel_hi:[1,0,1]
	s_wait_loadcnt 0x1
	v_lshlrev_b32_e32 v14, 16, v42
	v_pk_fma_f32 v[6:7], v[18:19], v[30:31], v[6:7] op_sel_hi:[1,0,1]
	s_wait_loadcnt 0x0
	v_dual_lshlrev_b32 v15, 16, v44 :: v_dual_lshlrev_b32 v18, 16, v54
	v_pk_fma_f32 v[8:9], v[52:53], v[28:29], v[8:9] op_sel_hi:[1,0,1]
	v_and_b32_e32 v16, 0xffff0000, v39
	v_pk_fma_f32 v[6:7], v[20:21], v[28:29], v[6:7] op_sel_hi:[1,0,1]
	v_and_b32_e32 v21, 0xffff0000, v44
	v_and_b32_e32 v20, 0xffff0000, v42
	;; [unrolled: 1-line block ×3, first 2 shown]
	v_pk_fma_f32 v[8:9], v[22:23], v[18:19], v[8:9] op_sel_hi:[1,0,1]
	v_pk_fma_f32 v[6:7], v[14:15], v[18:19], v[6:7] op_sel_hi:[1,0,1]
	v_dual_lshlrev_b32 v15, 16, v45 :: v_dual_lshlrev_b32 v14, 16, v43
	v_lshlrev_b32_e32 v18, 16, v55
	s_delay_alu instid0(VALU_DEP_4) | instskip(NEXT) | instid1(VALU_DEP_4)
	v_pk_fma_f32 v[8:9], v[24:25], v[28:29], v[8:9] op_sel_hi:[1,0,1]
	v_pk_fma_f32 v[6:7], v[20:21], v[28:29], v[6:7] op_sel_hi:[1,0,1]
	v_and_b32_e32 v21, 0xffff0000, v45
	v_and_b32_e32 v20, 0xffff0000, v43
	;; [unrolled: 1-line block ×3, first 2 shown]
	v_pk_fma_f32 v[8:9], v[26:27], v[18:19], v[8:9] op_sel_hi:[1,0,1]
	v_pk_fma_f32 v[6:7], v[14:15], v[18:19], v[6:7] op_sel_hi:[1,0,1]
	s_delay_alu instid0(VALU_DEP_2) | instskip(NEXT) | instid1(VALU_DEP_2)
	v_pk_fma_f32 v[8:9], v[16:17], v[22:23], v[8:9] op_sel_hi:[1,0,1]
	v_pk_fma_f32 v[6:7], v[20:21], v[22:23], v[6:7] op_sel_hi:[1,0,1]
	s_and_not1_b32 exec_lo, exec_lo, s7
	s_cbranch_execnz .LBB106_21
; %bb.22:
	s_or_b32 exec_lo, exec_lo, s7
.LBB106_23:
	s_delay_alu instid0(SALU_CYCLE_1)
	s_or_b32 exec_lo, exec_lo, s6
.LBB106_24:
	s_delay_alu instid0(SALU_CYCLE_1)
	s_or_b32 exec_lo, exec_lo, s3
	s_cbranch_execz .LBB106_26
	s_branch .LBB106_37
.LBB106_25:
                                        ; implicit-def: $vgpr7
                                        ; implicit-def: $vgpr9
.LBB106_26:
	v_dual_mov_b32 v7, 0 :: v_dual_mov_b32 v6, 0
	v_dual_mov_b32 v9, 0 :: v_dual_mov_b32 v8, 0
	s_and_saveexec_b32 s3, s2
	s_cbranch_execz .LBB106_36
; %bb.27:
	v_add_nc_u32_e32 v6, v12, v3
	v_not_b32_e32 v7, v12
	v_mov_b64_e32 v[8:9], 0
	s_mov_b32 s2, exec_lo
	s_delay_alu instid0(VALU_DEP_3) | instskip(NEXT) | instid1(VALU_DEP_1)
	v_subrev_nc_u32_e32 v6, s16, v6
	v_add_max_i32_e64 v6, v6, 8, v1
	s_delay_alu instid0(VALU_DEP_1) | instskip(NEXT) | instid1(VALU_DEP_1)
	v_add3_u32 v6, s16, v6, v7
	v_sub_nc_u32_e32 v10, v6, v3
	v_mov_b64_e32 v[6:7], 0
	s_delay_alu instid0(VALU_DEP_2) | instskip(NEXT) | instid1(VALU_DEP_1)
	v_and_b32_e32 v11, 24, v10
	v_cmpx_ne_u32_e32 24, v11
	s_cbranch_execz .LBB106_31
; %bb.28:
	v_dual_lshrrev_b32 v6, 3, v10 :: v_dual_mov_b32 v8, 0
	s_mov_b32 s6, 0
	s_delay_alu instid0(VALU_DEP_1) | instskip(NEXT) | instid1(VALU_DEP_1)
	v_dual_mov_b32 v9, v8 :: v_dual_add_nc_u32 v6, 1, v6
	v_dual_mov_b32 v6, v8 :: v_dual_bitop2_b32 v7, 3, v6 bitop3:0x40
	s_delay_alu instid0(VALU_DEP_1)
	v_dual_sub_nc_u32 v11, 0, v7 :: v_dual_mov_b32 v7, v8
.LBB106_29:                             ; =>This Inner Loop Header: Depth=1
	global_load_b32 v16, v0, s[8:9] scale_offset
	global_load_b128 v[12:15], v[4:5], off
	v_add_co_u32 v11, s7, v11, 1
	s_or_b32 s6, s7, s6
	s_wait_xcnt 0x1
	v_add_nc_u32_e32 v0, 8, v0
	s_wait_loadcnt 0x1
	v_subrev_nc_u32_e32 v16, s16, v16
	s_wait_loadcnt 0x0
	v_lshlrev_b32_e32 v24, 16, v13
	v_and_b32_e32 v25, 0xffff0000, v13
	v_and_b32_e32 v13, 0xffff0000, v14
	v_and_b32_e32 v31, 0xffff0000, v15
	v_lshlrev_b32_e32 v16, 2, v16
	s_delay_alu instid0(VALU_DEP_1) | instskip(SKIP_1) | instid1(VALU_DEP_1)
	v_ashrrev_i32_e32 v17, 31, v16
	s_wait_kmcnt 0x0
	v_lshl_add_u64 v[20:21], v[16:17], 1, s[4:5]
	global_load_b64 v[22:23], v[20:21], off
	global_load_b128 v[16:19], v[4:5], off offset:16
	s_wait_xcnt 0x1
	v_and_b32_e32 v21, 0xffff0000, v12
	v_dual_lshlrev_b32 v20, 16, v12 :: v_dual_lshlrev_b32 v12, 16, v14
	v_lshlrev_b32_e32 v30, 16, v15
	s_wait_xcnt 0x0
	v_add_nc_u64_e32 v[4:5], 0x100, v[4:5]
	s_wait_loadcnt 0x0
	v_dual_lshlrev_b32 v14, 16, v22 :: v_dual_lshlrev_b32 v26, 16, v16
	v_and_b32_e32 v27, 0xffff0000, v16
	v_lshlrev_b32_e32 v28, 16, v18
	v_and_b32_e32 v16, 0xffff0000, v22
	v_and_b32_e32 v29, 0xffff0000, v18
	v_pk_fma_f32 v[8:9], v[20:21], v[14:15], v[8:9] op_sel_hi:[1,0,1]
	v_pk_fma_f32 v[6:7], v[24:25], v[14:15], v[6:7] op_sel_hi:[1,0,1]
	v_and_b32_e32 v15, 0xffff0000, v17
	v_dual_lshlrev_b32 v14, 16, v17 :: v_dual_lshlrev_b32 v18, 16, v23
	s_delay_alu instid0(VALU_DEP_4) | instskip(NEXT) | instid1(VALU_DEP_4)
	v_pk_fma_f32 v[8:9], v[12:13], v[16:17], v[8:9] op_sel_hi:[1,0,1]
	v_pk_fma_f32 v[6:7], v[30:31], v[16:17], v[6:7] op_sel_hi:[1,0,1]
	v_and_b32_e32 v13, 0xffff0000, v19
	v_lshlrev_b32_e32 v12, 16, v19
	v_and_b32_e32 v16, 0xffff0000, v23
	v_pk_fma_f32 v[8:9], v[26:27], v[18:19], v[8:9] op_sel_hi:[1,0,1]
	v_pk_fma_f32 v[6:7], v[14:15], v[18:19], v[6:7] op_sel_hi:[1,0,1]
	s_delay_alu instid0(VALU_DEP_2) | instskip(NEXT) | instid1(VALU_DEP_2)
	v_pk_fma_f32 v[8:9], v[28:29], v[16:17], v[8:9] op_sel_hi:[1,0,1]
	v_pk_fma_f32 v[6:7], v[12:13], v[16:17], v[6:7] op_sel_hi:[1,0,1]
	s_and_not1_b32 exec_lo, exec_lo, s6
	s_cbranch_execnz .LBB106_29
; %bb.30:
	s_or_b32 exec_lo, exec_lo, s6
.LBB106_31:
	s_delay_alu instid0(SALU_CYCLE_1) | instskip(NEXT) | instid1(SALU_CYCLE_1)
	s_or_b32 exec_lo, exec_lo, s2
	s_mov_b32 s2, exec_lo
	v_cmpx_lt_u32_e32 23, v10
	s_cbranch_execz .LBB106_35
; %bb.32:
	s_mov_b32 s6, 0
.LBB106_33:                             ; =>This Inner Loop Header: Depth=1
	s_clause 0x4
	global_load_b128 v[10:13], v[4:5], off
	global_load_b128 v[14:17], v[4:5], off offset:16
	global_load_b128 v[18:21], v[4:5], off offset:256
	;; [unrolled: 1-line block ×4, first 2 shown]
	s_clause 0x2
	global_load_b32 v56, v0, s[8:9] scale_offset
	global_load_b32 v57, v0, s[8:9] offset:32 scale_offset
	global_load_b32 v58, v0, s[8:9] offset:64 scale_offset
	global_load_b128 v[30:33], v[4:5], off offset:528
	s_wait_loadcnt 0x8
	v_and_b32_e32 v35, 0xffff0000, v10
	v_dual_lshlrev_b32 v34, 16, v10 :: v_dual_lshlrev_b32 v36, 16, v11
	v_and_b32_e32 v37, 0xffff0000, v11
	v_and_b32_e32 v11, 0xffff0000, v12
	s_wait_loadcnt 0x7
	v_dual_lshlrev_b32 v10, 16, v12 :: v_dual_lshlrev_b32 v38, 16, v14
	v_and_b32_e32 v39, 0xffff0000, v14
	v_and_b32_e32 v41, 0xffff0000, v16
	v_dual_lshlrev_b32 v40, 16, v16 :: v_dual_lshlrev_b32 v42, 16, v13
	v_and_b32_e32 v43, 0xffff0000, v13
	v_and_b32_e32 v13, 0xffff0000, v15
	v_dual_lshlrev_b32 v12, 16, v15 :: v_dual_lshlrev_b32 v14, 16, v17
	v_and_b32_e32 v15, 0xffff0000, v17
	s_wait_loadcnt 0x6
	v_and_b32_e32 v17, 0xffff0000, v18
	v_dual_lshlrev_b32 v16, 16, v18 :: v_dual_lshlrev_b32 v44, 16, v19
	v_and_b32_e32 v45, 0xffff0000, v19
	v_and_b32_e32 v19, 0xffff0000, v20
	s_wait_loadcnt 0x5
	v_dual_lshlrev_b32 v18, 16, v20 :: v_dual_lshlrev_b32 v46, 16, v22
	v_and_b32_e32 v47, 0xffff0000, v22
	v_and_b32_e32 v49, 0xffff0000, v24
	v_dual_lshlrev_b32 v48, 16, v24 :: v_dual_lshlrev_b32 v50, 16, v21
	v_and_b32_e32 v51, 0xffff0000, v21
	v_and_b32_e32 v21, 0xffff0000, v23
	v_dual_lshlrev_b32 v20, 16, v23 :: v_dual_lshlrev_b32 v22, 16, v25
	v_and_b32_e32 v23, 0xffff0000, v25
	s_wait_loadcnt 0x4
	v_and_b32_e32 v25, 0xffff0000, v26
	v_dual_lshlrev_b32 v24, 16, v26 :: v_dual_lshlrev_b32 v52, 16, v27
	v_and_b32_e32 v53, 0xffff0000, v27
	v_and_b32_e32 v27, 0xffff0000, v28
	v_dual_lshlrev_b32 v26, 16, v28 :: v_dual_lshlrev_b32 v54, 16, v29
	global_load_b32 v28, v0, s[8:9] offset:96 scale_offset
	v_and_b32_e32 v55, 0xffff0000, v29
	s_wait_loadcnt 0x4
	v_subrev_nc_u32_e32 v29, s16, v56
	s_wait_loadcnt 0x3
	v_subrev_nc_u32_e32 v56, s16, v57
	;; [unrolled: 2-line block ×3, first 2 shown]
	s_wait_xcnt 0x0
	v_add_nc_u32_e32 v0, 32, v0
	s_delay_alu instid0(VALU_DEP_2) | instskip(NEXT) | instid1(VALU_DEP_1)
	v_dual_lshlrev_b32 v56, 2, v56 :: v_dual_lshlrev_b32 v58, 2, v57
	v_dual_ashrrev_i32 v57, 31, v56 :: v_dual_ashrrev_i32 v59, 31, v58
	s_wait_kmcnt 0x0
	s_delay_alu instid0(VALU_DEP_1) | instskip(NEXT) | instid1(VALU_DEP_2)
	v_lshl_add_u64 v[56:57], v[56:57], 1, s[4:5]
	v_lshl_add_u64 v[58:59], v[58:59], 1, s[4:5]
	s_wait_loadcnt 0x0
	v_subrev_nc_u32_e32 v60, s16, v28
	v_lshlrev_b32_e32 v28, 2, v29
	s_delay_alu instid0(VALU_DEP_1) | instskip(NEXT) | instid1(VALU_DEP_1)
	v_ashrrev_i32_e32 v29, 31, v28
	v_lshl_add_u64 v[28:29], v[28:29], 1, s[4:5]
	global_load_b64 v[28:29], v[28:29], off
	v_lshlrev_b32_e32 v60, 2, v60
	s_delay_alu instid0(VALU_DEP_1) | instskip(NEXT) | instid1(VALU_DEP_1)
	v_ashrrev_i32_e32 v61, 31, v60
	v_lshl_add_u64 v[60:61], v[60:61], 1, s[4:5]
	s_clause 0x2
	global_load_b64 v[62:63], v[56:57], off
	global_load_b64 v[64:65], v[58:59], off
	;; [unrolled: 1-line block ×3, first 2 shown]
	s_wait_loadcnt 0x3
	s_wait_xcnt 0x2
	v_lshlrev_b32_e32 v56, 16, v28
	v_and_b32_e32 v28, 0xffff0000, v28
	s_delay_alu instid0(VALU_DEP_2) | instskip(SKIP_1) | instid1(VALU_DEP_2)
	v_pk_fma_f32 v[8:9], v[34:35], v[56:57], v[8:9] op_sel_hi:[1,0,1]
	v_pk_fma_f32 v[6:7], v[36:37], v[56:57], v[6:7] op_sel_hi:[1,0,1]
	;; [unrolled: 1-line block ×3, first 2 shown]
	s_delay_alu instid0(VALU_DEP_2) | instskip(SKIP_2) | instid1(VALU_DEP_1)
	v_pk_fma_f32 v[34:35], v[42:43], v[28:29], v[6:7] op_sel_hi:[1,0,1]
	global_load_b128 v[6:9], v[4:5], off offset:768
	v_lshlrev_b32_e32 v28, 16, v29
	v_pk_fma_f32 v[36:37], v[38:39], v[28:29], v[10:11] op_sel_hi:[1,0,1]
	v_pk_fma_f32 v[34:35], v[12:13], v[28:29], v[34:35] op_sel_hi:[1,0,1]
	global_load_b128 v[10:13], v[4:5], off offset:784
	v_and_b32_e32 v28, 0xffff0000, v29
	v_and_b32_e32 v39, 0xffff0000, v30
	v_lshlrev_b32_e32 v38, 16, v30
	s_wait_loadcnt 0x4
	v_lshlrev_b32_e32 v30, 16, v62
	s_wait_xcnt 0x0
	v_add_nc_u64_e32 v[4:5], 0x400, v[4:5]
	v_pk_fma_f32 v[36:37], v[40:41], v[28:29], v[36:37] op_sel_hi:[1,0,1]
	v_pk_fma_f32 v[14:15], v[14:15], v[28:29], v[34:35] op_sel_hi:[1,0,1]
	v_and_b32_e32 v29, 0xffff0000, v32
	v_lshlrev_b32_e32 v28, 16, v32
	v_and_b32_e32 v32, 0xffff0000, v62
	v_pk_fma_f32 v[16:17], v[16:17], v[30:31], v[36:37] op_sel_hi:[1,0,1]
	v_pk_fma_f32 v[14:15], v[44:45], v[30:31], v[14:15] op_sel_hi:[1,0,1]
	v_lshlrev_b32_e32 v30, 16, v63
	v_and_b32_e32 v35, 0xffff0000, v31
	v_lshlrev_b32_e32 v34, 16, v31
	v_pk_fma_f32 v[16:17], v[18:19], v[32:33], v[16:17] op_sel_hi:[1,0,1]
	v_pk_fma_f32 v[14:15], v[50:51], v[32:33], v[14:15] op_sel_hi:[1,0,1]
	v_and_b32_e32 v32, 0xffff0000, v63
	v_lshlrev_b32_e32 v18, 16, v33
	v_and_b32_e32 v19, 0xffff0000, v33
	v_pk_fma_f32 v[16:17], v[46:47], v[30:31], v[16:17] op_sel_hi:[1,0,1]
	v_pk_fma_f32 v[14:15], v[20:21], v[30:31], v[14:15] op_sel_hi:[1,0,1]
	s_wait_loadcnt 0x3
	v_and_b32_e32 v30, 0xffff0000, v64
	v_cmp_ge_i32_e32 vcc_lo, v0, v1
	v_pk_fma_f32 v[16:17], v[48:49], v[32:33], v[16:17] op_sel_hi:[1,0,1]
	v_pk_fma_f32 v[14:15], v[22:23], v[32:33], v[14:15] op_sel_hi:[1,0,1]
	s_or_b32 s6, vcc_lo, s6
	s_wait_loadcnt 0x1
	v_and_b32_e32 v21, 0xffff0000, v6
	v_dual_lshlrev_b32 v20, 16, v6 :: v_dual_lshlrev_b32 v6, 16, v64
	v_lshlrev_b32_e32 v22, 16, v7
	v_and_b32_e32 v23, 0xffff0000, v7
	s_delay_alu instid0(VALU_DEP_3) | instskip(SKIP_3) | instid1(VALU_DEP_4)
	v_pk_fma_f32 v[16:17], v[24:25], v[6:7], v[16:17] op_sel_hi:[1,0,1]
	v_pk_fma_f32 v[6:7], v[52:53], v[6:7], v[14:15] op_sel_hi:[1,0,1]
	v_and_b32_e32 v15, 0xffff0000, v8
	v_dual_lshlrev_b32 v14, 16, v8 :: v_dual_lshlrev_b32 v8, 16, v65
	v_pk_fma_f32 v[16:17], v[26:27], v[30:31], v[16:17] op_sel_hi:[1,0,1]
	s_delay_alu instid0(VALU_DEP_4)
	v_pk_fma_f32 v[6:7], v[54:55], v[30:31], v[6:7] op_sel_hi:[1,0,1]
	s_wait_loadcnt 0x0
	v_and_b32_e32 v25, 0xffff0000, v10
	v_dual_lshlrev_b32 v24, 16, v10 :: v_dual_lshlrev_b32 v26, 16, v12
	v_and_b32_e32 v10, 0xffff0000, v65
	v_pk_fma_f32 v[16:17], v[38:39], v[8:9], v[16:17] op_sel_hi:[1,0,1]
	v_pk_fma_f32 v[6:7], v[34:35], v[8:9], v[6:7] op_sel_hi:[1,0,1]
	v_lshlrev_b32_e32 v8, 16, v66
	v_and_b32_e32 v27, 0xffff0000, v12
	v_lshlrev_b32_e32 v12, 16, v67
	v_pk_fma_f32 v[16:17], v[28:29], v[10:11], v[16:17] op_sel_hi:[1,0,1]
	v_pk_fma_f32 v[6:7], v[18:19], v[10:11], v[6:7] op_sel_hi:[1,0,1]
	v_and_b32_e32 v19, 0xffff0000, v9
	v_lshlrev_b32_e32 v18, 16, v9
	v_and_b32_e32 v10, 0xffff0000, v66
	v_pk_fma_f32 v[16:17], v[20:21], v[8:9], v[16:17] op_sel_hi:[1,0,1]
	v_pk_fma_f32 v[6:7], v[22:23], v[8:9], v[6:7] op_sel_hi:[1,0,1]
	v_and_b32_e32 v9, 0xffff0000, v11
	v_lshlrev_b32_e32 v8, 16, v11
	s_delay_alu instid0(VALU_DEP_4) | instskip(NEXT) | instid1(VALU_DEP_4)
	v_pk_fma_f32 v[14:15], v[14:15], v[10:11], v[16:17] op_sel_hi:[1,0,1]
	v_pk_fma_f32 v[6:7], v[18:19], v[10:11], v[6:7] op_sel_hi:[1,0,1]
	v_and_b32_e32 v11, 0xffff0000, v13
	v_lshlrev_b32_e32 v10, 16, v13
	v_and_b32_e32 v16, 0xffff0000, v67
	v_pk_fma_f32 v[14:15], v[24:25], v[12:13], v[14:15] op_sel_hi:[1,0,1]
	v_pk_fma_f32 v[6:7], v[8:9], v[12:13], v[6:7] op_sel_hi:[1,0,1]
	s_delay_alu instid0(VALU_DEP_2) | instskip(NEXT) | instid1(VALU_DEP_2)
	v_pk_fma_f32 v[8:9], v[26:27], v[16:17], v[14:15] op_sel_hi:[1,0,1]
	v_pk_fma_f32 v[6:7], v[10:11], v[16:17], v[6:7] op_sel_hi:[1,0,1]
	s_and_not1_b32 exec_lo, exec_lo, s6
	s_cbranch_execnz .LBB106_33
; %bb.34:
	s_or_b32 exec_lo, exec_lo, s6
.LBB106_35:
	s_delay_alu instid0(SALU_CYCLE_1)
	s_or_b32 exec_lo, exec_lo, s2
.LBB106_36:
	s_delay_alu instid0(SALU_CYCLE_1)
	s_or_b32 exec_lo, exec_lo, s3
.LBB106_37:
	v_mbcnt_lo_u32_b32 v10, -1, 0
	s_mov_b32 s2, -1
	s_delay_alu instid0(VALU_DEP_1) | instskip(SKIP_1) | instid1(VALU_DEP_1)
	v_xor_b32_e32 v11, 2, v10
	v_xor_b32_e32 v0, 4, v10
	v_cmp_gt_i32_e32 vcc_lo, 32, v0
	v_cndmask_b32_e32 v0, v10, v0, vcc_lo
	s_delay_alu instid0(VALU_DEP_4) | instskip(SKIP_1) | instid1(VALU_DEP_1)
	v_cmp_gt_i32_e32 vcc_lo, 32, v11
	v_cndmask_b32_e32 v11, v10, v11, vcc_lo
	v_dual_lshlrev_b32 v11, 2, v11 :: v_dual_lshlrev_b32 v5, 2, v0
	ds_bpermute_b32 v0, v5, v8
	ds_bpermute_b32 v1, v5, v9
	;; [unrolled: 1-line block ×4, first 2 shown]
	s_wait_dscnt 0x2
	v_pk_add_f32 v[0:1], v[8:9], v[0:1]
	s_wait_dscnt 0x0
	v_pk_add_f32 v[4:5], v[6:7], v[4:5]
	ds_bpermute_b32 v6, v11, v0
	ds_bpermute_b32 v7, v11, v1
	;; [unrolled: 1-line block ×4, first 2 shown]
	v_xor_b32_e32 v11, 1, v10
	s_delay_alu instid0(VALU_DEP_1) | instskip(SKIP_2) | instid1(VALU_DEP_2)
	v_cmp_gt_i32_e32 vcc_lo, 32, v11
	v_cndmask_b32_e32 v10, v10, v11, vcc_lo
	v_cmp_eq_u32_e32 vcc_lo, 7, v3
	v_lshlrev_b32_e32 v10, 2, v10
	s_wait_dscnt 0x2
	v_pk_add_f32 v[0:1], v[0:1], v[6:7]
	s_wait_dscnt 0x0
	v_pk_add_f32 v[6:7], v[4:5], v[8:9]
	ds_bpermute_b32 v4, v10, v0
	ds_bpermute_b32 v5, v10, v1
	;; [unrolled: 1-line block ×4, first 2 shown]
	s_and_b32 exec_lo, exec_lo, vcc_lo
	s_cbranch_execz .LBB106_10
; %bb.38:
	s_load_b64 s[0:1], s[0:1], 0x50
	s_wait_dscnt 0x2
	v_pk_add_f32 v[4:5], v[0:1], v[4:5]
	s_wait_dscnt 0x0
	v_pk_add_f32 v[0:1], v[6:7], v[8:9]
	v_lshlrev_b32_e32 v2, 2, v2
	s_cmp_eq_f32 s14, 0
	s_cbranch_scc0 .LBB106_40
; %bb.39:
	s_delay_alu instid0(VALU_DEP_1)
	v_ashrrev_i32_e32 v3, 31, v2
	v_pk_mul_f32 v[6:7], s[12:13], v[4:5] op_sel_hi:[0,1]
	v_pk_mul_f32 v[8:9], s[12:13], v[0:1] op_sel_hi:[0,1]
	s_mov_b32 s2, 0
	s_wait_kmcnt 0x0
	v_lshl_add_u64 v[10:11], v[2:3], 2, s[0:1]
	global_store_b128 v[10:11], v[6:9], off
.LBB106_40:
	s_and_not1_b32 vcc_lo, exec_lo, s2
	s_cbranch_vccnz .LBB106_10
; %bb.41:
	v_ashrrev_i32_e32 v3, 31, v2
	s_wait_kmcnt 0x0
	s_delay_alu instid0(VALU_DEP_1)
	v_lshl_add_u64 v[10:11], v[2:3], 2, s[0:1]
	v_pk_mul_f32 v[2:3], s[12:13], v[4:5] op_sel_hi:[0,1]
	v_pk_mul_f32 v[4:5], s[12:13], v[0:1] op_sel_hi:[0,1]
	global_load_b128 v[6:9], v[10:11], off
	s_wait_loadcnt 0x0
	v_pk_fma_f32 v[0:1], s[14:15], v[6:7], v[2:3] op_sel_hi:[0,1,1]
	v_pk_fma_f32 v[2:3], s[14:15], v[8:9], v[4:5] op_sel_hi:[0,1,1]
	global_store_b128 v[10:11], v[0:3], off
	s_sendmsg sendmsg(MSG_DEALLOC_VGPRS)
	s_endpgm
	.section	.rodata,"a",@progbits
	.p2align	6, 0x0
	.amdhsa_kernel _ZN9rocsparseL18bsrxmvn_4x4_kernelILj128ELj8Efii18rocsparse_bfloat16S1_fEEvT3_20rocsparse_direction_NS_24const_host_device_scalarIT1_EES2_PKS2_PKT2_SB_S8_PKT4_PKT5_S6_PT6_21rocsparse_index_base_b
		.amdhsa_group_segment_fixed_size 0
		.amdhsa_private_segment_fixed_size 0
		.amdhsa_kernarg_size 96
		.amdhsa_user_sgpr_count 2
		.amdhsa_user_sgpr_dispatch_ptr 0
		.amdhsa_user_sgpr_queue_ptr 0
		.amdhsa_user_sgpr_kernarg_segment_ptr 1
		.amdhsa_user_sgpr_dispatch_id 0
		.amdhsa_user_sgpr_kernarg_preload_length 0
		.amdhsa_user_sgpr_kernarg_preload_offset 0
		.amdhsa_user_sgpr_private_segment_size 0
		.amdhsa_wavefront_size32 1
		.amdhsa_uses_dynamic_stack 0
		.amdhsa_enable_private_segment 0
		.amdhsa_system_sgpr_workgroup_id_x 1
		.amdhsa_system_sgpr_workgroup_id_y 0
		.amdhsa_system_sgpr_workgroup_id_z 0
		.amdhsa_system_sgpr_workgroup_info 0
		.amdhsa_system_vgpr_workitem_id 0
		.amdhsa_next_free_vgpr 76
		.amdhsa_next_free_sgpr 18
		.amdhsa_named_barrier_count 0
		.amdhsa_reserve_vcc 1
		.amdhsa_float_round_mode_32 0
		.amdhsa_float_round_mode_16_64 0
		.amdhsa_float_denorm_mode_32 3
		.amdhsa_float_denorm_mode_16_64 3
		.amdhsa_fp16_overflow 0
		.amdhsa_memory_ordered 1
		.amdhsa_forward_progress 1
		.amdhsa_inst_pref_size 35
		.amdhsa_round_robin_scheduling 0
		.amdhsa_exception_fp_ieee_invalid_op 0
		.amdhsa_exception_fp_denorm_src 0
		.amdhsa_exception_fp_ieee_div_zero 0
		.amdhsa_exception_fp_ieee_overflow 0
		.amdhsa_exception_fp_ieee_underflow 0
		.amdhsa_exception_fp_ieee_inexact 0
		.amdhsa_exception_int_div_zero 0
	.end_amdhsa_kernel
	.section	.text._ZN9rocsparseL18bsrxmvn_4x4_kernelILj128ELj8Efii18rocsparse_bfloat16S1_fEEvT3_20rocsparse_direction_NS_24const_host_device_scalarIT1_EES2_PKS2_PKT2_SB_S8_PKT4_PKT5_S6_PT6_21rocsparse_index_base_b,"axG",@progbits,_ZN9rocsparseL18bsrxmvn_4x4_kernelILj128ELj8Efii18rocsparse_bfloat16S1_fEEvT3_20rocsparse_direction_NS_24const_host_device_scalarIT1_EES2_PKS2_PKT2_SB_S8_PKT4_PKT5_S6_PT6_21rocsparse_index_base_b,comdat
.Lfunc_end106:
	.size	_ZN9rocsparseL18bsrxmvn_4x4_kernelILj128ELj8Efii18rocsparse_bfloat16S1_fEEvT3_20rocsparse_direction_NS_24const_host_device_scalarIT1_EES2_PKS2_PKT2_SB_S8_PKT4_PKT5_S6_PT6_21rocsparse_index_base_b, .Lfunc_end106-_ZN9rocsparseL18bsrxmvn_4x4_kernelILj128ELj8Efii18rocsparse_bfloat16S1_fEEvT3_20rocsparse_direction_NS_24const_host_device_scalarIT1_EES2_PKS2_PKT2_SB_S8_PKT4_PKT5_S6_PT6_21rocsparse_index_base_b
                                        ; -- End function
	.set _ZN9rocsparseL18bsrxmvn_4x4_kernelILj128ELj8Efii18rocsparse_bfloat16S1_fEEvT3_20rocsparse_direction_NS_24const_host_device_scalarIT1_EES2_PKS2_PKT2_SB_S8_PKT4_PKT5_S6_PT6_21rocsparse_index_base_b.num_vgpr, 76
	.set _ZN9rocsparseL18bsrxmvn_4x4_kernelILj128ELj8Efii18rocsparse_bfloat16S1_fEEvT3_20rocsparse_direction_NS_24const_host_device_scalarIT1_EES2_PKS2_PKT2_SB_S8_PKT4_PKT5_S6_PT6_21rocsparse_index_base_b.num_agpr, 0
	.set _ZN9rocsparseL18bsrxmvn_4x4_kernelILj128ELj8Efii18rocsparse_bfloat16S1_fEEvT3_20rocsparse_direction_NS_24const_host_device_scalarIT1_EES2_PKS2_PKT2_SB_S8_PKT4_PKT5_S6_PT6_21rocsparse_index_base_b.numbered_sgpr, 18
	.set _ZN9rocsparseL18bsrxmvn_4x4_kernelILj128ELj8Efii18rocsparse_bfloat16S1_fEEvT3_20rocsparse_direction_NS_24const_host_device_scalarIT1_EES2_PKS2_PKT2_SB_S8_PKT4_PKT5_S6_PT6_21rocsparse_index_base_b.num_named_barrier, 0
	.set _ZN9rocsparseL18bsrxmvn_4x4_kernelILj128ELj8Efii18rocsparse_bfloat16S1_fEEvT3_20rocsparse_direction_NS_24const_host_device_scalarIT1_EES2_PKS2_PKT2_SB_S8_PKT4_PKT5_S6_PT6_21rocsparse_index_base_b.private_seg_size, 0
	.set _ZN9rocsparseL18bsrxmvn_4x4_kernelILj128ELj8Efii18rocsparse_bfloat16S1_fEEvT3_20rocsparse_direction_NS_24const_host_device_scalarIT1_EES2_PKS2_PKT2_SB_S8_PKT4_PKT5_S6_PT6_21rocsparse_index_base_b.uses_vcc, 1
	.set _ZN9rocsparseL18bsrxmvn_4x4_kernelILj128ELj8Efii18rocsparse_bfloat16S1_fEEvT3_20rocsparse_direction_NS_24const_host_device_scalarIT1_EES2_PKS2_PKT2_SB_S8_PKT4_PKT5_S6_PT6_21rocsparse_index_base_b.uses_flat_scratch, 0
	.set _ZN9rocsparseL18bsrxmvn_4x4_kernelILj128ELj8Efii18rocsparse_bfloat16S1_fEEvT3_20rocsparse_direction_NS_24const_host_device_scalarIT1_EES2_PKS2_PKT2_SB_S8_PKT4_PKT5_S6_PT6_21rocsparse_index_base_b.has_dyn_sized_stack, 0
	.set _ZN9rocsparseL18bsrxmvn_4x4_kernelILj128ELj8Efii18rocsparse_bfloat16S1_fEEvT3_20rocsparse_direction_NS_24const_host_device_scalarIT1_EES2_PKS2_PKT2_SB_S8_PKT4_PKT5_S6_PT6_21rocsparse_index_base_b.has_recursion, 0
	.set _ZN9rocsparseL18bsrxmvn_4x4_kernelILj128ELj8Efii18rocsparse_bfloat16S1_fEEvT3_20rocsparse_direction_NS_24const_host_device_scalarIT1_EES2_PKS2_PKT2_SB_S8_PKT4_PKT5_S6_PT6_21rocsparse_index_base_b.has_indirect_call, 0
	.section	.AMDGPU.csdata,"",@progbits
; Kernel info:
; codeLenInByte = 4452
; TotalNumSgprs: 20
; NumVgprs: 76
; ScratchSize: 0
; MemoryBound: 0
; FloatMode: 240
; IeeeMode: 1
; LDSByteSize: 0 bytes/workgroup (compile time only)
; SGPRBlocks: 0
; VGPRBlocks: 4
; NumSGPRsForWavesPerEU: 20
; NumVGPRsForWavesPerEU: 76
; NamedBarCnt: 0
; Occupancy: 12
; WaveLimiterHint : 1
; COMPUTE_PGM_RSRC2:SCRATCH_EN: 0
; COMPUTE_PGM_RSRC2:USER_SGPR: 2
; COMPUTE_PGM_RSRC2:TRAP_HANDLER: 0
; COMPUTE_PGM_RSRC2:TGID_X_EN: 1
; COMPUTE_PGM_RSRC2:TGID_Y_EN: 0
; COMPUTE_PGM_RSRC2:TGID_Z_EN: 0
; COMPUTE_PGM_RSRC2:TIDIG_COMP_CNT: 0
	.section	.text._ZN9rocsparseL18bsrxmvn_4x4_kernelILj128ELj16Efii18rocsparse_bfloat16S1_fEEvT3_20rocsparse_direction_NS_24const_host_device_scalarIT1_EES2_PKS2_PKT2_SB_S8_PKT4_PKT5_S6_PT6_21rocsparse_index_base_b,"axG",@progbits,_ZN9rocsparseL18bsrxmvn_4x4_kernelILj128ELj16Efii18rocsparse_bfloat16S1_fEEvT3_20rocsparse_direction_NS_24const_host_device_scalarIT1_EES2_PKS2_PKT2_SB_S8_PKT4_PKT5_S6_PT6_21rocsparse_index_base_b,comdat
	.globl	_ZN9rocsparseL18bsrxmvn_4x4_kernelILj128ELj16Efii18rocsparse_bfloat16S1_fEEvT3_20rocsparse_direction_NS_24const_host_device_scalarIT1_EES2_PKS2_PKT2_SB_S8_PKT4_PKT5_S6_PT6_21rocsparse_index_base_b ; -- Begin function _ZN9rocsparseL18bsrxmvn_4x4_kernelILj128ELj16Efii18rocsparse_bfloat16S1_fEEvT3_20rocsparse_direction_NS_24const_host_device_scalarIT1_EES2_PKS2_PKT2_SB_S8_PKT4_PKT5_S6_PT6_21rocsparse_index_base_b
	.p2align	8
	.type	_ZN9rocsparseL18bsrxmvn_4x4_kernelILj128ELj16Efii18rocsparse_bfloat16S1_fEEvT3_20rocsparse_direction_NS_24const_host_device_scalarIT1_EES2_PKS2_PKT2_SB_S8_PKT4_PKT5_S6_PT6_21rocsparse_index_base_b,@function
_ZN9rocsparseL18bsrxmvn_4x4_kernelILj128ELj16Efii18rocsparse_bfloat16S1_fEEvT3_20rocsparse_direction_NS_24const_host_device_scalarIT1_EES2_PKS2_PKT2_SB_S8_PKT4_PKT5_S6_PT6_21rocsparse_index_base_b: ; @_ZN9rocsparseL18bsrxmvn_4x4_kernelILj128ELj16Efii18rocsparse_bfloat16S1_fEEvT3_20rocsparse_direction_NS_24const_host_device_scalarIT1_EES2_PKS2_PKT2_SB_S8_PKT4_PKT5_S6_PT6_21rocsparse_index_base_b
; %bb.0:
	s_clause 0x2
	s_load_b64 s[16:17], s[0:1], 0x58
	s_load_b64 s[12:13], s[0:1], 0x8
	s_load_b64 s[14:15], s[0:1], 0x48
	s_wait_kmcnt 0x0
	s_bitcmp1_b32 s17, 0
	s_cselect_b32 s2, -1, 0
	s_delay_alu instid0(SALU_CYCLE_1)
	s_and_b32 vcc_lo, exec_lo, s2
	s_xor_b32 s2, s2, -1
	s_cbranch_vccnz .LBB107_2
; %bb.1:
	s_load_b32 s12, s[12:13], 0x0
.LBB107_2:
	s_and_not1_b32 vcc_lo, exec_lo, s2
	s_cbranch_vccnz .LBB107_4
; %bb.3:
	s_load_b32 s14, s[14:15], 0x0
.LBB107_4:
	s_wait_kmcnt 0x0
	s_cmp_neq_f32 s12, 0
	s_mov_b32 s6, 0
	s_cselect_b32 s2, -1, 0
	s_cmp_neq_f32 s14, 1.0
	s_cselect_b32 s3, -1, 0
	s_delay_alu instid0(SALU_CYCLE_1) | instskip(NEXT) | instid1(SALU_CYCLE_1)
	s_or_b32 s2, s2, s3
	s_and_not1_b32 vcc_lo, exec_lo, s2
	s_cbranch_vccnz .LBB107_10
; %bb.5:
	s_clause 0x1
	s_load_b64 s[4:5], s[0:1], 0x18
	s_load_b64 s[2:3], s[0:1], 0x0
	s_bfe_u32 s7, ttmp6, 0x4000c
	s_and_b32 s8, ttmp6, 15
	s_add_co_i32 s7, s7, 1
	s_getreg_b32 s9, hwreg(HW_REG_IB_STS2, 6, 4)
	s_mul_i32 s7, ttmp9, s7
	v_lshrrev_b32_e32 v1, 4, v0
	s_add_co_i32 s8, s8, s7
	s_cmp_eq_u32 s9, 0
	s_cselect_b32 s7, ttmp9, s8
	s_delay_alu instid0(VALU_DEP_1) | instid1(SALU_CYCLE_1)
	v_lshl_or_b32 v2, s7, 3, v1
	s_wait_kmcnt 0x0
	s_cmp_lg_u64 s[4:5], 0
	s_cbranch_scc0 .LBB107_11
; %bb.6:
	s_load_b32 s6, s[0:1], 0x10
	s_mov_b32 s7, 0
                                        ; implicit-def: $vgpr1
	s_wait_kmcnt 0x0
	v_cmp_gt_i32_e32 vcc_lo, s6, v2
	s_mov_b32 s6, 0
	s_and_saveexec_b32 s8, vcc_lo
	s_delay_alu instid0(SALU_CYCLE_1)
	s_xor_b32 s8, exec_lo, s8
	s_cbranch_execz .LBB107_8
; %bb.7:
	global_load_b32 v1, v2, s[4:5] scale_offset
	s_mov_b32 s6, exec_lo
	s_wait_loadcnt 0x0
	v_subrev_nc_u32_e32 v1, s16, v1
.LBB107_8:
	s_or_b32 exec_lo, exec_lo, s8
	s_delay_alu instid0(SALU_CYCLE_1)
	s_and_b32 vcc_lo, exec_lo, s7
	s_cbranch_vccz .LBB107_12
.LBB107_9:
	v_cmp_gt_i32_e32 vcc_lo, s2, v2
	s_and_not1_b32 s2, s6, exec_lo
	s_and_b32 s4, vcc_lo, exec_lo
	s_delay_alu instid0(SALU_CYCLE_1) | instskip(NEXT) | instid1(SALU_CYCLE_1)
	s_or_b32 s6, s2, s4
	s_and_saveexec_b32 s2, s6
	s_cbranch_execnz .LBB107_13
.LBB107_10:
	s_sendmsg sendmsg(MSG_DEALLOC_VGPRS)
	s_endpgm
.LBB107_11:
                                        ; implicit-def: $vgpr1
	s_cbranch_execnz .LBB107_9
.LBB107_12:
	s_delay_alu instid0(VALU_DEP_1)
	v_mov_b32_e32 v2, v1
	s_and_saveexec_b32 s2, s6
	s_cbranch_execz .LBB107_10
.LBB107_13:
	s_load_b256 s[4:11], s[0:1], 0x20
	s_wait_kmcnt 0x0
	s_cmp_eq_u64 s[6:7], 0
	global_load_b32 v12, v2, s[4:5] scale_offset
	s_cselect_b32 vcc_lo, -1, 0
	v_ashrrev_i32_e32 v3, 31, v2
	s_cmp_eq_u32 s3, 1
	s_delay_alu instid0(VALU_DEP_1) | instskip(SKIP_1) | instid1(VALU_DEP_2)
	v_lshlrev_b64_e32 v[4:5], 2, v[2:3]
	v_and_b32_e32 v3, 15, v0
	v_add_nc_u64_e32 v[6:7], s[4:5], v[4:5]
	v_add_nc_u64_e32 v[4:5], s[6:7], v[4:5]
	s_wait_xcnt 0x0
	s_load_b64 s[4:5], s[0:1], 0x40
	s_delay_alu instid0(VALU_DEP_2) | instskip(NEXT) | instid1(VALU_DEP_1)
	v_add_nc_u64_e32 v[6:7], 4, v[6:7]
	v_dual_cndmask_b32 v5, v5, v7 :: v_dual_cndmask_b32 v4, v4, v6
	global_load_b32 v6, v[4:5], off
	s_wait_loadcnt 0x1
	v_subrev_nc_u32_e32 v0, s16, v12
	s_delay_alu instid0(VALU_DEP_1) | instskip(NEXT) | instid1(VALU_DEP_1)
	v_add_nc_u32_e32 v0, v0, v3
	v_ashrrev_i32_e32 v1, 31, v0
	s_wait_xcnt 0x0
	s_delay_alu instid0(VALU_DEP_1) | instskip(NEXT) | instid1(VALU_DEP_1)
	v_lshlrev_b64_e32 v[4:5], 5, v[0:1]
	v_add_nc_u64_e32 v[4:5], s[10:11], v[4:5]
	s_wait_loadcnt 0x0
	v_subrev_nc_u32_e32 v1, s16, v6
	s_delay_alu instid0(VALU_DEP_1)
	v_cmp_lt_i32_e64 s2, v0, v1
	s_cbranch_scc1 .LBB107_25
; %bb.14:
	v_dual_mov_b32 v7, 0 :: v_dual_mov_b32 v6, 0
	v_dual_mov_b32 v9, 0 :: v_dual_mov_b32 v8, 0
	s_and_saveexec_b32 s3, s2
	s_cbranch_execz .LBB107_24
; %bb.15:
	v_dual_add_nc_u32 v6, v12, v3 :: v_dual_mov_b32 v8, 0
	v_not_b32_e32 v7, v12
	v_mov_b32_e32 v13, v0
	s_delay_alu instid0(VALU_DEP_3) | instskip(NEXT) | instid1(VALU_DEP_4)
	v_subrev_nc_u32_e32 v6, s16, v6
	v_mov_b32_e32 v9, v8
	s_delay_alu instid0(VALU_DEP_2) | instskip(NEXT) | instid1(VALU_DEP_1)
	v_add_max_i32_e64 v6, v6, 16, v1
	v_add3_u32 v6, s16, v6, v7
	s_delay_alu instid0(VALU_DEP_1) | instskip(NEXT) | instid1(VALU_DEP_1)
	v_dual_mov_b32 v7, v8 :: v_dual_sub_nc_u32 v14, v6, v3
	v_dual_mov_b32 v6, v8 :: v_dual_bitop2_b32 v10, 48, v14 bitop3:0x40
	s_delay_alu instid0(VALU_DEP_1)
	v_cmp_ne_u32_e32 vcc_lo, 48, v10
	v_mov_b64_e32 v[10:11], v[4:5]
	s_and_saveexec_b32 s6, vcc_lo
	s_cbranch_execz .LBB107_19
; %bb.16:
	v_dual_mov_b32 v7, 0 :: v_dual_lshrrev_b32 v6, 4, v14
	v_mov_b64_e32 v[10:11], v[4:5]
	s_mov_b32 s7, 0
	s_delay_alu instid0(VALU_DEP_2) | instskip(NEXT) | instid1(VALU_DEP_1)
	v_dual_mov_b32 v13, v0 :: v_dual_add_nc_u32 v6, 1, v6
	v_dual_mov_b32 v6, v7 :: v_dual_bitop2_b32 v8, 3, v6 bitop3:0x40
	s_delay_alu instid0(VALU_DEP_1)
	v_dual_mov_b32 v9, v7 :: v_dual_sub_nc_u32 v15, 0, v8
	v_mov_b32_e32 v8, v7
.LBB107_17:                             ; =>This Inner Loop Header: Depth=1
	global_load_b32 v16, v13, s[8:9] scale_offset
	s_wait_xcnt 0x0
	v_add_nc_u32_e32 v13, 16, v13
	v_add_co_u32 v15, s10, v15, 1
	s_or_b32 s7, s10, s7
	s_wait_loadcnt 0x0
	v_subrev_nc_u32_e32 v16, s16, v16
	s_delay_alu instid0(VALU_DEP_1) | instskip(NEXT) | instid1(VALU_DEP_1)
	v_lshlrev_b32_e32 v16, 2, v16
	v_ashrrev_i32_e32 v17, 31, v16
	s_wait_kmcnt 0x0
	s_delay_alu instid0(VALU_DEP_1)
	v_lshl_add_u64 v[24:25], v[16:17], 1, s[4:5]
	s_clause 0x1
	global_load_b128 v[16:19], v[10:11], off
	global_load_b128 v[20:23], v[10:11], off offset:16
	global_load_b64 v[26:27], v[24:25], off
	s_wait_xcnt 0x1
	v_add_nc_u64_e32 v[10:11], 0x200, v[10:11]
	s_wait_loadcnt 0x2
	s_wait_xcnt 0x0
	v_and_b32_e32 v24, 0xffff0000, v16
	v_dual_lshlrev_b32 v29, 16, v18 :: v_dual_lshlrev_b32 v28, 16, v16
	v_and_b32_e32 v25, 0xffff0000, v18
	v_dual_lshlrev_b32 v31, 16, v19 :: v_dual_lshlrev_b32 v30, 16, v17
	v_and_b32_e32 v18, 0xffff0000, v17
	s_wait_loadcnt 0x1
	v_dual_lshlrev_b32 v17, 16, v22 :: v_dual_lshlrev_b32 v16, 16, v20
	s_wait_loadcnt 0x0
	v_lshlrev_b32_e32 v32, 16, v26
	v_and_b32_e32 v34, 0xffff0000, v20
	v_and_b32_e32 v35, 0xffff0000, v22
	;; [unrolled: 1-line block ×3, first 2 shown]
	v_lshlrev_b32_e32 v22, 16, v27
	v_pk_fma_f32 v[6:7], v[16:17], v[32:33], v[6:7] op_sel_hi:[1,0,1]
	v_lshlrev_b32_e32 v17, 16, v23
	v_pk_fma_f32 v[8:9], v[28:29], v[32:33], v[8:9] op_sel_hi:[1,0,1]
	v_lshlrev_b32_e32 v16, 16, v21
	v_and_b32_e32 v19, 0xffff0000, v19
	v_pk_fma_f32 v[6:7], v[34:35], v[20:21], v[6:7] op_sel_hi:[1,0,1]
	s_delay_alu instid0(VALU_DEP_4)
	v_pk_fma_f32 v[8:9], v[24:25], v[20:21], v[8:9] op_sel_hi:[1,0,1]
	v_and_b32_e32 v25, 0xffff0000, v23
	v_and_b32_e32 v24, 0xffff0000, v21
	;; [unrolled: 1-line block ×3, first 2 shown]
	v_pk_fma_f32 v[6:7], v[16:17], v[22:23], v[6:7] op_sel_hi:[1,0,1]
	v_pk_fma_f32 v[8:9], v[30:31], v[22:23], v[8:9] op_sel_hi:[1,0,1]
	s_delay_alu instid0(VALU_DEP_2) | instskip(NEXT) | instid1(VALU_DEP_2)
	v_pk_fma_f32 v[6:7], v[24:25], v[20:21], v[6:7] op_sel_hi:[1,0,1]
	v_pk_fma_f32 v[8:9], v[18:19], v[20:21], v[8:9] op_sel_hi:[1,0,1]
	s_and_not1_b32 exec_lo, exec_lo, s7
	s_cbranch_execnz .LBB107_17
; %bb.18:
	s_or_b32 exec_lo, exec_lo, s7
.LBB107_19:
	s_delay_alu instid0(SALU_CYCLE_1) | instskip(NEXT) | instid1(SALU_CYCLE_1)
	s_or_b32 exec_lo, exec_lo, s6
	s_mov_b32 s6, exec_lo
	v_cmpx_lt_u32_e32 47, v14
	s_cbranch_execz .LBB107_23
; %bb.20:
	s_mov_b32 s7, 0
.LBB107_21:                             ; =>This Inner Loop Header: Depth=1
	s_clause 0x3
	global_load_b32 v30, v13, s[8:9] scale_offset
	global_load_b32 v31, v13, s[8:9] offset:64 scale_offset
	global_load_b32 v42, v13, s[8:9] offset:128 scale_offset
	;; [unrolled: 1-line block ×3, first 2 shown]
	s_clause 0x3
	global_load_b128 v[14:17], v[10:11], off
	global_load_b128 v[18:21], v[10:11], off offset:16
	global_load_b128 v[22:25], v[10:11], off offset:512
	;; [unrolled: 1-line block ×3, first 2 shown]
	s_wait_xcnt 0x4
	v_add_nc_u32_e32 v13, 64, v13
	s_delay_alu instid0(VALU_DEP_1)
	v_cmp_ge_i32_e32 vcc_lo, v13, v1
	s_or_b32 s7, vcc_lo, s7
	s_wait_loadcnt 0x7
	v_subrev_nc_u32_e32 v30, s16, v30
	s_wait_loadcnt 0x6
	v_subrev_nc_u32_e32 v31, s16, v31
	s_wait_loadcnt 0x3
	s_delay_alu instid0(VALU_DEP_2) | instskip(NEXT) | instid1(VALU_DEP_2)
	v_dual_lshlrev_b32 v57, 16, v16 :: v_dual_lshlrev_b32 v30, 2, v30
	v_dual_lshlrev_b32 v38, 2, v31 :: v_dual_lshlrev_b32 v56, 16, v14
	;; [unrolled: 1-line block ×3, first 2 shown]
	s_wait_loadcnt 0x2
	s_delay_alu instid0(VALU_DEP_3)
	v_dual_lshlrev_b32 v61, 16, v20 :: v_dual_ashrrev_i32 v31, 31, v30
	v_dual_lshlrev_b32 v60, 16, v18 :: v_dual_lshlrev_b32 v63, 16, v21
	s_wait_loadcnt 0x1
	v_dual_lshlrev_b32 v64, 16, v22 :: v_dual_lshlrev_b32 v67, 16, v25
	s_wait_kmcnt 0x0
	v_lshl_add_u64 v[40:41], v[30:31], 1, s[4:5]
	global_load_b64 v[46:47], v[40:41], off
	s_clause 0x1
	global_load_b128 v[30:33], v[10:11], off offset:1024
	global_load_b128 v[34:37], v[10:11], off offset:1040
	s_wait_xcnt 0x2
	v_subrev_nc_u32_e32 v41, s16, v43
	v_ashrrev_i32_e32 v39, 31, v38
	v_subrev_nc_u32_e32 v40, s16, v42
	s_wait_loadcnt 0x3
	v_dual_lshlrev_b32 v68, 16, v26 :: v_dual_lshlrev_b32 v71, 16, v29
	v_lshlrev_b32_e32 v42, 2, v41
	v_lshl_add_u64 v[38:39], v[38:39], 1, s[4:5]
	v_dual_lshlrev_b32 v62, 16, v19 :: v_dual_lshlrev_b32 v65, 16, v24
	v_dual_lshlrev_b32 v66, 16, v23 :: v_dual_lshlrev_b32 v69, 16, v28
	global_load_b64 v[48:49], v[38:39], off
	s_wait_xcnt 0x0
	v_dual_lshlrev_b32 v38, 2, v40 :: v_dual_ashrrev_i32 v43, 31, v42
	v_lshlrev_b32_e32 v70, 16, v27
	v_and_b32_e32 v17, 0xffff0000, v17
	v_and_b32_e32 v21, 0xffff0000, v21
	s_delay_alu instid0(VALU_DEP_4) | instskip(SKIP_3) | instid1(VALU_DEP_4)
	v_ashrrev_i32_e32 v39, 31, v38
	v_lshl_add_u64 v[52:53], v[42:43], 1, s[4:5]
	v_and_b32_e32 v25, 0xffff0000, v25
	v_and_b32_e32 v29, 0xffff0000, v29
	v_lshl_add_u64 v[44:45], v[38:39], 1, s[4:5]
	global_load_b64 v[50:51], v[44:45], off
	s_clause 0x1
	global_load_b128 v[38:41], v[10:11], off offset:1536
	global_load_b128 v[42:45], v[10:11], off offset:1552
	global_load_b64 v[54:55], v[52:53], off
	s_wait_xcnt 0x0
	v_and_b32_e32 v52, 0xffff0000, v14
	v_and_b32_e32 v53, 0xffff0000, v16
	v_and_b32_e32 v16, 0xffff0000, v15
	v_and_b32_e32 v14, 0xffff0000, v18
	v_and_b32_e32 v15, 0xffff0000, v20
	v_and_b32_e32 v18, 0xffff0000, v22
	v_and_b32_e32 v22, 0xffff0000, v26
	v_and_b32_e32 v20, 0xffff0000, v19
	v_and_b32_e32 v19, 0xffff0000, v24
	v_and_b32_e32 v24, 0xffff0000, v23
	v_and_b32_e32 v23, 0xffff0000, v28
	v_and_b32_e32 v28, 0xffff0000, v27
	v_add_nc_u64_e32 v[10:11], 0x800, v[10:11]
	s_wait_loadcnt 0x7
	v_lshlrev_b32_e32 v74, 16, v46
	s_wait_loadcnt 0x6
	v_and_b32_e32 v26, 0xffff0000, v30
	v_lshlrev_b32_e32 v72, 16, v30
	v_and_b32_e32 v30, 0xffff0000, v46
	v_lshlrev_b32_e32 v73, 16, v32
	v_pk_fma_f32 v[8:9], v[56:57], v[74:75], v[8:9] op_sel_hi:[1,0,1]
	v_lshlrev_b32_e32 v57, 16, v33
	v_pk_fma_f32 v[6:7], v[60:61], v[74:75], v[6:7] op_sel_hi:[1,0,1]
	v_and_b32_e32 v27, 0xffff0000, v32
	v_lshlrev_b32_e32 v32, 16, v47
	v_pk_fma_f32 v[8:9], v[52:53], v[30:31], v[8:9] op_sel_hi:[1,0,1]
	v_lshlrev_b32_e32 v56, 16, v31
	v_pk_fma_f32 v[6:7], v[14:15], v[30:31], v[6:7] op_sel_hi:[1,0,1]
	v_and_b32_e32 v14, 0xffff0000, v31
	v_and_b32_e32 v30, 0xffff0000, v47
	s_wait_loadcnt 0x5
	v_lshlrev_b32_e32 v31, 16, v36
	v_pk_fma_f32 v[8:9], v[58:59], v[32:33], v[8:9] op_sel_hi:[1,0,1]
	v_pk_fma_f32 v[6:7], v[62:63], v[32:33], v[6:7] op_sel_hi:[1,0,1]
	s_wait_loadcnt 0x4
	v_lshlrev_b32_e32 v46, 16, v48
	v_and_b32_e32 v32, 0xffff0000, v34
	v_and_b32_e32 v15, 0xffff0000, v33
	v_pk_fma_f32 v[8:9], v[16:17], v[30:31], v[8:9] op_sel_hi:[1,0,1]
	v_pk_fma_f32 v[6:7], v[20:21], v[30:31], v[6:7] op_sel_hi:[1,0,1]
	v_lshlrev_b32_e32 v30, 16, v34
	v_and_b32_e32 v16, 0xffff0000, v48
	v_lshlrev_b32_e32 v34, 16, v49
	v_pk_fma_f32 v[8:9], v[64:65], v[46:47], v[8:9] op_sel_hi:[1,0,1]
	v_pk_fma_f32 v[6:7], v[68:69], v[46:47], v[6:7] op_sel_hi:[1,0,1]
	v_and_b32_e32 v33, 0xffff0000, v36
	v_dual_lshlrev_b32 v21, 16, v37 :: v_dual_lshlrev_b32 v20, 16, v35
	s_delay_alu instid0(VALU_DEP_4) | instskip(NEXT) | instid1(VALU_DEP_4)
	v_pk_fma_f32 v[8:9], v[18:19], v[16:17], v[8:9] op_sel_hi:[1,0,1]
	v_pk_fma_f32 v[6:7], v[22:23], v[16:17], v[6:7] op_sel_hi:[1,0,1]
	v_and_b32_e32 v18, 0xffff0000, v49
	s_wait_loadcnt 0x2
	v_lshlrev_b32_e32 v19, 16, v40
	v_and_b32_e32 v17, 0xffff0000, v37
	v_pk_fma_f32 v[8:9], v[66:67], v[34:35], v[8:9] op_sel_hi:[1,0,1]
	v_pk_fma_f32 v[6:7], v[70:71], v[34:35], v[6:7] op_sel_hi:[1,0,1]
	v_lshlrev_b32_e32 v34, 16, v50
	v_and_b32_e32 v16, 0xffff0000, v35
	v_and_b32_e32 v22, 0xffff0000, v38
	v_pk_fma_f32 v[8:9], v[24:25], v[18:19], v[8:9] op_sel_hi:[1,0,1]
	v_pk_fma_f32 v[6:7], v[28:29], v[18:19], v[6:7] op_sel_hi:[1,0,1]
	v_and_b32_e32 v24, 0xffff0000, v50
	v_dual_lshlrev_b32 v29, 16, v41 :: v_dual_lshlrev_b32 v18, 16, v38
	v_lshlrev_b32_e32 v28, 16, v39
	v_pk_fma_f32 v[8:9], v[72:73], v[34:35], v[8:9] op_sel_hi:[1,0,1]
	v_pk_fma_f32 v[6:7], v[30:31], v[34:35], v[6:7] op_sel_hi:[1,0,1]
	v_lshlrev_b32_e32 v30, 16, v51
	v_and_b32_e32 v23, 0xffff0000, v40
	s_delay_alu instid0(VALU_DEP_4) | instskip(NEXT) | instid1(VALU_DEP_4)
	v_pk_fma_f32 v[8:9], v[26:27], v[24:25], v[8:9] op_sel_hi:[1,0,1]
	v_pk_fma_f32 v[6:7], v[32:33], v[24:25], v[6:7] op_sel_hi:[1,0,1]
	v_and_b32_e32 v26, 0xffff0000, v51
	v_and_b32_e32 v25, 0xffff0000, v41
	;; [unrolled: 1-line block ×3, first 2 shown]
	s_delay_alu instid0(VALU_DEP_4)
	v_pk_fma_f32 v[6:7], v[20:21], v[30:31], v[6:7] op_sel_hi:[1,0,1]
	s_wait_loadcnt 0x1
	v_lshlrev_b32_e32 v21, 16, v44
	v_pk_fma_f32 v[8:9], v[56:57], v[30:31], v[8:9] op_sel_hi:[1,0,1]
	v_lshlrev_b32_e32 v20, 16, v42
	s_wait_loadcnt 0x0
	v_lshlrev_b32_e32 v30, 16, v54
	v_pk_fma_f32 v[6:7], v[16:17], v[26:27], v[6:7] op_sel_hi:[1,0,1]
	v_and_b32_e32 v16, 0xffff0000, v54
	v_pk_fma_f32 v[8:9], v[14:15], v[26:27], v[8:9] op_sel_hi:[1,0,1]
	v_and_b32_e32 v14, 0xffff0000, v42
	v_and_b32_e32 v15, 0xffff0000, v44
	s_delay_alu instid0(VALU_DEP_3) | instskip(SKIP_3) | instid1(VALU_DEP_4)
	v_pk_fma_f32 v[8:9], v[18:19], v[30:31], v[8:9] op_sel_hi:[1,0,1]
	v_dual_lshlrev_b32 v19, 16, v45 :: v_dual_lshlrev_b32 v18, 16, v43
	v_pk_fma_f32 v[6:7], v[20:21], v[30:31], v[6:7] op_sel_hi:[1,0,1]
	v_lshlrev_b32_e32 v20, 16, v55
	v_pk_fma_f32 v[8:9], v[22:23], v[16:17], v[8:9] op_sel_hi:[1,0,1]
	s_delay_alu instid0(VALU_DEP_3)
	v_pk_fma_f32 v[6:7], v[14:15], v[16:17], v[6:7] op_sel_hi:[1,0,1]
	v_and_b32_e32 v15, 0xffff0000, v45
	v_and_b32_e32 v14, 0xffff0000, v43
	;; [unrolled: 1-line block ×3, first 2 shown]
	v_pk_fma_f32 v[8:9], v[28:29], v[20:21], v[8:9] op_sel_hi:[1,0,1]
	v_pk_fma_f32 v[6:7], v[18:19], v[20:21], v[6:7] op_sel_hi:[1,0,1]
	s_delay_alu instid0(VALU_DEP_2) | instskip(NEXT) | instid1(VALU_DEP_2)
	v_pk_fma_f32 v[8:9], v[24:25], v[16:17], v[8:9] op_sel_hi:[1,0,1]
	v_pk_fma_f32 v[6:7], v[14:15], v[16:17], v[6:7] op_sel_hi:[1,0,1]
	s_and_not1_b32 exec_lo, exec_lo, s7
	s_cbranch_execnz .LBB107_21
; %bb.22:
	s_or_b32 exec_lo, exec_lo, s7
.LBB107_23:
	s_delay_alu instid0(SALU_CYCLE_1)
	s_or_b32 exec_lo, exec_lo, s6
.LBB107_24:
	s_delay_alu instid0(SALU_CYCLE_1)
	s_or_b32 exec_lo, exec_lo, s3
	s_cbranch_execz .LBB107_26
	s_branch .LBB107_37
.LBB107_25:
                                        ; implicit-def: $vgpr7
                                        ; implicit-def: $vgpr9
.LBB107_26:
	v_dual_mov_b32 v7, 0 :: v_dual_mov_b32 v6, 0
	v_dual_mov_b32 v9, 0 :: v_dual_mov_b32 v8, 0
	s_and_saveexec_b32 s3, s2
	s_cbranch_execz .LBB107_36
; %bb.27:
	v_dual_add_nc_u32 v6, v12, v3 :: v_dual_mov_b32 v8, 0
	v_not_b32_e32 v7, v12
	s_delay_alu instid0(VALU_DEP_2) | instskip(NEXT) | instid1(VALU_DEP_3)
	v_subrev_nc_u32_e32 v6, s16, v6
	v_mov_b32_e32 v9, v8
	s_delay_alu instid0(VALU_DEP_2) | instskip(NEXT) | instid1(VALU_DEP_1)
	v_add_max_i32_e64 v6, v6, 16, v1
	v_add3_u32 v6, s16, v6, v7
	s_delay_alu instid0(VALU_DEP_1) | instskip(NEXT) | instid1(VALU_DEP_1)
	v_dual_sub_nc_u32 v10, v6, v3 :: v_dual_mov_b32 v6, v8
	v_and_b32_e32 v7, 48, v10
	s_delay_alu instid0(VALU_DEP_1)
	v_cmp_ne_u32_e32 vcc_lo, 48, v7
	v_mov_b32_e32 v7, v8
	s_and_saveexec_b32 s2, vcc_lo
	s_cbranch_execz .LBB107_31
; %bb.28:
	v_dual_mov_b32 v7, 0 :: v_dual_lshrrev_b32 v6, 4, v10
	s_mov_b32 s6, 0
	s_delay_alu instid0(VALU_DEP_1) | instskip(NEXT) | instid1(VALU_DEP_1)
	v_dual_mov_b32 v9, v7 :: v_dual_add_nc_u32 v6, 1, v6
	v_dual_mov_b32 v6, v7 :: v_dual_bitop2_b32 v8, 3, v6 bitop3:0x40
	s_delay_alu instid0(VALU_DEP_1)
	v_dual_mov_b32 v8, v7 :: v_dual_sub_nc_u32 v11, 0, v8
.LBB107_29:                             ; =>This Inner Loop Header: Depth=1
	global_load_b32 v16, v0, s[8:9] scale_offset
	global_load_b128 v[12:15], v[4:5], off
	v_add_co_u32 v11, s7, v11, 1
	s_or_b32 s6, s7, s6
	s_wait_xcnt 0x1
	v_add_nc_u32_e32 v0, 16, v0
	s_wait_loadcnt 0x1
	v_subrev_nc_u32_e32 v16, s16, v16
	s_wait_loadcnt 0x0
	v_lshlrev_b32_e32 v24, 16, v13
	v_and_b32_e32 v25, 0xffff0000, v13
	v_and_b32_e32 v13, 0xffff0000, v14
	;; [unrolled: 1-line block ×3, first 2 shown]
	v_dual_lshlrev_b32 v16, 2, v16 :: v_dual_lshlrev_b32 v26, 16, v15
	s_delay_alu instid0(VALU_DEP_1) | instskip(SKIP_1) | instid1(VALU_DEP_1)
	v_ashrrev_i32_e32 v17, 31, v16
	s_wait_kmcnt 0x0
	v_lshl_add_u64 v[20:21], v[16:17], 1, s[4:5]
	global_load_b64 v[22:23], v[20:21], off
	global_load_b128 v[16:19], v[4:5], off offset:16
	s_wait_xcnt 0x1
	v_and_b32_e32 v21, 0xffff0000, v12
	v_dual_lshlrev_b32 v20, 16, v12 :: v_dual_lshlrev_b32 v12, 16, v14
	s_wait_xcnt 0x0
	v_add_nc_u64_e32 v[4:5], 0x200, v[4:5]
	s_wait_loadcnt 0x0
	v_and_b32_e32 v15, 0xffff0000, v16
	v_dual_lshlrev_b32 v14, 16, v16 :: v_dual_lshlrev_b32 v16, 16, v22
	v_and_b32_e32 v29, 0xffff0000, v18
	v_lshlrev_b32_e32 v28, 16, v18
	v_and_b32_e32 v18, 0xffff0000, v22
	s_delay_alu instid0(VALU_DEP_4) | instskip(SKIP_3) | instid1(VALU_DEP_4)
	v_pk_fma_f32 v[8:9], v[20:21], v[16:17], v[8:9] op_sel_hi:[1,0,1]
	v_pk_fma_f32 v[6:7], v[24:25], v[16:17], v[6:7] op_sel_hi:[1,0,1]
	v_and_b32_e32 v21, 0xffff0000, v17
	v_dual_lshlrev_b32 v20, 16, v17 :: v_dual_lshlrev_b32 v16, 16, v23
	v_pk_fma_f32 v[8:9], v[12:13], v[18:19], v[8:9] op_sel_hi:[1,0,1]
	s_delay_alu instid0(VALU_DEP_4)
	v_pk_fma_f32 v[6:7], v[26:27], v[18:19], v[6:7] op_sel_hi:[1,0,1]
	v_and_b32_e32 v13, 0xffff0000, v19
	v_lshlrev_b32_e32 v12, 16, v19
	v_and_b32_e32 v18, 0xffff0000, v23
	v_pk_fma_f32 v[8:9], v[14:15], v[16:17], v[8:9] op_sel_hi:[1,0,1]
	v_pk_fma_f32 v[6:7], v[20:21], v[16:17], v[6:7] op_sel_hi:[1,0,1]
	s_delay_alu instid0(VALU_DEP_2) | instskip(NEXT) | instid1(VALU_DEP_2)
	v_pk_fma_f32 v[8:9], v[28:29], v[18:19], v[8:9] op_sel_hi:[1,0,1]
	v_pk_fma_f32 v[6:7], v[12:13], v[18:19], v[6:7] op_sel_hi:[1,0,1]
	s_and_not1_b32 exec_lo, exec_lo, s6
	s_cbranch_execnz .LBB107_29
; %bb.30:
	s_or_b32 exec_lo, exec_lo, s6
.LBB107_31:
	s_delay_alu instid0(SALU_CYCLE_1) | instskip(NEXT) | instid1(SALU_CYCLE_1)
	s_or_b32 exec_lo, exec_lo, s2
	s_mov_b32 s2, exec_lo
	v_cmpx_lt_u32_e32 47, v10
	s_cbranch_execz .LBB107_35
; %bb.32:
	s_mov_b32 s6, 0
.LBB107_33:                             ; =>This Inner Loop Header: Depth=1
	s_clause 0x4
	global_load_b128 v[10:13], v[4:5], off
	global_load_b128 v[14:17], v[4:5], off offset:16
	global_load_b128 v[18:21], v[4:5], off offset:512
	global_load_b128 v[22:25], v[4:5], off offset:528
	global_load_b128 v[26:29], v[4:5], off offset:1024
	s_clause 0x2
	global_load_b32 v56, v0, s[8:9] scale_offset
	global_load_b32 v57, v0, s[8:9] offset:64 scale_offset
	global_load_b32 v58, v0, s[8:9] offset:128 scale_offset
	global_load_b128 v[30:33], v[4:5], off offset:1040
	s_wait_loadcnt 0x8
	v_and_b32_e32 v35, 0xffff0000, v10
	v_dual_lshlrev_b32 v34, 16, v10 :: v_dual_lshlrev_b32 v36, 16, v11
	v_and_b32_e32 v37, 0xffff0000, v11
	v_and_b32_e32 v11, 0xffff0000, v12
	v_dual_lshlrev_b32 v10, 16, v12 :: v_dual_lshlrev_b32 v38, 16, v13
	v_and_b32_e32 v39, 0xffff0000, v13
	s_wait_loadcnt 0x7
	v_and_b32_e32 v13, 0xffff0000, v14
	v_dual_lshlrev_b32 v12, 16, v14 :: v_dual_lshlrev_b32 v40, 16, v16
	v_and_b32_e32 v41, 0xffff0000, v16
	v_and_b32_e32 v43, 0xffff0000, v15
	v_dual_lshlrev_b32 v42, 16, v15 :: v_dual_lshlrev_b32 v14, 16, v17
	v_and_b32_e32 v15, 0xffff0000, v17
	;; [unrolled: 7-line block ×4, first 2 shown]
	s_wait_loadcnt 0x4
	v_and_b32_e32 v25, 0xffff0000, v26
	v_dual_lshlrev_b32 v24, 16, v26 :: v_dual_lshlrev_b32 v52, 16, v27
	v_and_b32_e32 v53, 0xffff0000, v27
	v_and_b32_e32 v27, 0xffff0000, v28
	v_dual_lshlrev_b32 v26, 16, v28 :: v_dual_lshlrev_b32 v54, 16, v29
	global_load_b32 v28, v0, s[8:9] offset:192 scale_offset
	v_and_b32_e32 v55, 0xffff0000, v29
	s_wait_loadcnt 0x4
	v_subrev_nc_u32_e32 v29, s16, v56
	s_wait_loadcnt 0x3
	v_subrev_nc_u32_e32 v56, s16, v57
	;; [unrolled: 2-line block ×3, first 2 shown]
	s_wait_xcnt 0x0
	v_add_nc_u32_e32 v0, 64, v0
	s_delay_alu instid0(VALU_DEP_2) | instskip(NEXT) | instid1(VALU_DEP_1)
	v_dual_lshlrev_b32 v56, 2, v56 :: v_dual_lshlrev_b32 v58, 2, v57
	v_dual_ashrrev_i32 v57, 31, v56 :: v_dual_ashrrev_i32 v59, 31, v58
	s_wait_kmcnt 0x0
	s_delay_alu instid0(VALU_DEP_1) | instskip(NEXT) | instid1(VALU_DEP_2)
	v_lshl_add_u64 v[56:57], v[56:57], 1, s[4:5]
	v_lshl_add_u64 v[58:59], v[58:59], 1, s[4:5]
	s_wait_loadcnt 0x0
	v_subrev_nc_u32_e32 v60, s16, v28
	v_lshlrev_b32_e32 v28, 2, v29
	s_delay_alu instid0(VALU_DEP_1) | instskip(NEXT) | instid1(VALU_DEP_1)
	v_ashrrev_i32_e32 v29, 31, v28
	v_lshl_add_u64 v[28:29], v[28:29], 1, s[4:5]
	global_load_b64 v[28:29], v[28:29], off
	v_lshlrev_b32_e32 v60, 2, v60
	s_delay_alu instid0(VALU_DEP_1) | instskip(NEXT) | instid1(VALU_DEP_1)
	v_ashrrev_i32_e32 v61, 31, v60
	v_lshl_add_u64 v[60:61], v[60:61], 1, s[4:5]
	s_clause 0x2
	global_load_b64 v[62:63], v[56:57], off
	global_load_b64 v[64:65], v[58:59], off
	;; [unrolled: 1-line block ×3, first 2 shown]
	s_wait_loadcnt 0x3
	s_wait_xcnt 0x2
	v_lshlrev_b32_e32 v56, 16, v28
	v_and_b32_e32 v28, 0xffff0000, v28
	s_delay_alu instid0(VALU_DEP_2) | instskip(SKIP_1) | instid1(VALU_DEP_2)
	v_pk_fma_f32 v[8:9], v[34:35], v[56:57], v[8:9] op_sel_hi:[1,0,1]
	v_pk_fma_f32 v[6:7], v[36:37], v[56:57], v[6:7] op_sel_hi:[1,0,1]
	;; [unrolled: 1-line block ×3, first 2 shown]
	s_delay_alu instid0(VALU_DEP_2)
	v_pk_fma_f32 v[34:35], v[38:39], v[28:29], v[6:7] op_sel_hi:[1,0,1]
	global_load_b128 v[6:9], v[4:5], off offset:1536
	v_lshlrev_b32_e32 v28, 16, v29
	v_and_b32_e32 v39, 0xffff0000, v30
	v_lshlrev_b32_e32 v38, 16, v30
	s_wait_loadcnt 0x3
	v_lshlrev_b32_e32 v30, 16, v62
	v_pk_fma_f32 v[36:37], v[12:13], v[28:29], v[10:11] op_sel_hi:[1,0,1]
	global_load_b128 v[10:13], v[4:5], off offset:1552
	v_pk_fma_f32 v[34:35], v[42:43], v[28:29], v[34:35] op_sel_hi:[1,0,1]
	v_and_b32_e32 v28, 0xffff0000, v29
	s_wait_xcnt 0x0
	v_add_nc_u64_e32 v[4:5], 0x800, v[4:5]
	s_delay_alu instid0(VALU_DEP_2)
	v_pk_fma_f32 v[36:37], v[40:41], v[28:29], v[36:37] op_sel_hi:[1,0,1]
	v_pk_fma_f32 v[14:15], v[14:15], v[28:29], v[34:35] op_sel_hi:[1,0,1]
	v_and_b32_e32 v29, 0xffff0000, v32
	v_lshlrev_b32_e32 v28, 16, v32
	v_and_b32_e32 v32, 0xffff0000, v62
	v_pk_fma_f32 v[16:17], v[16:17], v[30:31], v[36:37] op_sel_hi:[1,0,1]
	v_pk_fma_f32 v[14:15], v[44:45], v[30:31], v[14:15] op_sel_hi:[1,0,1]
	v_lshlrev_b32_e32 v30, 16, v63
	v_and_b32_e32 v35, 0xffff0000, v31
	v_lshlrev_b32_e32 v34, 16, v31
	v_pk_fma_f32 v[16:17], v[18:19], v[32:33], v[16:17] op_sel_hi:[1,0,1]
	v_pk_fma_f32 v[14:15], v[46:47], v[32:33], v[14:15] op_sel_hi:[1,0,1]
	v_and_b32_e32 v32, 0xffff0000, v63
	v_lshlrev_b32_e32 v18, 16, v33
	v_and_b32_e32 v19, 0xffff0000, v33
	v_pk_fma_f32 v[16:17], v[20:21], v[30:31], v[16:17] op_sel_hi:[1,0,1]
	v_pk_fma_f32 v[14:15], v[50:51], v[30:31], v[14:15] op_sel_hi:[1,0,1]
	s_wait_loadcnt 0x3
	v_and_b32_e32 v30, 0xffff0000, v64
	v_cmp_ge_i32_e32 vcc_lo, v0, v1
	v_pk_fma_f32 v[16:17], v[48:49], v[32:33], v[16:17] op_sel_hi:[1,0,1]
	v_pk_fma_f32 v[14:15], v[22:23], v[32:33], v[14:15] op_sel_hi:[1,0,1]
	s_or_b32 s6, vcc_lo, s6
	s_wait_loadcnt 0x1
	v_and_b32_e32 v21, 0xffff0000, v6
	v_dual_lshlrev_b32 v20, 16, v6 :: v_dual_lshlrev_b32 v6, 16, v64
	v_lshlrev_b32_e32 v22, 16, v7
	v_and_b32_e32 v23, 0xffff0000, v7
	s_delay_alu instid0(VALU_DEP_3) | instskip(SKIP_3) | instid1(VALU_DEP_4)
	v_pk_fma_f32 v[16:17], v[24:25], v[6:7], v[16:17] op_sel_hi:[1,0,1]
	v_pk_fma_f32 v[6:7], v[52:53], v[6:7], v[14:15] op_sel_hi:[1,0,1]
	v_and_b32_e32 v15, 0xffff0000, v8
	v_dual_lshlrev_b32 v14, 16, v8 :: v_dual_lshlrev_b32 v8, 16, v65
	v_pk_fma_f32 v[16:17], v[26:27], v[30:31], v[16:17] op_sel_hi:[1,0,1]
	s_delay_alu instid0(VALU_DEP_4)
	v_pk_fma_f32 v[6:7], v[54:55], v[30:31], v[6:7] op_sel_hi:[1,0,1]
	v_and_b32_e32 v26, 0xffff0000, v65
	v_and_b32_e32 v25, 0xffff0000, v9
	v_lshlrev_b32_e32 v24, 16, v9
	v_pk_fma_f32 v[16:17], v[38:39], v[8:9], v[16:17] op_sel_hi:[1,0,1]
	v_pk_fma_f32 v[6:7], v[34:35], v[8:9], v[6:7] op_sel_hi:[1,0,1]
	s_wait_loadcnt 0x0
	v_and_b32_e32 v9, 0xffff0000, v10
	v_lshlrev_b32_e32 v8, 16, v10
	v_lshlrev_b32_e32 v10, 16, v66
	v_pk_fma_f32 v[16:17], v[28:29], v[26:27], v[16:17] op_sel_hi:[1,0,1]
	v_pk_fma_f32 v[6:7], v[18:19], v[26:27], v[6:7] op_sel_hi:[1,0,1]
	v_and_b32_e32 v19, 0xffff0000, v12
	v_lshlrev_b32_e32 v18, 16, v12
	v_and_b32_e32 v12, 0xffff0000, v66
	v_pk_fma_f32 v[16:17], v[20:21], v[10:11], v[16:17] op_sel_hi:[1,0,1]
	v_pk_fma_f32 v[6:7], v[22:23], v[10:11], v[6:7] op_sel_hi:[1,0,1]
	v_and_b32_e32 v21, 0xffff0000, v11
	v_lshlrev_b32_e32 v20, 16, v11
	v_lshlrev_b32_e32 v10, 16, v67
	v_pk_fma_f32 v[14:15], v[14:15], v[12:13], v[16:17] op_sel_hi:[1,0,1]
	v_pk_fma_f32 v[6:7], v[24:25], v[12:13], v[6:7] op_sel_hi:[1,0,1]
	v_and_b32_e32 v17, 0xffff0000, v13
	v_lshlrev_b32_e32 v16, 16, v13
	v_and_b32_e32 v12, 0xffff0000, v67
	v_pk_fma_f32 v[8:9], v[8:9], v[10:11], v[14:15] op_sel_hi:[1,0,1]
	v_pk_fma_f32 v[6:7], v[20:21], v[10:11], v[6:7] op_sel_hi:[1,0,1]
	s_delay_alu instid0(VALU_DEP_2) | instskip(NEXT) | instid1(VALU_DEP_2)
	v_pk_fma_f32 v[8:9], v[18:19], v[12:13], v[8:9] op_sel_hi:[1,0,1]
	v_pk_fma_f32 v[6:7], v[16:17], v[12:13], v[6:7] op_sel_hi:[1,0,1]
	s_and_not1_b32 exec_lo, exec_lo, s6
	s_cbranch_execnz .LBB107_33
; %bb.34:
	s_or_b32 exec_lo, exec_lo, s6
.LBB107_35:
	s_delay_alu instid0(SALU_CYCLE_1)
	s_or_b32 exec_lo, exec_lo, s2
.LBB107_36:
	s_delay_alu instid0(SALU_CYCLE_1)
	s_or_b32 exec_lo, exec_lo, s3
.LBB107_37:
	v_mbcnt_lo_u32_b32 v10, -1, 0
	s_mov_b32 s2, -1
	s_delay_alu instid0(VALU_DEP_1) | instskip(SKIP_1) | instid1(VALU_DEP_1)
	v_xor_b32_e32 v11, 4, v10
	v_xor_b32_e32 v0, 8, v10
	v_cmp_gt_i32_e32 vcc_lo, 32, v0
	v_cndmask_b32_e32 v0, v10, v0, vcc_lo
	s_delay_alu instid0(VALU_DEP_4) | instskip(SKIP_1) | instid1(VALU_DEP_1)
	v_cmp_gt_i32_e32 vcc_lo, 32, v11
	v_cndmask_b32_e32 v11, v10, v11, vcc_lo
	v_dual_lshlrev_b32 v11, 2, v11 :: v_dual_lshlrev_b32 v5, 2, v0
	ds_bpermute_b32 v0, v5, v8
	ds_bpermute_b32 v1, v5, v9
	;; [unrolled: 1-line block ×4, first 2 shown]
	s_wait_dscnt 0x2
	v_pk_add_f32 v[0:1], v[8:9], v[0:1]
	s_wait_dscnt 0x0
	v_pk_add_f32 v[4:5], v[6:7], v[4:5]
	ds_bpermute_b32 v6, v11, v0
	ds_bpermute_b32 v7, v11, v1
	;; [unrolled: 1-line block ×4, first 2 shown]
	v_xor_b32_e32 v11, 2, v10
	s_delay_alu instid0(VALU_DEP_1) | instskip(SKIP_1) | instid1(VALU_DEP_1)
	v_cmp_gt_i32_e32 vcc_lo, 32, v11
	v_cndmask_b32_e32 v11, v10, v11, vcc_lo
	v_lshlrev_b32_e32 v11, 2, v11
	s_wait_dscnt 0x2
	v_pk_add_f32 v[0:1], v[0:1], v[6:7]
	s_wait_dscnt 0x0
	v_pk_add_f32 v[4:5], v[4:5], v[8:9]
	ds_bpermute_b32 v6, v11, v0
	ds_bpermute_b32 v7, v11, v1
	;; [unrolled: 1-line block ×4, first 2 shown]
	v_xor_b32_e32 v11, 1, v10
	s_delay_alu instid0(VALU_DEP_1) | instskip(SKIP_2) | instid1(VALU_DEP_2)
	v_cmp_gt_i32_e32 vcc_lo, 32, v11
	v_cndmask_b32_e32 v10, v10, v11, vcc_lo
	v_cmp_eq_u32_e32 vcc_lo, 15, v3
	v_lshlrev_b32_e32 v10, 2, v10
	s_wait_dscnt 0x2
	v_pk_add_f32 v[0:1], v[0:1], v[6:7]
	s_wait_dscnt 0x0
	v_pk_add_f32 v[6:7], v[4:5], v[8:9]
	ds_bpermute_b32 v4, v10, v0
	ds_bpermute_b32 v5, v10, v1
	;; [unrolled: 1-line block ×4, first 2 shown]
	s_and_b32 exec_lo, exec_lo, vcc_lo
	s_cbranch_execz .LBB107_10
; %bb.38:
	s_load_b64 s[0:1], s[0:1], 0x50
	s_wait_dscnt 0x2
	v_pk_add_f32 v[4:5], v[0:1], v[4:5]
	s_wait_dscnt 0x0
	v_pk_add_f32 v[0:1], v[6:7], v[8:9]
	v_lshlrev_b32_e32 v2, 2, v2
	s_cmp_eq_f32 s14, 0
	s_cbranch_scc0 .LBB107_40
; %bb.39:
	s_delay_alu instid0(VALU_DEP_1)
	v_ashrrev_i32_e32 v3, 31, v2
	v_pk_mul_f32 v[6:7], s[12:13], v[4:5] op_sel_hi:[0,1]
	v_pk_mul_f32 v[8:9], s[12:13], v[0:1] op_sel_hi:[0,1]
	s_mov_b32 s2, 0
	s_wait_kmcnt 0x0
	v_lshl_add_u64 v[10:11], v[2:3], 2, s[0:1]
	global_store_b128 v[10:11], v[6:9], off
.LBB107_40:
	s_and_not1_b32 vcc_lo, exec_lo, s2
	s_cbranch_vccnz .LBB107_10
; %bb.41:
	v_ashrrev_i32_e32 v3, 31, v2
	s_wait_kmcnt 0x0
	s_delay_alu instid0(VALU_DEP_1)
	v_lshl_add_u64 v[10:11], v[2:3], 2, s[0:1]
	v_pk_mul_f32 v[2:3], s[12:13], v[4:5] op_sel_hi:[0,1]
	v_pk_mul_f32 v[4:5], s[12:13], v[0:1] op_sel_hi:[0,1]
	global_load_b128 v[6:9], v[10:11], off
	s_wait_loadcnt 0x0
	v_pk_fma_f32 v[0:1], s[14:15], v[6:7], v[2:3] op_sel_hi:[0,1,1]
	v_pk_fma_f32 v[2:3], s[14:15], v[8:9], v[4:5] op_sel_hi:[0,1,1]
	global_store_b128 v[10:11], v[0:3], off
	s_sendmsg sendmsg(MSG_DEALLOC_VGPRS)
	s_endpgm
	.section	.rodata,"a",@progbits
	.p2align	6, 0x0
	.amdhsa_kernel _ZN9rocsparseL18bsrxmvn_4x4_kernelILj128ELj16Efii18rocsparse_bfloat16S1_fEEvT3_20rocsparse_direction_NS_24const_host_device_scalarIT1_EES2_PKS2_PKT2_SB_S8_PKT4_PKT5_S6_PT6_21rocsparse_index_base_b
		.amdhsa_group_segment_fixed_size 0
		.amdhsa_private_segment_fixed_size 0
		.amdhsa_kernarg_size 96
		.amdhsa_user_sgpr_count 2
		.amdhsa_user_sgpr_dispatch_ptr 0
		.amdhsa_user_sgpr_queue_ptr 0
		.amdhsa_user_sgpr_kernarg_segment_ptr 1
		.amdhsa_user_sgpr_dispatch_id 0
		.amdhsa_user_sgpr_kernarg_preload_length 0
		.amdhsa_user_sgpr_kernarg_preload_offset 0
		.amdhsa_user_sgpr_private_segment_size 0
		.amdhsa_wavefront_size32 1
		.amdhsa_uses_dynamic_stack 0
		.amdhsa_enable_private_segment 0
		.amdhsa_system_sgpr_workgroup_id_x 1
		.amdhsa_system_sgpr_workgroup_id_y 0
		.amdhsa_system_sgpr_workgroup_id_z 0
		.amdhsa_system_sgpr_workgroup_info 0
		.amdhsa_system_vgpr_workitem_id 0
		.amdhsa_next_free_vgpr 76
		.amdhsa_next_free_sgpr 18
		.amdhsa_named_barrier_count 0
		.amdhsa_reserve_vcc 1
		.amdhsa_float_round_mode_32 0
		.amdhsa_float_round_mode_16_64 0
		.amdhsa_float_denorm_mode_32 3
		.amdhsa_float_denorm_mode_16_64 3
		.amdhsa_fp16_overflow 0
		.amdhsa_memory_ordered 1
		.amdhsa_forward_progress 1
		.amdhsa_inst_pref_size 36
		.amdhsa_round_robin_scheduling 0
		.amdhsa_exception_fp_ieee_invalid_op 0
		.amdhsa_exception_fp_denorm_src 0
		.amdhsa_exception_fp_ieee_div_zero 0
		.amdhsa_exception_fp_ieee_overflow 0
		.amdhsa_exception_fp_ieee_underflow 0
		.amdhsa_exception_fp_ieee_inexact 0
		.amdhsa_exception_int_div_zero 0
	.end_amdhsa_kernel
	.section	.text._ZN9rocsparseL18bsrxmvn_4x4_kernelILj128ELj16Efii18rocsparse_bfloat16S1_fEEvT3_20rocsparse_direction_NS_24const_host_device_scalarIT1_EES2_PKS2_PKT2_SB_S8_PKT4_PKT5_S6_PT6_21rocsparse_index_base_b,"axG",@progbits,_ZN9rocsparseL18bsrxmvn_4x4_kernelILj128ELj16Efii18rocsparse_bfloat16S1_fEEvT3_20rocsparse_direction_NS_24const_host_device_scalarIT1_EES2_PKS2_PKT2_SB_S8_PKT4_PKT5_S6_PT6_21rocsparse_index_base_b,comdat
.Lfunc_end107:
	.size	_ZN9rocsparseL18bsrxmvn_4x4_kernelILj128ELj16Efii18rocsparse_bfloat16S1_fEEvT3_20rocsparse_direction_NS_24const_host_device_scalarIT1_EES2_PKS2_PKT2_SB_S8_PKT4_PKT5_S6_PT6_21rocsparse_index_base_b, .Lfunc_end107-_ZN9rocsparseL18bsrxmvn_4x4_kernelILj128ELj16Efii18rocsparse_bfloat16S1_fEEvT3_20rocsparse_direction_NS_24const_host_device_scalarIT1_EES2_PKS2_PKT2_SB_S8_PKT4_PKT5_S6_PT6_21rocsparse_index_base_b
                                        ; -- End function
	.set _ZN9rocsparseL18bsrxmvn_4x4_kernelILj128ELj16Efii18rocsparse_bfloat16S1_fEEvT3_20rocsparse_direction_NS_24const_host_device_scalarIT1_EES2_PKS2_PKT2_SB_S8_PKT4_PKT5_S6_PT6_21rocsparse_index_base_b.num_vgpr, 76
	.set _ZN9rocsparseL18bsrxmvn_4x4_kernelILj128ELj16Efii18rocsparse_bfloat16S1_fEEvT3_20rocsparse_direction_NS_24const_host_device_scalarIT1_EES2_PKS2_PKT2_SB_S8_PKT4_PKT5_S6_PT6_21rocsparse_index_base_b.num_agpr, 0
	.set _ZN9rocsparseL18bsrxmvn_4x4_kernelILj128ELj16Efii18rocsparse_bfloat16S1_fEEvT3_20rocsparse_direction_NS_24const_host_device_scalarIT1_EES2_PKS2_PKT2_SB_S8_PKT4_PKT5_S6_PT6_21rocsparse_index_base_b.numbered_sgpr, 18
	.set _ZN9rocsparseL18bsrxmvn_4x4_kernelILj128ELj16Efii18rocsparse_bfloat16S1_fEEvT3_20rocsparse_direction_NS_24const_host_device_scalarIT1_EES2_PKS2_PKT2_SB_S8_PKT4_PKT5_S6_PT6_21rocsparse_index_base_b.num_named_barrier, 0
	.set _ZN9rocsparseL18bsrxmvn_4x4_kernelILj128ELj16Efii18rocsparse_bfloat16S1_fEEvT3_20rocsparse_direction_NS_24const_host_device_scalarIT1_EES2_PKS2_PKT2_SB_S8_PKT4_PKT5_S6_PT6_21rocsparse_index_base_b.private_seg_size, 0
	.set _ZN9rocsparseL18bsrxmvn_4x4_kernelILj128ELj16Efii18rocsparse_bfloat16S1_fEEvT3_20rocsparse_direction_NS_24const_host_device_scalarIT1_EES2_PKS2_PKT2_SB_S8_PKT4_PKT5_S6_PT6_21rocsparse_index_base_b.uses_vcc, 1
	.set _ZN9rocsparseL18bsrxmvn_4x4_kernelILj128ELj16Efii18rocsparse_bfloat16S1_fEEvT3_20rocsparse_direction_NS_24const_host_device_scalarIT1_EES2_PKS2_PKT2_SB_S8_PKT4_PKT5_S6_PT6_21rocsparse_index_base_b.uses_flat_scratch, 0
	.set _ZN9rocsparseL18bsrxmvn_4x4_kernelILj128ELj16Efii18rocsparse_bfloat16S1_fEEvT3_20rocsparse_direction_NS_24const_host_device_scalarIT1_EES2_PKS2_PKT2_SB_S8_PKT4_PKT5_S6_PT6_21rocsparse_index_base_b.has_dyn_sized_stack, 0
	.set _ZN9rocsparseL18bsrxmvn_4x4_kernelILj128ELj16Efii18rocsparse_bfloat16S1_fEEvT3_20rocsparse_direction_NS_24const_host_device_scalarIT1_EES2_PKS2_PKT2_SB_S8_PKT4_PKT5_S6_PT6_21rocsparse_index_base_b.has_recursion, 0
	.set _ZN9rocsparseL18bsrxmvn_4x4_kernelILj128ELj16Efii18rocsparse_bfloat16S1_fEEvT3_20rocsparse_direction_NS_24const_host_device_scalarIT1_EES2_PKS2_PKT2_SB_S8_PKT4_PKT5_S6_PT6_21rocsparse_index_base_b.has_indirect_call, 0
	.section	.AMDGPU.csdata,"",@progbits
; Kernel info:
; codeLenInByte = 4568
; TotalNumSgprs: 20
; NumVgprs: 76
; ScratchSize: 0
; MemoryBound: 0
; FloatMode: 240
; IeeeMode: 1
; LDSByteSize: 0 bytes/workgroup (compile time only)
; SGPRBlocks: 0
; VGPRBlocks: 4
; NumSGPRsForWavesPerEU: 20
; NumVGPRsForWavesPerEU: 76
; NamedBarCnt: 0
; Occupancy: 12
; WaveLimiterHint : 1
; COMPUTE_PGM_RSRC2:SCRATCH_EN: 0
; COMPUTE_PGM_RSRC2:USER_SGPR: 2
; COMPUTE_PGM_RSRC2:TRAP_HANDLER: 0
; COMPUTE_PGM_RSRC2:TGID_X_EN: 1
; COMPUTE_PGM_RSRC2:TGID_Y_EN: 0
; COMPUTE_PGM_RSRC2:TGID_Z_EN: 0
; COMPUTE_PGM_RSRC2:TIDIG_COMP_CNT: 0
	.section	.text._ZN9rocsparseL18bsrxmvn_4x4_kernelILj128ELj32Efii18rocsparse_bfloat16S1_fEEvT3_20rocsparse_direction_NS_24const_host_device_scalarIT1_EES2_PKS2_PKT2_SB_S8_PKT4_PKT5_S6_PT6_21rocsparse_index_base_b,"axG",@progbits,_ZN9rocsparseL18bsrxmvn_4x4_kernelILj128ELj32Efii18rocsparse_bfloat16S1_fEEvT3_20rocsparse_direction_NS_24const_host_device_scalarIT1_EES2_PKS2_PKT2_SB_S8_PKT4_PKT5_S6_PT6_21rocsparse_index_base_b,comdat
	.globl	_ZN9rocsparseL18bsrxmvn_4x4_kernelILj128ELj32Efii18rocsparse_bfloat16S1_fEEvT3_20rocsparse_direction_NS_24const_host_device_scalarIT1_EES2_PKS2_PKT2_SB_S8_PKT4_PKT5_S6_PT6_21rocsparse_index_base_b ; -- Begin function _ZN9rocsparseL18bsrxmvn_4x4_kernelILj128ELj32Efii18rocsparse_bfloat16S1_fEEvT3_20rocsparse_direction_NS_24const_host_device_scalarIT1_EES2_PKS2_PKT2_SB_S8_PKT4_PKT5_S6_PT6_21rocsparse_index_base_b
	.p2align	8
	.type	_ZN9rocsparseL18bsrxmvn_4x4_kernelILj128ELj32Efii18rocsparse_bfloat16S1_fEEvT3_20rocsparse_direction_NS_24const_host_device_scalarIT1_EES2_PKS2_PKT2_SB_S8_PKT4_PKT5_S6_PT6_21rocsparse_index_base_b,@function
_ZN9rocsparseL18bsrxmvn_4x4_kernelILj128ELj32Efii18rocsparse_bfloat16S1_fEEvT3_20rocsparse_direction_NS_24const_host_device_scalarIT1_EES2_PKS2_PKT2_SB_S8_PKT4_PKT5_S6_PT6_21rocsparse_index_base_b: ; @_ZN9rocsparseL18bsrxmvn_4x4_kernelILj128ELj32Efii18rocsparse_bfloat16S1_fEEvT3_20rocsparse_direction_NS_24const_host_device_scalarIT1_EES2_PKS2_PKT2_SB_S8_PKT4_PKT5_S6_PT6_21rocsparse_index_base_b
; %bb.0:
	s_clause 0x2
	s_load_b64 s[16:17], s[0:1], 0x58
	s_load_b64 s[12:13], s[0:1], 0x8
	;; [unrolled: 1-line block ×3, first 2 shown]
	s_wait_kmcnt 0x0
	s_bitcmp1_b32 s17, 0
	s_cselect_b32 s2, -1, 0
	s_delay_alu instid0(SALU_CYCLE_1)
	s_and_b32 vcc_lo, exec_lo, s2
	s_xor_b32 s2, s2, -1
	s_cbranch_vccnz .LBB108_2
; %bb.1:
	s_load_b32 s12, s[12:13], 0x0
.LBB108_2:
	s_and_not1_b32 vcc_lo, exec_lo, s2
	s_cbranch_vccnz .LBB108_4
; %bb.3:
	s_load_b32 s14, s[14:15], 0x0
.LBB108_4:
	s_wait_kmcnt 0x0
	s_cmp_neq_f32 s12, 0
	s_mov_b32 s6, 0
	s_cselect_b32 s2, -1, 0
	s_cmp_neq_f32 s14, 1.0
	s_cselect_b32 s3, -1, 0
	s_delay_alu instid0(SALU_CYCLE_1) | instskip(NEXT) | instid1(SALU_CYCLE_1)
	s_or_b32 s2, s2, s3
	s_and_not1_b32 vcc_lo, exec_lo, s2
	s_cbranch_vccnz .LBB108_10
; %bb.5:
	s_clause 0x1
	s_load_b64 s[4:5], s[0:1], 0x18
	s_load_b64 s[2:3], s[0:1], 0x0
	s_bfe_u32 s7, ttmp6, 0x4000c
	s_and_b32 s8, ttmp6, 15
	s_add_co_i32 s7, s7, 1
	s_getreg_b32 s9, hwreg(HW_REG_IB_STS2, 6, 4)
	s_mul_i32 s7, ttmp9, s7
	v_lshrrev_b32_e32 v1, 5, v0
	s_add_co_i32 s8, s8, s7
	s_cmp_eq_u32 s9, 0
	s_cselect_b32 s7, ttmp9, s8
	s_delay_alu instid0(VALU_DEP_1) | instid1(SALU_CYCLE_1)
	v_lshl_or_b32 v2, s7, 2, v1
	s_wait_kmcnt 0x0
	s_cmp_lg_u64 s[4:5], 0
	s_cbranch_scc0 .LBB108_11
; %bb.6:
	s_load_b32 s6, s[0:1], 0x10
	s_mov_b32 s7, 0
                                        ; implicit-def: $vgpr1
	s_wait_kmcnt 0x0
	v_cmp_gt_i32_e32 vcc_lo, s6, v2
	s_mov_b32 s6, 0
	s_and_saveexec_b32 s8, vcc_lo
	s_delay_alu instid0(SALU_CYCLE_1)
	s_xor_b32 s8, exec_lo, s8
	s_cbranch_execz .LBB108_8
; %bb.7:
	global_load_b32 v1, v2, s[4:5] scale_offset
	s_mov_b32 s6, exec_lo
	s_wait_loadcnt 0x0
	v_subrev_nc_u32_e32 v1, s16, v1
.LBB108_8:
	s_or_b32 exec_lo, exec_lo, s8
	s_delay_alu instid0(SALU_CYCLE_1)
	s_and_b32 vcc_lo, exec_lo, s7
	s_cbranch_vccz .LBB108_12
.LBB108_9:
	v_cmp_gt_i32_e32 vcc_lo, s2, v2
	s_and_not1_b32 s2, s6, exec_lo
	s_and_b32 s4, vcc_lo, exec_lo
	s_delay_alu instid0(SALU_CYCLE_1) | instskip(NEXT) | instid1(SALU_CYCLE_1)
	s_or_b32 s6, s2, s4
	s_and_saveexec_b32 s2, s6
	s_cbranch_execnz .LBB108_13
.LBB108_10:
	s_sendmsg sendmsg(MSG_DEALLOC_VGPRS)
	s_endpgm
.LBB108_11:
                                        ; implicit-def: $vgpr1
	s_cbranch_execnz .LBB108_9
.LBB108_12:
	s_delay_alu instid0(VALU_DEP_1)
	v_mov_b32_e32 v2, v1
	s_and_saveexec_b32 s2, s6
	s_cbranch_execz .LBB108_10
.LBB108_13:
	s_load_b256 s[4:11], s[0:1], 0x20
	s_wait_kmcnt 0x0
	s_cmp_eq_u64 s[6:7], 0
	global_load_b32 v12, v2, s[4:5] scale_offset
	s_cselect_b32 vcc_lo, -1, 0
	v_ashrrev_i32_e32 v3, 31, v2
	s_cmp_eq_u32 s3, 1
	s_delay_alu instid0(VALU_DEP_1) | instskip(SKIP_1) | instid1(VALU_DEP_2)
	v_lshlrev_b64_e32 v[4:5], 2, v[2:3]
	v_and_b32_e32 v3, 31, v0
	v_add_nc_u64_e32 v[6:7], s[4:5], v[4:5]
	v_add_nc_u64_e32 v[4:5], s[6:7], v[4:5]
	s_wait_xcnt 0x0
	s_load_b64 s[4:5], s[0:1], 0x40
	s_delay_alu instid0(VALU_DEP_2) | instskip(NEXT) | instid1(VALU_DEP_1)
	v_add_nc_u64_e32 v[6:7], 4, v[6:7]
	v_dual_cndmask_b32 v5, v5, v7 :: v_dual_cndmask_b32 v4, v4, v6
	global_load_b32 v6, v[4:5], off
	s_wait_loadcnt 0x1
	v_subrev_nc_u32_e32 v0, s16, v12
	s_delay_alu instid0(VALU_DEP_1) | instskip(NEXT) | instid1(VALU_DEP_1)
	v_add_nc_u32_e32 v0, v0, v3
	v_ashrrev_i32_e32 v1, 31, v0
	s_wait_xcnt 0x0
	s_delay_alu instid0(VALU_DEP_1) | instskip(NEXT) | instid1(VALU_DEP_1)
	v_lshlrev_b64_e32 v[4:5], 5, v[0:1]
	v_add_nc_u64_e32 v[4:5], s[10:11], v[4:5]
	s_wait_loadcnt 0x0
	v_subrev_nc_u32_e32 v1, s16, v6
	s_delay_alu instid0(VALU_DEP_1)
	v_cmp_lt_i32_e64 s2, v0, v1
	s_cbranch_scc1 .LBB108_25
; %bb.14:
	v_dual_mov_b32 v7, 0 :: v_dual_mov_b32 v6, 0
	v_dual_mov_b32 v9, 0 :: v_dual_mov_b32 v8, 0
	s_and_saveexec_b32 s3, s2
	s_cbranch_execz .LBB108_24
; %bb.15:
	v_add_nc_u32_e32 v6, v12, v3
	v_not_b32_e32 v7, v12
	v_mov_b64_e32 v[8:9], 0
	v_mov_b32_e32 v13, v0
	s_delay_alu instid0(VALU_DEP_4) | instskip(NEXT) | instid1(VALU_DEP_1)
	v_subrev_nc_u32_e32 v6, s16, v6
	v_add_max_i32_e64 v6, v6, 32, v1
	s_delay_alu instid0(VALU_DEP_1) | instskip(NEXT) | instid1(VALU_DEP_1)
	v_add3_u32 v6, s16, v6, v7
	v_sub_nc_u32_e32 v14, v6, v3
	v_mov_b64_e32 v[6:7], 0
	s_delay_alu instid0(VALU_DEP_2) | instskip(NEXT) | instid1(VALU_DEP_1)
	v_and_b32_e32 v10, 0x60, v14
	v_cmp_ne_u32_e32 vcc_lo, 0x60, v10
	v_mov_b64_e32 v[10:11], v[4:5]
	s_and_saveexec_b32 s6, vcc_lo
	s_cbranch_execz .LBB108_19
; %bb.16:
	v_lshrrev_b32_e32 v6, 5, v14
	v_mov_b64_e32 v[10:11], v[4:5]
	s_mov_b32 s7, 0
	s_delay_alu instid0(VALU_DEP_2) | instskip(NEXT) | instid1(VALU_DEP_1)
	v_dual_mov_b32 v6, 0 :: v_dual_add_nc_u32 v7, 1, v6
	v_dual_mov_b32 v13, v0 :: v_dual_bitop2_b32 v9, 3, v7 bitop3:0x40
	s_delay_alu instid0(VALU_DEP_2) | instskip(NEXT) | instid1(VALU_DEP_2)
	v_dual_mov_b32 v7, v6 :: v_dual_mov_b32 v8, v6
	v_dual_sub_nc_u32 v15, 0, v9 :: v_dual_mov_b32 v9, v6
.LBB108_17:                             ; =>This Inner Loop Header: Depth=1
	global_load_b32 v16, v13, s[8:9] scale_offset
	v_add_co_u32 v15, s10, v15, 1
	s_or_b32 s7, s10, s7
	s_wait_xcnt 0x0
	v_add_nc_u32_e32 v13, 32, v13
	s_wait_loadcnt 0x0
	v_subrev_nc_u32_e32 v16, s16, v16
	s_delay_alu instid0(VALU_DEP_1) | instskip(NEXT) | instid1(VALU_DEP_1)
	v_lshlrev_b32_e32 v16, 2, v16
	v_ashrrev_i32_e32 v17, 31, v16
	s_wait_kmcnt 0x0
	s_delay_alu instid0(VALU_DEP_1)
	v_lshl_add_u64 v[24:25], v[16:17], 1, s[4:5]
	s_clause 0x1
	global_load_b128 v[16:19], v[10:11], off
	global_load_b128 v[20:23], v[10:11], off offset:16
	global_load_b64 v[26:27], v[24:25], off
	s_wait_xcnt 0x1
	v_add_nc_u64_e32 v[10:11], 0x400, v[10:11]
	s_wait_loadcnt 0x2
	s_wait_xcnt 0x0
	v_dual_lshlrev_b32 v24, 16, v17 :: v_dual_lshlrev_b32 v29, 16, v18
	v_dual_lshlrev_b32 v28, 16, v16 :: v_dual_lshlrev_b32 v25, 16, v19
	v_and_b32_e32 v31, 0xffff0000, v18
	v_and_b32_e32 v30, 0xffff0000, v16
	;; [unrolled: 1-line block ×3, first 2 shown]
	s_wait_loadcnt 0x1
	v_dual_lshlrev_b32 v17, 16, v22 :: v_dual_lshlrev_b32 v16, 16, v20
	s_wait_loadcnt 0x0
	v_lshlrev_b32_e32 v32, 16, v26
	v_and_b32_e32 v35, 0xffff0000, v22
	v_and_b32_e32 v34, 0xffff0000, v20
	;; [unrolled: 1-line block ×3, first 2 shown]
	v_lshlrev_b32_e32 v22, 16, v27
	v_pk_fma_f32 v[6:7], v[16:17], v[32:33], v[6:7] op_sel_hi:[1,0,1]
	v_lshlrev_b32_e32 v16, 16, v21
	v_pk_fma_f32 v[8:9], v[28:29], v[32:33], v[8:9] op_sel_hi:[1,0,1]
	v_lshlrev_b32_e32 v17, 16, v23
	v_and_b32_e32 v19, 0xffff0000, v19
	v_pk_fma_f32 v[6:7], v[34:35], v[20:21], v[6:7] op_sel_hi:[1,0,1]
	v_and_b32_e32 v29, 0xffff0000, v23
	v_pk_fma_f32 v[8:9], v[30:31], v[20:21], v[8:9] op_sel_hi:[1,0,1]
	v_and_b32_e32 v28, 0xffff0000, v21
	v_and_b32_e32 v20, 0xffff0000, v27
	v_pk_fma_f32 v[6:7], v[16:17], v[22:23], v[6:7] op_sel_hi:[1,0,1]
	s_delay_alu instid0(VALU_DEP_4) | instskip(NEXT) | instid1(VALU_DEP_2)
	v_pk_fma_f32 v[8:9], v[24:25], v[22:23], v[8:9] op_sel_hi:[1,0,1]
	v_pk_fma_f32 v[6:7], v[28:29], v[20:21], v[6:7] op_sel_hi:[1,0,1]
	s_delay_alu instid0(VALU_DEP_2)
	v_pk_fma_f32 v[8:9], v[18:19], v[20:21], v[8:9] op_sel_hi:[1,0,1]
	s_and_not1_b32 exec_lo, exec_lo, s7
	s_cbranch_execnz .LBB108_17
; %bb.18:
	s_or_b32 exec_lo, exec_lo, s7
.LBB108_19:
	s_delay_alu instid0(SALU_CYCLE_1) | instskip(NEXT) | instid1(SALU_CYCLE_1)
	s_or_b32 exec_lo, exec_lo, s6
	s_mov_b32 s6, exec_lo
	v_cmpx_lt_u32_e32 0x5f, v14
	s_cbranch_execz .LBB108_23
; %bb.20:
	s_mov_b32 s7, 0
.LBB108_21:                             ; =>This Inner Loop Header: Depth=1
	s_clause 0x3
	global_load_b32 v30, v13, s[8:9] scale_offset
	global_load_b32 v31, v13, s[8:9] offset:128 scale_offset
	global_load_b32 v42, v13, s[8:9] offset:256 scale_offset
	;; [unrolled: 1-line block ×3, first 2 shown]
	s_clause 0x3
	global_load_b128 v[14:17], v[10:11], off
	global_load_b128 v[18:21], v[10:11], off offset:16
	global_load_b128 v[22:25], v[10:11], off offset:1024
	;; [unrolled: 1-line block ×3, first 2 shown]
	s_wait_xcnt 0x4
	v_add_nc_u32_e32 v13, 0x80, v13
	s_delay_alu instid0(VALU_DEP_1)
	v_cmp_ge_i32_e32 vcc_lo, v13, v1
	s_or_b32 s7, vcc_lo, s7
	s_wait_loadcnt 0x7
	v_subrev_nc_u32_e32 v30, s16, v30
	s_wait_loadcnt 0x6
	v_subrev_nc_u32_e32 v31, s16, v31
	s_wait_loadcnt 0x3
	v_lshlrev_b32_e32 v56, 16, v14
	s_delay_alu instid0(VALU_DEP_2) | instskip(SKIP_3) | instid1(VALU_DEP_3)
	v_dual_lshlrev_b32 v30, 2, v30 :: v_dual_lshlrev_b32 v38, 2, v31
	v_and_b32_e32 v58, 0xffff0000, v14
	s_wait_loadcnt 0x2
	v_dual_lshlrev_b32 v14, 16, v19 :: v_dual_lshlrev_b32 v61, 16, v20
	v_ashrrev_i32_e32 v31, 31, v30
	v_lshlrev_b32_e32 v60, 16, v18
	v_and_b32_e32 v59, 0xffff0000, v16
	v_and_b32_e32 v63, 0xffff0000, v20
	;; [unrolled: 1-line block ×3, first 2 shown]
	s_wait_kmcnt 0x0
	v_lshl_add_u64 v[40:41], v[30:31], 1, s[4:5]
	s_wait_loadcnt 0x1
	v_lshlrev_b32_e32 v64, 16, v22
	v_and_b32_e32 v66, 0xffff0000, v22
	s_wait_loadcnt 0x0
	v_dual_lshlrev_b32 v22, 16, v27 :: v_dual_lshlrev_b32 v69, 16, v28
	global_load_b64 v[46:47], v[40:41], off
	s_clause 0x1
	global_load_b128 v[30:33], v[10:11], off offset:2048
	global_load_b128 v[34:37], v[10:11], off offset:2064
	s_wait_xcnt 0x2
	v_subrev_nc_u32_e32 v41, s16, v43
	v_ashrrev_i32_e32 v39, 31, v38
	v_subrev_nc_u32_e32 v40, s16, v42
	v_lshlrev_b32_e32 v68, 16, v26
	v_and_b32_e32 v71, 0xffff0000, v28
	v_lshlrev_b32_e32 v42, 2, v41
	v_lshl_add_u64 v[38:39], v[38:39], 1, s[4:5]
	v_and_b32_e32 v70, 0xffff0000, v26
	v_and_b32_e32 v28, 0xffff0000, v27
	s_delay_alu instid0(VALU_DEP_4)
	v_dual_lshlrev_b32 v57, 16, v16 :: v_dual_ashrrev_i32 v43, 31, v42
	global_load_b64 v[48:49], v[38:39], off
	s_wait_xcnt 0x0
	v_lshlrev_b32_e32 v38, 2, v40
	v_and_b32_e32 v16, 0xffff0000, v15
	v_and_b32_e32 v20, 0xffff0000, v19
	v_lshl_add_u64 v[52:53], v[42:43], 1, s[4:5]
	v_dual_lshlrev_b32 v18, 16, v23 :: v_dual_lshlrev_b32 v65, 16, v24
	v_ashrrev_i32_e32 v39, 31, v38
	v_and_b32_e32 v67, 0xffff0000, v24
	v_lshlrev_b32_e32 v19, 16, v25
	v_and_b32_e32 v24, 0xffff0000, v23
	v_lshlrev_b32_e32 v23, 16, v29
	v_lshl_add_u64 v[44:45], v[38:39], 1, s[4:5]
	global_load_b64 v[50:51], v[44:45], off
	s_clause 0x1
	global_load_b128 v[38:41], v[10:11], off offset:3072
	global_load_b128 v[42:45], v[10:11], off offset:3088
	global_load_b64 v[54:55], v[52:53], off
	s_wait_xcnt 0x0
	v_dual_lshlrev_b32 v52, 16, v15 :: v_dual_lshlrev_b32 v53, 16, v17
	v_lshlrev_b32_e32 v15, 16, v21
	v_and_b32_e32 v17, 0xffff0000, v17
	v_and_b32_e32 v21, 0xffff0000, v21
	;; [unrolled: 1-line block ×4, first 2 shown]
	v_add_nc_u64_e32 v[10:11], 0x1000, v[10:11]
	s_wait_loadcnt 0x6
	v_dual_lshlrev_b32 v74, 16, v46 :: v_dual_lshlrev_b32 v27, 16, v33
	v_and_b32_e32 v75, 0xffff0000, v32
	v_dual_lshlrev_b32 v26, 16, v31 :: v_dual_lshlrev_b32 v73, 16, v32
	v_and_b32_e32 v32, 0xffff0000, v46
	v_lshlrev_b32_e32 v72, 16, v30
	s_delay_alu instid0(VALU_DEP_4)
	v_pk_fma_f32 v[8:9], v[56:57], v[74:75], v[8:9] op_sel_hi:[1,0,1]
	v_pk_fma_f32 v[6:7], v[60:61], v[74:75], v[6:7] op_sel_hi:[1,0,1]
	v_and_b32_e32 v74, 0xffff0000, v30
	v_lshlrev_b32_e32 v30, 16, v47
	v_and_b32_e32 v46, 0xffff0000, v47
	v_pk_fma_f32 v[8:9], v[58:59], v[32:33], v[8:9] op_sel_hi:[1,0,1]
	v_pk_fma_f32 v[6:7], v[62:63], v[32:33], v[6:7] op_sel_hi:[1,0,1]
	v_and_b32_e32 v32, 0xffff0000, v31
	v_and_b32_e32 v33, 0xffff0000, v33
	s_delay_alu instid0(VALU_DEP_4) | instskip(NEXT) | instid1(VALU_DEP_4)
	v_pk_fma_f32 v[8:9], v[52:53], v[30:31], v[8:9] op_sel_hi:[1,0,1]
	v_pk_fma_f32 v[6:7], v[14:15], v[30:31], v[6:7] op_sel_hi:[1,0,1]
	s_wait_loadcnt 0x4
	v_dual_lshlrev_b32 v52, 16, v48 :: v_dual_lshlrev_b32 v30, 16, v34
	v_dual_lshlrev_b32 v14, 16, v35 :: v_dual_lshlrev_b32 v31, 16, v36
	v_pk_fma_f32 v[8:9], v[16:17], v[46:47], v[8:9] op_sel_hi:[1,0,1]
	v_pk_fma_f32 v[6:7], v[20:21], v[46:47], v[6:7] op_sel_hi:[1,0,1]
	v_and_b32_e32 v20, 0xffff0000, v48
	v_and_b32_e32 v16, 0xffff0000, v34
	v_lshlrev_b32_e32 v34, 16, v49
	v_pk_fma_f32 v[8:9], v[64:65], v[52:53], v[8:9] op_sel_hi:[1,0,1]
	v_pk_fma_f32 v[6:7], v[68:69], v[52:53], v[6:7] op_sel_hi:[1,0,1]
	v_and_b32_e32 v17, 0xffff0000, v36
	v_and_b32_e32 v36, 0xffff0000, v49
	v_lshlrev_b32_e32 v15, 16, v37
	v_pk_fma_f32 v[8:9], v[66:67], v[20:21], v[8:9] op_sel_hi:[1,0,1]
	v_pk_fma_f32 v[6:7], v[70:71], v[20:21], v[6:7] op_sel_hi:[1,0,1]
	v_and_b32_e32 v21, 0xffff0000, v37
	v_and_b32_e32 v20, 0xffff0000, v35
	s_delay_alu instid0(VALU_DEP_3)
	v_pk_fma_f32 v[6:7], v[22:23], v[34:35], v[6:7] op_sel_hi:[1,0,1]
	s_wait_loadcnt 0x2
	v_lshlrev_b32_e32 v23, 16, v40
	v_pk_fma_f32 v[8:9], v[18:19], v[34:35], v[8:9] op_sel_hi:[1,0,1]
	v_dual_lshlrev_b32 v34, 16, v50 :: v_dual_lshlrev_b32 v19, 16, v41
	v_pk_fma_f32 v[6:7], v[28:29], v[36:37], v[6:7] op_sel_hi:[1,0,1]
	v_and_b32_e32 v28, 0xffff0000, v50
	s_delay_alu instid0(VALU_DEP_4) | instskip(SKIP_1) | instid1(VALU_DEP_4)
	v_pk_fma_f32 v[8:9], v[24:25], v[36:37], v[8:9] op_sel_hi:[1,0,1]
	v_dual_lshlrev_b32 v22, 16, v38 :: v_dual_lshlrev_b32 v18, 16, v39
	v_pk_fma_f32 v[6:7], v[30:31], v[34:35], v[6:7] op_sel_hi:[1,0,1]
	v_lshlrev_b32_e32 v30, 16, v51
	s_delay_alu instid0(VALU_DEP_4)
	v_pk_fma_f32 v[8:9], v[72:73], v[34:35], v[8:9] op_sel_hi:[1,0,1]
	v_and_b32_e32 v25, 0xffff0000, v40
	v_and_b32_e32 v24, 0xffff0000, v38
	v_pk_fma_f32 v[6:7], v[16:17], v[28:29], v[6:7] op_sel_hi:[1,0,1]
	v_and_b32_e32 v17, 0xffff0000, v41
	v_pk_fma_f32 v[8:9], v[74:75], v[28:29], v[8:9] op_sel_hi:[1,0,1]
	v_and_b32_e32 v28, 0xffff0000, v51
	v_and_b32_e32 v16, 0xffff0000, v39
	v_pk_fma_f32 v[6:7], v[14:15], v[30:31], v[6:7] op_sel_hi:[1,0,1]
	s_wait_loadcnt 0x1
	v_dual_lshlrev_b32 v15, 16, v44 :: v_dual_lshlrev_b32 v14, 16, v42
	v_pk_fma_f32 v[8:9], v[26:27], v[30:31], v[8:9] op_sel_hi:[1,0,1]
	s_wait_loadcnt 0x0
	v_lshlrev_b32_e32 v26, 16, v54
	v_pk_fma_f32 v[6:7], v[20:21], v[28:29], v[6:7] op_sel_hi:[1,0,1]
	v_and_b32_e32 v21, 0xffff0000, v44
	v_and_b32_e32 v20, 0xffff0000, v42
	v_pk_fma_f32 v[8:9], v[32:33], v[28:29], v[8:9] op_sel_hi:[1,0,1]
	v_and_b32_e32 v28, 0xffff0000, v54
	v_pk_fma_f32 v[6:7], v[14:15], v[26:27], v[6:7] op_sel_hi:[1,0,1]
	v_dual_lshlrev_b32 v14, 16, v43 :: v_dual_lshlrev_b32 v15, 16, v45
	s_delay_alu instid0(VALU_DEP_4) | instskip(SKIP_1) | instid1(VALU_DEP_4)
	v_pk_fma_f32 v[8:9], v[22:23], v[26:27], v[8:9] op_sel_hi:[1,0,1]
	v_lshlrev_b32_e32 v22, 16, v55
	v_pk_fma_f32 v[6:7], v[20:21], v[28:29], v[6:7] op_sel_hi:[1,0,1]
	v_and_b32_e32 v21, 0xffff0000, v45
	v_and_b32_e32 v20, 0xffff0000, v43
	v_pk_fma_f32 v[8:9], v[24:25], v[28:29], v[8:9] op_sel_hi:[1,0,1]
	v_and_b32_e32 v24, 0xffff0000, v55
	v_pk_fma_f32 v[6:7], v[14:15], v[22:23], v[6:7] op_sel_hi:[1,0,1]
	s_delay_alu instid0(VALU_DEP_3) | instskip(NEXT) | instid1(VALU_DEP_2)
	v_pk_fma_f32 v[8:9], v[18:19], v[22:23], v[8:9] op_sel_hi:[1,0,1]
	v_pk_fma_f32 v[6:7], v[20:21], v[24:25], v[6:7] op_sel_hi:[1,0,1]
	s_delay_alu instid0(VALU_DEP_2)
	v_pk_fma_f32 v[8:9], v[16:17], v[24:25], v[8:9] op_sel_hi:[1,0,1]
	s_and_not1_b32 exec_lo, exec_lo, s7
	s_cbranch_execnz .LBB108_21
; %bb.22:
	s_or_b32 exec_lo, exec_lo, s7
.LBB108_23:
	s_delay_alu instid0(SALU_CYCLE_1)
	s_or_b32 exec_lo, exec_lo, s6
.LBB108_24:
	s_delay_alu instid0(SALU_CYCLE_1)
	s_or_b32 exec_lo, exec_lo, s3
	s_cbranch_execz .LBB108_26
	s_branch .LBB108_37
.LBB108_25:
                                        ; implicit-def: $vgpr7
                                        ; implicit-def: $vgpr9
.LBB108_26:
	v_dual_mov_b32 v7, 0 :: v_dual_mov_b32 v6, 0
	v_dual_mov_b32 v9, 0 :: v_dual_mov_b32 v8, 0
	s_and_saveexec_b32 s3, s2
	s_cbranch_execz .LBB108_36
; %bb.27:
	v_add_nc_u32_e32 v6, v12, v3
	v_not_b32_e32 v7, v12
	v_mov_b64_e32 v[8:9], 0
	s_mov_b32 s2, exec_lo
	s_delay_alu instid0(VALU_DEP_3) | instskip(NEXT) | instid1(VALU_DEP_1)
	v_subrev_nc_u32_e32 v6, s16, v6
	v_add_max_i32_e64 v6, v6, 32, v1
	s_delay_alu instid0(VALU_DEP_1) | instskip(NEXT) | instid1(VALU_DEP_1)
	v_add3_u32 v6, s16, v6, v7
	v_sub_nc_u32_e32 v10, v6, v3
	v_mov_b64_e32 v[6:7], 0
	s_delay_alu instid0(VALU_DEP_2) | instskip(NEXT) | instid1(VALU_DEP_1)
	v_and_b32_e32 v11, 0x60, v10
	v_cmpx_ne_u32_e32 0x60, v11
	s_cbranch_execz .LBB108_31
; %bb.28:
	v_lshrrev_b32_e32 v6, 5, v10
	s_mov_b32 s6, 0
	s_delay_alu instid0(VALU_DEP_1) | instskip(NEXT) | instid1(VALU_DEP_1)
	v_dual_mov_b32 v6, 0 :: v_dual_add_nc_u32 v7, 1, v6
	v_dual_mov_b32 v7, v6 :: v_dual_bitop2_b32 v9, 3, v7 bitop3:0x40
	s_delay_alu instid0(VALU_DEP_1)
	v_dual_mov_b32 v8, v6 :: v_dual_sub_nc_u32 v11, 0, v9
	v_mov_b32_e32 v9, v6
.LBB108_29:                             ; =>This Inner Loop Header: Depth=1
	global_load_b32 v16, v0, s[8:9] scale_offset
	global_load_b128 v[12:15], v[4:5], off
	v_add_co_u32 v11, s7, v11, 1
	s_or_b32 s6, s7, s6
	s_wait_xcnt 0x1
	v_add_nc_u32_e32 v0, 32, v0
	s_wait_loadcnt 0x1
	v_subrev_nc_u32_e32 v16, s16, v16
	s_wait_loadcnt 0x0
	v_lshlrev_b32_e32 v24, 16, v13
	v_and_b32_e32 v25, 0xffff0000, v13
	v_and_b32_e32 v13, 0xffff0000, v14
	;; [unrolled: 1-line block ×3, first 2 shown]
	v_dual_lshlrev_b32 v16, 2, v16 :: v_dual_lshlrev_b32 v26, 16, v15
	s_delay_alu instid0(VALU_DEP_1) | instskip(SKIP_1) | instid1(VALU_DEP_1)
	v_ashrrev_i32_e32 v17, 31, v16
	s_wait_kmcnt 0x0
	v_lshl_add_u64 v[20:21], v[16:17], 1, s[4:5]
	global_load_b64 v[22:23], v[20:21], off
	global_load_b128 v[16:19], v[4:5], off offset:16
	s_wait_xcnt 0x1
	v_and_b32_e32 v21, 0xffff0000, v12
	v_dual_lshlrev_b32 v20, 16, v12 :: v_dual_lshlrev_b32 v12, 16, v14
	s_wait_xcnt 0x0
	v_add_nc_u64_e32 v[4:5], 0x400, v[4:5]
	s_wait_loadcnt 0x0
	v_and_b32_e32 v15, 0xffff0000, v16
	v_dual_lshlrev_b32 v14, 16, v16 :: v_dual_lshlrev_b32 v16, 16, v22
	v_and_b32_e32 v22, 0xffff0000, v22
	v_and_b32_e32 v29, 0xffff0000, v17
	v_lshlrev_b32_e32 v28, 16, v17
	s_delay_alu instid0(VALU_DEP_4) | instskip(SKIP_3) | instid1(VALU_DEP_4)
	v_pk_fma_f32 v[8:9], v[20:21], v[16:17], v[8:9] op_sel_hi:[1,0,1]
	v_pk_fma_f32 v[6:7], v[24:25], v[16:17], v[6:7] op_sel_hi:[1,0,1]
	v_and_b32_e32 v17, 0xffff0000, v18
	v_dual_lshlrev_b32 v16, 16, v18 :: v_dual_lshlrev_b32 v18, 16, v23
	v_pk_fma_f32 v[8:9], v[12:13], v[22:23], v[8:9] op_sel_hi:[1,0,1]
	s_delay_alu instid0(VALU_DEP_4)
	v_pk_fma_f32 v[6:7], v[26:27], v[22:23], v[6:7] op_sel_hi:[1,0,1]
	v_and_b32_e32 v13, 0xffff0000, v19
	v_lshlrev_b32_e32 v12, 16, v19
	v_and_b32_e32 v20, 0xffff0000, v23
	v_pk_fma_f32 v[8:9], v[14:15], v[18:19], v[8:9] op_sel_hi:[1,0,1]
	v_pk_fma_f32 v[6:7], v[28:29], v[18:19], v[6:7] op_sel_hi:[1,0,1]
	s_delay_alu instid0(VALU_DEP_2) | instskip(NEXT) | instid1(VALU_DEP_2)
	v_pk_fma_f32 v[8:9], v[16:17], v[20:21], v[8:9] op_sel_hi:[1,0,1]
	v_pk_fma_f32 v[6:7], v[12:13], v[20:21], v[6:7] op_sel_hi:[1,0,1]
	s_and_not1_b32 exec_lo, exec_lo, s6
	s_cbranch_execnz .LBB108_29
; %bb.30:
	s_or_b32 exec_lo, exec_lo, s6
.LBB108_31:
	s_delay_alu instid0(SALU_CYCLE_1) | instskip(NEXT) | instid1(SALU_CYCLE_1)
	s_or_b32 exec_lo, exec_lo, s2
	s_mov_b32 s2, exec_lo
	v_cmpx_lt_u32_e32 0x5f, v10
	s_cbranch_execz .LBB108_35
; %bb.32:
	s_mov_b32 s6, 0
.LBB108_33:                             ; =>This Inner Loop Header: Depth=1
	s_clause 0x4
	global_load_b128 v[10:13], v[4:5], off
	global_load_b128 v[14:17], v[4:5], off offset:16
	global_load_b128 v[18:21], v[4:5], off offset:1024
	;; [unrolled: 1-line block ×4, first 2 shown]
	s_clause 0x2
	global_load_b32 v56, v0, s[8:9] scale_offset
	global_load_b32 v57, v0, s[8:9] offset:128 scale_offset
	global_load_b32 v58, v0, s[8:9] offset:256 scale_offset
	global_load_b128 v[30:33], v[4:5], off offset:2064
	s_wait_loadcnt 0x8
	v_and_b32_e32 v35, 0xffff0000, v10
	v_dual_lshlrev_b32 v34, 16, v10 :: v_dual_lshlrev_b32 v36, 16, v11
	v_and_b32_e32 v37, 0xffff0000, v11
	v_and_b32_e32 v11, 0xffff0000, v12
	v_dual_lshlrev_b32 v10, 16, v12 :: v_dual_lshlrev_b32 v38, 16, v13
	v_and_b32_e32 v39, 0xffff0000, v13
	s_wait_loadcnt 0x7
	v_and_b32_e32 v13, 0xffff0000, v14
	v_dual_lshlrev_b32 v12, 16, v14 :: v_dual_lshlrev_b32 v40, 16, v15
	v_and_b32_e32 v41, 0xffff0000, v15
	v_and_b32_e32 v15, 0xffff0000, v16
	v_dual_lshlrev_b32 v14, 16, v16 :: v_dual_lshlrev_b32 v42, 16, v17
	v_and_b32_e32 v43, 0xffff0000, v17
	;; [unrolled: 7-line block ×4, first 2 shown]
	s_wait_loadcnt 0x4
	v_and_b32_e32 v25, 0xffff0000, v26
	v_dual_lshlrev_b32 v24, 16, v26 :: v_dual_lshlrev_b32 v52, 16, v27
	v_and_b32_e32 v53, 0xffff0000, v27
	v_and_b32_e32 v27, 0xffff0000, v28
	v_dual_lshlrev_b32 v26, 16, v28 :: v_dual_lshlrev_b32 v54, 16, v29
	global_load_b32 v28, v0, s[8:9] offset:384 scale_offset
	v_and_b32_e32 v55, 0xffff0000, v29
	s_wait_loadcnt 0x4
	v_subrev_nc_u32_e32 v29, s16, v56
	s_wait_loadcnt 0x3
	v_subrev_nc_u32_e32 v56, s16, v57
	;; [unrolled: 2-line block ×3, first 2 shown]
	s_wait_xcnt 0x0
	v_add_nc_u32_e32 v0, 0x80, v0
	s_delay_alu instid0(VALU_DEP_2) | instskip(NEXT) | instid1(VALU_DEP_2)
	v_dual_lshlrev_b32 v56, 2, v56 :: v_dual_lshlrev_b32 v58, 2, v57
	v_cmp_ge_i32_e32 vcc_lo, v0, v1
	s_delay_alu instid0(VALU_DEP_2) | instskip(SKIP_2) | instid1(VALU_DEP_1)
	v_dual_ashrrev_i32 v57, 31, v56 :: v_dual_ashrrev_i32 v59, 31, v58
	s_or_b32 s6, vcc_lo, s6
	s_wait_kmcnt 0x0
	v_lshl_add_u64 v[56:57], v[56:57], 1, s[4:5]
	s_delay_alu instid0(VALU_DEP_2) | instskip(SKIP_3) | instid1(VALU_DEP_1)
	v_lshl_add_u64 v[58:59], v[58:59], 1, s[4:5]
	s_wait_loadcnt 0x0
	v_subrev_nc_u32_e32 v60, s16, v28
	v_lshlrev_b32_e32 v28, 2, v29
	v_ashrrev_i32_e32 v29, 31, v28
	s_delay_alu instid0(VALU_DEP_1) | instskip(SKIP_2) | instid1(VALU_DEP_1)
	v_lshl_add_u64 v[28:29], v[28:29], 1, s[4:5]
	global_load_b64 v[28:29], v[28:29], off
	v_lshlrev_b32_e32 v60, 2, v60
	v_ashrrev_i32_e32 v61, 31, v60
	s_delay_alu instid0(VALU_DEP_1)
	v_lshl_add_u64 v[60:61], v[60:61], 1, s[4:5]
	s_clause 0x2
	global_load_b64 v[62:63], v[56:57], off
	global_load_b64 v[64:65], v[58:59], off
	global_load_b64 v[66:67], v[60:61], off
	s_wait_loadcnt 0x3
	s_wait_xcnt 0x2
	v_lshlrev_b32_e32 v56, 16, v28
	v_and_b32_e32 v28, 0xffff0000, v28
	s_delay_alu instid0(VALU_DEP_2) | instskip(SKIP_1) | instid1(VALU_DEP_2)
	v_pk_fma_f32 v[8:9], v[34:35], v[56:57], v[8:9] op_sel_hi:[1,0,1]
	v_pk_fma_f32 v[6:7], v[36:37], v[56:57], v[6:7] op_sel_hi:[1,0,1]
	;; [unrolled: 1-line block ×3, first 2 shown]
	s_delay_alu instid0(VALU_DEP_2)
	v_pk_fma_f32 v[34:35], v[38:39], v[28:29], v[6:7] op_sel_hi:[1,0,1]
	global_load_b128 v[6:9], v[4:5], off offset:3072
	v_lshlrev_b32_e32 v28, 16, v29
	v_and_b32_e32 v39, 0xffff0000, v30
	v_lshlrev_b32_e32 v38, 16, v30
	s_wait_loadcnt 0x3
	v_lshlrev_b32_e32 v30, 16, v62
	v_pk_fma_f32 v[36:37], v[12:13], v[28:29], v[10:11] op_sel_hi:[1,0,1]
	global_load_b128 v[10:13], v[4:5], off offset:3088
	v_pk_fma_f32 v[34:35], v[40:41], v[28:29], v[34:35] op_sel_hi:[1,0,1]
	v_and_b32_e32 v28, 0xffff0000, v29
	s_wait_xcnt 0x0
	v_add_nc_u64_e32 v[4:5], 0x1000, v[4:5]
	s_delay_alu instid0(VALU_DEP_2)
	v_pk_fma_f32 v[14:15], v[14:15], v[28:29], v[36:37] op_sel_hi:[1,0,1]
	v_pk_fma_f32 v[28:29], v[42:43], v[28:29], v[34:35] op_sel_hi:[1,0,1]
	v_and_b32_e32 v36, 0xffff0000, v62
	v_lshlrev_b32_e32 v34, 16, v31
	v_and_b32_e32 v35, 0xffff0000, v31
	v_pk_fma_f32 v[14:15], v[16:17], v[30:31], v[14:15] op_sel_hi:[1,0,1]
	v_pk_fma_f32 v[16:17], v[44:45], v[30:31], v[28:29] op_sel_hi:[1,0,1]
	v_lshlrev_b32_e32 v30, 16, v63
	v_and_b32_e32 v29, 0xffff0000, v32
	v_lshlrev_b32_e32 v28, 16, v32
	v_pk_fma_f32 v[14:15], v[18:19], v[36:37], v[14:15] op_sel_hi:[1,0,1]
	v_pk_fma_f32 v[16:17], v[46:47], v[36:37], v[16:17] op_sel_hi:[1,0,1]
	v_lshlrev_b32_e32 v18, 16, v33
	v_and_b32_e32 v32, 0xffff0000, v63
	v_and_b32_e32 v19, 0xffff0000, v33
	v_pk_fma_f32 v[14:15], v[20:21], v[30:31], v[14:15] op_sel_hi:[1,0,1]
	v_pk_fma_f32 v[16:17], v[48:49], v[30:31], v[16:17] op_sel_hi:[1,0,1]
	s_wait_loadcnt 0x3
	v_and_b32_e32 v30, 0xffff0000, v64
	s_delay_alu instid0(VALU_DEP_3) | instskip(NEXT) | instid1(VALU_DEP_3)
	v_pk_fma_f32 v[14:15], v[22:23], v[32:33], v[14:15] op_sel_hi:[1,0,1]
	v_pk_fma_f32 v[16:17], v[50:51], v[32:33], v[16:17] op_sel_hi:[1,0,1]
	s_wait_loadcnt 0x1
	v_and_b32_e32 v21, 0xffff0000, v6
	v_dual_lshlrev_b32 v20, 16, v6 :: v_dual_lshlrev_b32 v6, 16, v64
	v_and_b32_e32 v23, 0xffff0000, v7
	v_lshlrev_b32_e32 v22, 16, v7
	s_delay_alu instid0(VALU_DEP_3) | instskip(SKIP_3) | instid1(VALU_DEP_4)
	v_pk_fma_f32 v[14:15], v[24:25], v[6:7], v[14:15] op_sel_hi:[1,0,1]
	v_pk_fma_f32 v[6:7], v[52:53], v[6:7], v[16:17] op_sel_hi:[1,0,1]
	v_and_b32_e32 v17, 0xffff0000, v8
	v_dual_lshlrev_b32 v16, 16, v8 :: v_dual_lshlrev_b32 v8, 16, v65
	v_pk_fma_f32 v[14:15], v[26:27], v[30:31], v[14:15] op_sel_hi:[1,0,1]
	s_delay_alu instid0(VALU_DEP_4)
	v_pk_fma_f32 v[6:7], v[54:55], v[30:31], v[6:7] op_sel_hi:[1,0,1]
	v_and_b32_e32 v26, 0xffff0000, v65
	v_and_b32_e32 v25, 0xffff0000, v9
	v_lshlrev_b32_e32 v24, 16, v9
	v_pk_fma_f32 v[14:15], v[38:39], v[8:9], v[14:15] op_sel_hi:[1,0,1]
	v_pk_fma_f32 v[6:7], v[34:35], v[8:9], v[6:7] op_sel_hi:[1,0,1]
	s_wait_loadcnt 0x0
	v_and_b32_e32 v9, 0xffff0000, v10
	v_lshlrev_b32_e32 v8, 16, v10
	v_lshlrev_b32_e32 v10, 16, v66
	v_pk_fma_f32 v[14:15], v[28:29], v[26:27], v[14:15] op_sel_hi:[1,0,1]
	v_pk_fma_f32 v[6:7], v[18:19], v[26:27], v[6:7] op_sel_hi:[1,0,1]
	v_and_b32_e32 v26, 0xffff0000, v66
	v_and_b32_e32 v19, 0xffff0000, v11
	v_lshlrev_b32_e32 v18, 16, v11
	v_pk_fma_f32 v[14:15], v[20:21], v[10:11], v[14:15] op_sel_hi:[1,0,1]
	v_pk_fma_f32 v[6:7], v[22:23], v[10:11], v[6:7] op_sel_hi:[1,0,1]
	v_and_b32_e32 v11, 0xffff0000, v12
	v_dual_lshlrev_b32 v10, 16, v12 :: v_dual_lshlrev_b32 v12, 16, v67
	s_delay_alu instid0(VALU_DEP_4) | instskip(NEXT) | instid1(VALU_DEP_4)
	v_pk_fma_f32 v[14:15], v[16:17], v[26:27], v[14:15] op_sel_hi:[1,0,1]
	v_pk_fma_f32 v[6:7], v[24:25], v[26:27], v[6:7] op_sel_hi:[1,0,1]
	v_and_b32_e32 v17, 0xffff0000, v13
	v_lshlrev_b32_e32 v16, 16, v13
	v_and_b32_e32 v20, 0xffff0000, v67
	v_pk_fma_f32 v[8:9], v[8:9], v[12:13], v[14:15] op_sel_hi:[1,0,1]
	v_pk_fma_f32 v[6:7], v[18:19], v[12:13], v[6:7] op_sel_hi:[1,0,1]
	s_delay_alu instid0(VALU_DEP_2) | instskip(NEXT) | instid1(VALU_DEP_2)
	v_pk_fma_f32 v[8:9], v[10:11], v[20:21], v[8:9] op_sel_hi:[1,0,1]
	v_pk_fma_f32 v[6:7], v[16:17], v[20:21], v[6:7] op_sel_hi:[1,0,1]
	s_and_not1_b32 exec_lo, exec_lo, s6
	s_cbranch_execnz .LBB108_33
; %bb.34:
	s_or_b32 exec_lo, exec_lo, s6
.LBB108_35:
	s_delay_alu instid0(SALU_CYCLE_1)
	s_or_b32 exec_lo, exec_lo, s2
.LBB108_36:
	s_delay_alu instid0(SALU_CYCLE_1)
	s_or_b32 exec_lo, exec_lo, s3
.LBB108_37:
	v_mbcnt_lo_u32_b32 v10, -1, 0
	s_mov_b32 s2, -1
	s_delay_alu instid0(VALU_DEP_1) | instskip(SKIP_1) | instid1(VALU_DEP_1)
	v_xor_b32_e32 v11, 8, v10
	v_xor_b32_e32 v0, 16, v10
	v_cmp_gt_i32_e32 vcc_lo, 32, v0
	v_cndmask_b32_e32 v0, v10, v0, vcc_lo
	s_delay_alu instid0(VALU_DEP_4) | instskip(SKIP_1) | instid1(VALU_DEP_1)
	v_cmp_gt_i32_e32 vcc_lo, 32, v11
	v_cndmask_b32_e32 v11, v10, v11, vcc_lo
	v_dual_lshlrev_b32 v11, 2, v11 :: v_dual_lshlrev_b32 v5, 2, v0
	ds_bpermute_b32 v0, v5, v8
	ds_bpermute_b32 v1, v5, v9
	;; [unrolled: 1-line block ×4, first 2 shown]
	s_wait_dscnt 0x2
	v_pk_add_f32 v[0:1], v[8:9], v[0:1]
	s_wait_dscnt 0x0
	v_pk_add_f32 v[4:5], v[6:7], v[4:5]
	ds_bpermute_b32 v6, v11, v0
	ds_bpermute_b32 v7, v11, v1
	;; [unrolled: 1-line block ×4, first 2 shown]
	v_xor_b32_e32 v11, 4, v10
	s_delay_alu instid0(VALU_DEP_1) | instskip(SKIP_1) | instid1(VALU_DEP_1)
	v_cmp_gt_i32_e32 vcc_lo, 32, v11
	v_cndmask_b32_e32 v11, v10, v11, vcc_lo
	v_lshlrev_b32_e32 v11, 2, v11
	s_wait_dscnt 0x2
	v_pk_add_f32 v[0:1], v[0:1], v[6:7]
	s_wait_dscnt 0x0
	v_pk_add_f32 v[4:5], v[4:5], v[8:9]
	ds_bpermute_b32 v6, v11, v0
	ds_bpermute_b32 v7, v11, v1
	;; [unrolled: 1-line block ×4, first 2 shown]
	v_xor_b32_e32 v11, 2, v10
	s_delay_alu instid0(VALU_DEP_1) | instskip(SKIP_1) | instid1(VALU_DEP_1)
	v_cmp_gt_i32_e32 vcc_lo, 32, v11
	v_cndmask_b32_e32 v11, v10, v11, vcc_lo
	v_lshlrev_b32_e32 v11, 2, v11
	s_wait_dscnt 0x2
	v_pk_add_f32 v[0:1], v[0:1], v[6:7]
	s_wait_dscnt 0x0
	v_pk_add_f32 v[4:5], v[4:5], v[8:9]
	ds_bpermute_b32 v6, v11, v0
	ds_bpermute_b32 v7, v11, v1
	;; [unrolled: 1-line block ×4, first 2 shown]
	v_xor_b32_e32 v11, 1, v10
	s_delay_alu instid0(VALU_DEP_1) | instskip(SKIP_2) | instid1(VALU_DEP_2)
	v_cmp_gt_i32_e32 vcc_lo, 32, v11
	v_cndmask_b32_e32 v10, v10, v11, vcc_lo
	v_cmp_eq_u32_e32 vcc_lo, 31, v3
	v_lshlrev_b32_e32 v10, 2, v10
	s_wait_dscnt 0x2
	v_pk_add_f32 v[0:1], v[0:1], v[6:7]
	s_wait_dscnt 0x0
	v_pk_add_f32 v[6:7], v[4:5], v[8:9]
	ds_bpermute_b32 v4, v10, v0
	ds_bpermute_b32 v5, v10, v1
	;; [unrolled: 1-line block ×4, first 2 shown]
	s_and_b32 exec_lo, exec_lo, vcc_lo
	s_cbranch_execz .LBB108_10
; %bb.38:
	s_load_b64 s[0:1], s[0:1], 0x50
	s_wait_dscnt 0x2
	v_pk_add_f32 v[4:5], v[0:1], v[4:5]
	s_wait_dscnt 0x0
	v_pk_add_f32 v[0:1], v[6:7], v[8:9]
	v_lshlrev_b32_e32 v2, 2, v2
	s_cmp_eq_f32 s14, 0
	s_cbranch_scc0 .LBB108_40
; %bb.39:
	s_delay_alu instid0(VALU_DEP_1)
	v_ashrrev_i32_e32 v3, 31, v2
	v_pk_mul_f32 v[6:7], s[12:13], v[4:5] op_sel_hi:[0,1]
	v_pk_mul_f32 v[8:9], s[12:13], v[0:1] op_sel_hi:[0,1]
	s_mov_b32 s2, 0
	s_wait_kmcnt 0x0
	v_lshl_add_u64 v[10:11], v[2:3], 2, s[0:1]
	global_store_b128 v[10:11], v[6:9], off
.LBB108_40:
	s_and_not1_b32 vcc_lo, exec_lo, s2
	s_cbranch_vccnz .LBB108_10
; %bb.41:
	v_ashrrev_i32_e32 v3, 31, v2
	s_wait_kmcnt 0x0
	s_delay_alu instid0(VALU_DEP_1)
	v_lshl_add_u64 v[10:11], v[2:3], 2, s[0:1]
	v_pk_mul_f32 v[2:3], s[12:13], v[4:5] op_sel_hi:[0,1]
	v_pk_mul_f32 v[4:5], s[12:13], v[0:1] op_sel_hi:[0,1]
	global_load_b128 v[6:9], v[10:11], off
	s_wait_loadcnt 0x0
	v_pk_fma_f32 v[0:1], s[14:15], v[6:7], v[2:3] op_sel_hi:[0,1,1]
	v_pk_fma_f32 v[2:3], s[14:15], v[8:9], v[4:5] op_sel_hi:[0,1,1]
	global_store_b128 v[10:11], v[0:3], off
	s_sendmsg sendmsg(MSG_DEALLOC_VGPRS)
	s_endpgm
	.section	.rodata,"a",@progbits
	.p2align	6, 0x0
	.amdhsa_kernel _ZN9rocsparseL18bsrxmvn_4x4_kernelILj128ELj32Efii18rocsparse_bfloat16S1_fEEvT3_20rocsparse_direction_NS_24const_host_device_scalarIT1_EES2_PKS2_PKT2_SB_S8_PKT4_PKT5_S6_PT6_21rocsparse_index_base_b
		.amdhsa_group_segment_fixed_size 0
		.amdhsa_private_segment_fixed_size 0
		.amdhsa_kernarg_size 96
		.amdhsa_user_sgpr_count 2
		.amdhsa_user_sgpr_dispatch_ptr 0
		.amdhsa_user_sgpr_queue_ptr 0
		.amdhsa_user_sgpr_kernarg_segment_ptr 1
		.amdhsa_user_sgpr_dispatch_id 0
		.amdhsa_user_sgpr_kernarg_preload_length 0
		.amdhsa_user_sgpr_kernarg_preload_offset 0
		.amdhsa_user_sgpr_private_segment_size 0
		.amdhsa_wavefront_size32 1
		.amdhsa_uses_dynamic_stack 0
		.amdhsa_enable_private_segment 0
		.amdhsa_system_sgpr_workgroup_id_x 1
		.amdhsa_system_sgpr_workgroup_id_y 0
		.amdhsa_system_sgpr_workgroup_id_z 0
		.amdhsa_system_sgpr_workgroup_info 0
		.amdhsa_system_vgpr_workitem_id 0
		.amdhsa_next_free_vgpr 76
		.amdhsa_next_free_sgpr 18
		.amdhsa_named_barrier_count 0
		.amdhsa_reserve_vcc 1
		.amdhsa_float_round_mode_32 0
		.amdhsa_float_round_mode_16_64 0
		.amdhsa_float_denorm_mode_32 3
		.amdhsa_float_denorm_mode_16_64 3
		.amdhsa_fp16_overflow 0
		.amdhsa_memory_ordered 1
		.amdhsa_forward_progress 1
		.amdhsa_inst_pref_size 37
		.amdhsa_round_robin_scheduling 0
		.amdhsa_exception_fp_ieee_invalid_op 0
		.amdhsa_exception_fp_denorm_src 0
		.amdhsa_exception_fp_ieee_div_zero 0
		.amdhsa_exception_fp_ieee_overflow 0
		.amdhsa_exception_fp_ieee_underflow 0
		.amdhsa_exception_fp_ieee_inexact 0
		.amdhsa_exception_int_div_zero 0
	.end_amdhsa_kernel
	.section	.text._ZN9rocsparseL18bsrxmvn_4x4_kernelILj128ELj32Efii18rocsparse_bfloat16S1_fEEvT3_20rocsparse_direction_NS_24const_host_device_scalarIT1_EES2_PKS2_PKT2_SB_S8_PKT4_PKT5_S6_PT6_21rocsparse_index_base_b,"axG",@progbits,_ZN9rocsparseL18bsrxmvn_4x4_kernelILj128ELj32Efii18rocsparse_bfloat16S1_fEEvT3_20rocsparse_direction_NS_24const_host_device_scalarIT1_EES2_PKS2_PKT2_SB_S8_PKT4_PKT5_S6_PT6_21rocsparse_index_base_b,comdat
.Lfunc_end108:
	.size	_ZN9rocsparseL18bsrxmvn_4x4_kernelILj128ELj32Efii18rocsparse_bfloat16S1_fEEvT3_20rocsparse_direction_NS_24const_host_device_scalarIT1_EES2_PKS2_PKT2_SB_S8_PKT4_PKT5_S6_PT6_21rocsparse_index_base_b, .Lfunc_end108-_ZN9rocsparseL18bsrxmvn_4x4_kernelILj128ELj32Efii18rocsparse_bfloat16S1_fEEvT3_20rocsparse_direction_NS_24const_host_device_scalarIT1_EES2_PKS2_PKT2_SB_S8_PKT4_PKT5_S6_PT6_21rocsparse_index_base_b
                                        ; -- End function
	.set _ZN9rocsparseL18bsrxmvn_4x4_kernelILj128ELj32Efii18rocsparse_bfloat16S1_fEEvT3_20rocsparse_direction_NS_24const_host_device_scalarIT1_EES2_PKS2_PKT2_SB_S8_PKT4_PKT5_S6_PT6_21rocsparse_index_base_b.num_vgpr, 76
	.set _ZN9rocsparseL18bsrxmvn_4x4_kernelILj128ELj32Efii18rocsparse_bfloat16S1_fEEvT3_20rocsparse_direction_NS_24const_host_device_scalarIT1_EES2_PKS2_PKT2_SB_S8_PKT4_PKT5_S6_PT6_21rocsparse_index_base_b.num_agpr, 0
	.set _ZN9rocsparseL18bsrxmvn_4x4_kernelILj128ELj32Efii18rocsparse_bfloat16S1_fEEvT3_20rocsparse_direction_NS_24const_host_device_scalarIT1_EES2_PKS2_PKT2_SB_S8_PKT4_PKT5_S6_PT6_21rocsparse_index_base_b.numbered_sgpr, 18
	.set _ZN9rocsparseL18bsrxmvn_4x4_kernelILj128ELj32Efii18rocsparse_bfloat16S1_fEEvT3_20rocsparse_direction_NS_24const_host_device_scalarIT1_EES2_PKS2_PKT2_SB_S8_PKT4_PKT5_S6_PT6_21rocsparse_index_base_b.num_named_barrier, 0
	.set _ZN9rocsparseL18bsrxmvn_4x4_kernelILj128ELj32Efii18rocsparse_bfloat16S1_fEEvT3_20rocsparse_direction_NS_24const_host_device_scalarIT1_EES2_PKS2_PKT2_SB_S8_PKT4_PKT5_S6_PT6_21rocsparse_index_base_b.private_seg_size, 0
	.set _ZN9rocsparseL18bsrxmvn_4x4_kernelILj128ELj32Efii18rocsparse_bfloat16S1_fEEvT3_20rocsparse_direction_NS_24const_host_device_scalarIT1_EES2_PKS2_PKT2_SB_S8_PKT4_PKT5_S6_PT6_21rocsparse_index_base_b.uses_vcc, 1
	.set _ZN9rocsparseL18bsrxmvn_4x4_kernelILj128ELj32Efii18rocsparse_bfloat16S1_fEEvT3_20rocsparse_direction_NS_24const_host_device_scalarIT1_EES2_PKS2_PKT2_SB_S8_PKT4_PKT5_S6_PT6_21rocsparse_index_base_b.uses_flat_scratch, 0
	.set _ZN9rocsparseL18bsrxmvn_4x4_kernelILj128ELj32Efii18rocsparse_bfloat16S1_fEEvT3_20rocsparse_direction_NS_24const_host_device_scalarIT1_EES2_PKS2_PKT2_SB_S8_PKT4_PKT5_S6_PT6_21rocsparse_index_base_b.has_dyn_sized_stack, 0
	.set _ZN9rocsparseL18bsrxmvn_4x4_kernelILj128ELj32Efii18rocsparse_bfloat16S1_fEEvT3_20rocsparse_direction_NS_24const_host_device_scalarIT1_EES2_PKS2_PKT2_SB_S8_PKT4_PKT5_S6_PT6_21rocsparse_index_base_b.has_recursion, 0
	.set _ZN9rocsparseL18bsrxmvn_4x4_kernelILj128ELj32Efii18rocsparse_bfloat16S1_fEEvT3_20rocsparse_direction_NS_24const_host_device_scalarIT1_EES2_PKS2_PKT2_SB_S8_PKT4_PKT5_S6_PT6_21rocsparse_index_base_b.has_indirect_call, 0
	.section	.AMDGPU.csdata,"",@progbits
; Kernel info:
; codeLenInByte = 4652
; TotalNumSgprs: 20
; NumVgprs: 76
; ScratchSize: 0
; MemoryBound: 0
; FloatMode: 240
; IeeeMode: 1
; LDSByteSize: 0 bytes/workgroup (compile time only)
; SGPRBlocks: 0
; VGPRBlocks: 4
; NumSGPRsForWavesPerEU: 20
; NumVGPRsForWavesPerEU: 76
; NamedBarCnt: 0
; Occupancy: 12
; WaveLimiterHint : 1
; COMPUTE_PGM_RSRC2:SCRATCH_EN: 0
; COMPUTE_PGM_RSRC2:USER_SGPR: 2
; COMPUTE_PGM_RSRC2:TRAP_HANDLER: 0
; COMPUTE_PGM_RSRC2:TGID_X_EN: 1
; COMPUTE_PGM_RSRC2:TGID_Y_EN: 0
; COMPUTE_PGM_RSRC2:TGID_Z_EN: 0
; COMPUTE_PGM_RSRC2:TIDIG_COMP_CNT: 0
	.section	.text._ZN9rocsparseL18bsrxmvn_4x4_kernelILj128ELj64Efii18rocsparse_bfloat16S1_fEEvT3_20rocsparse_direction_NS_24const_host_device_scalarIT1_EES2_PKS2_PKT2_SB_S8_PKT4_PKT5_S6_PT6_21rocsparse_index_base_b,"axG",@progbits,_ZN9rocsparseL18bsrxmvn_4x4_kernelILj128ELj64Efii18rocsparse_bfloat16S1_fEEvT3_20rocsparse_direction_NS_24const_host_device_scalarIT1_EES2_PKS2_PKT2_SB_S8_PKT4_PKT5_S6_PT6_21rocsparse_index_base_b,comdat
	.globl	_ZN9rocsparseL18bsrxmvn_4x4_kernelILj128ELj64Efii18rocsparse_bfloat16S1_fEEvT3_20rocsparse_direction_NS_24const_host_device_scalarIT1_EES2_PKS2_PKT2_SB_S8_PKT4_PKT5_S6_PT6_21rocsparse_index_base_b ; -- Begin function _ZN9rocsparseL18bsrxmvn_4x4_kernelILj128ELj64Efii18rocsparse_bfloat16S1_fEEvT3_20rocsparse_direction_NS_24const_host_device_scalarIT1_EES2_PKS2_PKT2_SB_S8_PKT4_PKT5_S6_PT6_21rocsparse_index_base_b
	.p2align	8
	.type	_ZN9rocsparseL18bsrxmvn_4x4_kernelILj128ELj64Efii18rocsparse_bfloat16S1_fEEvT3_20rocsparse_direction_NS_24const_host_device_scalarIT1_EES2_PKS2_PKT2_SB_S8_PKT4_PKT5_S6_PT6_21rocsparse_index_base_b,@function
_ZN9rocsparseL18bsrxmvn_4x4_kernelILj128ELj64Efii18rocsparse_bfloat16S1_fEEvT3_20rocsparse_direction_NS_24const_host_device_scalarIT1_EES2_PKS2_PKT2_SB_S8_PKT4_PKT5_S6_PT6_21rocsparse_index_base_b: ; @_ZN9rocsparseL18bsrxmvn_4x4_kernelILj128ELj64Efii18rocsparse_bfloat16S1_fEEvT3_20rocsparse_direction_NS_24const_host_device_scalarIT1_EES2_PKS2_PKT2_SB_S8_PKT4_PKT5_S6_PT6_21rocsparse_index_base_b
; %bb.0:
	s_clause 0x2
	s_load_b64 s[16:17], s[0:1], 0x58
	s_load_b64 s[12:13], s[0:1], 0x8
	;; [unrolled: 1-line block ×3, first 2 shown]
	s_wait_kmcnt 0x0
	s_bitcmp1_b32 s17, 0
	s_cselect_b32 s2, -1, 0
	s_delay_alu instid0(SALU_CYCLE_1)
	s_and_b32 vcc_lo, exec_lo, s2
	s_xor_b32 s2, s2, -1
	s_cbranch_vccnz .LBB109_2
; %bb.1:
	s_load_b32 s12, s[12:13], 0x0
.LBB109_2:
	s_and_not1_b32 vcc_lo, exec_lo, s2
	s_cbranch_vccnz .LBB109_4
; %bb.3:
	s_load_b32 s14, s[14:15], 0x0
.LBB109_4:
	s_wait_kmcnt 0x0
	s_cmp_neq_f32 s12, 0
	s_mov_b32 s6, 0
	s_cselect_b32 s2, -1, 0
	s_cmp_neq_f32 s14, 1.0
	s_cselect_b32 s3, -1, 0
	s_delay_alu instid0(SALU_CYCLE_1) | instskip(NEXT) | instid1(SALU_CYCLE_1)
	s_or_b32 s2, s2, s3
	s_and_not1_b32 vcc_lo, exec_lo, s2
	s_cbranch_vccnz .LBB109_10
; %bb.5:
	s_clause 0x1
	s_load_b64 s[4:5], s[0:1], 0x18
	s_load_b64 s[2:3], s[0:1], 0x0
	s_bfe_u32 s7, ttmp6, 0x4000c
	s_and_b32 s8, ttmp6, 15
	s_add_co_i32 s7, s7, 1
	s_getreg_b32 s9, hwreg(HW_REG_IB_STS2, 6, 4)
	s_mul_i32 s7, ttmp9, s7
	v_lshrrev_b32_e32 v1, 6, v0
	s_add_co_i32 s8, s8, s7
	s_cmp_eq_u32 s9, 0
	s_cselect_b32 s7, ttmp9, s8
	s_delay_alu instid0(VALU_DEP_1) | instid1(SALU_CYCLE_1)
	v_lshl_or_b32 v2, s7, 1, v1
	s_wait_kmcnt 0x0
	s_cmp_lg_u64 s[4:5], 0
	s_cbranch_scc0 .LBB109_11
; %bb.6:
	s_load_b32 s6, s[0:1], 0x10
	s_mov_b32 s7, 0
                                        ; implicit-def: $vgpr1
	s_wait_kmcnt 0x0
	v_cmp_gt_i32_e32 vcc_lo, s6, v2
	s_mov_b32 s6, 0
	s_and_saveexec_b32 s8, vcc_lo
	s_delay_alu instid0(SALU_CYCLE_1)
	s_xor_b32 s8, exec_lo, s8
	s_cbranch_execz .LBB109_8
; %bb.7:
	global_load_b32 v1, v2, s[4:5] scale_offset
	s_mov_b32 s6, exec_lo
	s_wait_loadcnt 0x0
	v_subrev_nc_u32_e32 v1, s16, v1
.LBB109_8:
	s_or_b32 exec_lo, exec_lo, s8
	s_delay_alu instid0(SALU_CYCLE_1)
	s_and_b32 vcc_lo, exec_lo, s7
	s_cbranch_vccz .LBB109_12
.LBB109_9:
	v_cmp_gt_i32_e32 vcc_lo, s2, v2
	s_and_not1_b32 s2, s6, exec_lo
	s_and_b32 s4, vcc_lo, exec_lo
	s_delay_alu instid0(SALU_CYCLE_1) | instskip(NEXT) | instid1(SALU_CYCLE_1)
	s_or_b32 s6, s2, s4
	s_and_saveexec_b32 s2, s6
	s_cbranch_execnz .LBB109_13
.LBB109_10:
	s_sendmsg sendmsg(MSG_DEALLOC_VGPRS)
	s_endpgm
.LBB109_11:
                                        ; implicit-def: $vgpr1
	s_cbranch_execnz .LBB109_9
.LBB109_12:
	s_delay_alu instid0(VALU_DEP_1)
	v_mov_b32_e32 v2, v1
	s_and_saveexec_b32 s2, s6
	s_cbranch_execz .LBB109_10
.LBB109_13:
	s_load_b256 s[4:11], s[0:1], 0x20
	s_wait_kmcnt 0x0
	s_cmp_eq_u64 s[6:7], 0
	global_load_b32 v12, v2, s[4:5] scale_offset
	s_cselect_b32 vcc_lo, -1, 0
	v_ashrrev_i32_e32 v3, 31, v2
	s_cmp_eq_u32 s3, 1
	s_delay_alu instid0(VALU_DEP_1) | instskip(SKIP_1) | instid1(VALU_DEP_2)
	v_lshlrev_b64_e32 v[4:5], 2, v[2:3]
	v_and_b32_e32 v3, 63, v0
	v_add_nc_u64_e32 v[6:7], s[4:5], v[4:5]
	v_add_nc_u64_e32 v[4:5], s[6:7], v[4:5]
	s_wait_xcnt 0x0
	s_load_b64 s[4:5], s[0:1], 0x40
	s_delay_alu instid0(VALU_DEP_2) | instskip(NEXT) | instid1(VALU_DEP_1)
	v_add_nc_u64_e32 v[6:7], 4, v[6:7]
	v_dual_cndmask_b32 v5, v5, v7 :: v_dual_cndmask_b32 v4, v4, v6
	global_load_b32 v6, v[4:5], off
	s_wait_loadcnt 0x1
	v_subrev_nc_u32_e32 v0, s16, v12
	s_delay_alu instid0(VALU_DEP_1) | instskip(NEXT) | instid1(VALU_DEP_1)
	v_add_nc_u32_e32 v0, v0, v3
	v_ashrrev_i32_e32 v1, 31, v0
	s_wait_xcnt 0x0
	s_delay_alu instid0(VALU_DEP_1) | instskip(NEXT) | instid1(VALU_DEP_1)
	v_lshlrev_b64_e32 v[4:5], 5, v[0:1]
	v_add_nc_u64_e32 v[4:5], s[10:11], v[4:5]
	s_wait_loadcnt 0x0
	v_subrev_nc_u32_e32 v1, s16, v6
	s_delay_alu instid0(VALU_DEP_1)
	v_cmp_lt_i32_e64 s2, v0, v1
	s_cbranch_scc1 .LBB109_25
; %bb.14:
	v_dual_mov_b32 v7, 0 :: v_dual_mov_b32 v6, 0
	v_dual_mov_b32 v9, 0 :: v_dual_mov_b32 v8, 0
	s_and_saveexec_b32 s3, s2
	s_cbranch_execz .LBB109_24
; %bb.15:
	v_add_nc_u32_e32 v6, v12, v3
	v_not_b32_e32 v7, v12
	v_mov_b64_e32 v[8:9], 0
	v_mov_b32_e32 v13, v0
	s_delay_alu instid0(VALU_DEP_4) | instskip(NEXT) | instid1(VALU_DEP_1)
	v_subrev_nc_u32_e32 v6, s16, v6
	v_add_max_i32_e64 v6, v6, 64, v1
	s_delay_alu instid0(VALU_DEP_1) | instskip(NEXT) | instid1(VALU_DEP_1)
	v_add3_u32 v6, s16, v6, v7
	v_sub_nc_u32_e32 v14, v6, v3
	v_mov_b64_e32 v[6:7], 0
	s_delay_alu instid0(VALU_DEP_2) | instskip(NEXT) | instid1(VALU_DEP_1)
	v_and_b32_e32 v10, 0xc0, v14
	v_cmp_ne_u32_e32 vcc_lo, 0xc0, v10
	v_mov_b64_e32 v[10:11], v[4:5]
	s_and_saveexec_b32 s6, vcc_lo
	s_cbranch_execz .LBB109_19
; %bb.16:
	v_lshrrev_b32_e32 v6, 6, v14
	v_mov_b64_e32 v[10:11], v[4:5]
	s_mov_b32 s7, 0
	s_delay_alu instid0(VALU_DEP_2) | instskip(NEXT) | instid1(VALU_DEP_1)
	v_dual_mov_b32 v6, 0 :: v_dual_add_nc_u32 v7, 1, v6
	v_dual_mov_b32 v13, v0 :: v_dual_bitop2_b32 v9, 3, v7 bitop3:0x40
	s_delay_alu instid0(VALU_DEP_2) | instskip(NEXT) | instid1(VALU_DEP_2)
	v_dual_mov_b32 v7, v6 :: v_dual_mov_b32 v8, v6
	v_dual_sub_nc_u32 v15, 0, v9 :: v_dual_mov_b32 v9, v6
.LBB109_17:                             ; =>This Inner Loop Header: Depth=1
	global_load_b32 v16, v13, s[8:9] scale_offset
	s_wait_xcnt 0x0
	v_add_nc_u32_e32 v13, 64, v13
	v_add_co_u32 v15, s10, v15, 1
	s_or_b32 s7, s10, s7
	s_wait_loadcnt 0x0
	v_subrev_nc_u32_e32 v16, s16, v16
	s_delay_alu instid0(VALU_DEP_1) | instskip(NEXT) | instid1(VALU_DEP_1)
	v_lshlrev_b32_e32 v16, 2, v16
	v_ashrrev_i32_e32 v17, 31, v16
	s_wait_kmcnt 0x0
	s_delay_alu instid0(VALU_DEP_1)
	v_lshl_add_u64 v[24:25], v[16:17], 1, s[4:5]
	s_clause 0x1
	global_load_b128 v[16:19], v[10:11], off
	global_load_b128 v[20:23], v[10:11], off offset:16
	global_load_b64 v[26:27], v[24:25], off
	s_wait_xcnt 0x1
	v_add_nc_u64_e32 v[10:11], 0x800, v[10:11]
	s_wait_loadcnt 0x2
	s_wait_xcnt 0x0
	v_and_b32_e32 v24, 0xffff0000, v17
	v_dual_lshlrev_b32 v29, 16, v18 :: v_dual_lshlrev_b32 v28, 16, v16
	v_and_b32_e32 v31, 0xffff0000, v18
	v_and_b32_e32 v30, 0xffff0000, v16
	v_dual_lshlrev_b32 v33, 16, v19 :: v_dual_lshlrev_b32 v32, 16, v17
	s_wait_loadcnt 0x1
	v_dual_lshlrev_b32 v17, 16, v22 :: v_dual_lshlrev_b32 v16, 16, v20
	s_wait_loadcnt 0x0
	v_lshlrev_b32_e32 v18, 16, v26
	v_and_b32_e32 v35, 0xffff0000, v22
	v_and_b32_e32 v34, 0xffff0000, v20
	v_and_b32_e32 v20, 0xffff0000, v26
	v_and_b32_e32 v25, 0xffff0000, v19
	v_pk_fma_f32 v[6:7], v[16:17], v[18:19], v[6:7] op_sel_hi:[1,0,1]
	v_lshlrev_b32_e32 v17, 16, v23
	v_pk_fma_f32 v[8:9], v[28:29], v[18:19], v[8:9] op_sel_hi:[1,0,1]
	v_dual_lshlrev_b32 v16, 16, v21 :: v_dual_lshlrev_b32 v18, 16, v27
	s_delay_alu instid0(VALU_DEP_4) | instskip(SKIP_1) | instid1(VALU_DEP_4)
	v_pk_fma_f32 v[6:7], v[34:35], v[20:21], v[6:7] op_sel_hi:[1,0,1]
	v_and_b32_e32 v22, 0xffff0000, v27
	v_pk_fma_f32 v[8:9], v[30:31], v[20:21], v[8:9] op_sel_hi:[1,0,1]
	v_and_b32_e32 v20, 0xffff0000, v21
	v_and_b32_e32 v21, 0xffff0000, v23
	v_pk_fma_f32 v[6:7], v[16:17], v[18:19], v[6:7] op_sel_hi:[1,0,1]
	s_delay_alu instid0(VALU_DEP_4) | instskip(NEXT) | instid1(VALU_DEP_2)
	v_pk_fma_f32 v[8:9], v[32:33], v[18:19], v[8:9] op_sel_hi:[1,0,1]
	v_pk_fma_f32 v[6:7], v[20:21], v[22:23], v[6:7] op_sel_hi:[1,0,1]
	s_delay_alu instid0(VALU_DEP_2)
	v_pk_fma_f32 v[8:9], v[24:25], v[22:23], v[8:9] op_sel_hi:[1,0,1]
	s_and_not1_b32 exec_lo, exec_lo, s7
	s_cbranch_execnz .LBB109_17
; %bb.18:
	s_or_b32 exec_lo, exec_lo, s7
.LBB109_19:
	s_delay_alu instid0(SALU_CYCLE_1) | instskip(NEXT) | instid1(SALU_CYCLE_1)
	s_or_b32 exec_lo, exec_lo, s6
	s_mov_b32 s6, exec_lo
	v_cmpx_lt_u32_e32 0xbf, v14
	s_cbranch_execz .LBB109_23
; %bb.20:
	v_add_nc_u64_e32 v[10:11], 0x181e, v[10:11]
	s_mov_b32 s7, 0
.LBB109_21:                             ; =>This Inner Loop Header: Depth=1
	s_clause 0x3
	global_load_b32 v30, v13, s[8:9] scale_offset
	global_load_b32 v31, v13, s[8:9] offset:256 scale_offset
	global_load_b32 v42, v13, s[8:9] offset:512 scale_offset
	;; [unrolled: 1-line block ×3, first 2 shown]
	s_clause 0x3
	global_load_b128 v[14:17], v[10:11], off offset:-6174
	global_load_b128 v[18:21], v[10:11], off offset:-6158
	;; [unrolled: 1-line block ×4, first 2 shown]
	s_wait_xcnt 0x4
	v_add_nc_u32_e32 v13, 0x100, v13
	s_delay_alu instid0(VALU_DEP_1)
	v_cmp_ge_i32_e32 vcc_lo, v13, v1
	s_or_b32 s7, vcc_lo, s7
	s_wait_loadcnt 0x7
	v_subrev_nc_u32_e32 v30, s16, v30
	s_wait_loadcnt 0x6
	v_subrev_nc_u32_e32 v31, s16, v31
	s_wait_loadcnt 0x3
	v_dual_lshlrev_b32 v56, 16, v14 :: v_dual_lshlrev_b32 v60, 16, v15
	s_delay_alu instid0(VALU_DEP_2)
	v_dual_lshlrev_b32 v30, 2, v30 :: v_dual_lshlrev_b32 v38, 2, v31
	v_and_b32_e32 v59, 0xffff0000, v16
	s_wait_loadcnt 0x2
	v_and_b32_e32 v62, 0xffff0000, v18
	s_wait_loadcnt 0x1
	v_dual_lshlrev_b32 v69, 16, v25 :: v_dual_lshlrev_b32 v68, 16, v23
	s_wait_loadcnt 0x0
	v_dual_ashrrev_i32 v31, 31, v30 :: v_dual_lshlrev_b32 v73, 16, v29
	v_lshlrev_b32_e32 v72, 16, v27
	v_and_b32_e32 v58, 0xffff0000, v14
	v_and_b32_e32 v63, 0xffff0000, v20
	s_wait_kmcnt 0x0
	v_lshl_add_u64 v[40:41], v[30:31], 1, s[4:5]
	v_and_b32_e32 v14, 0xffff0000, v19
	v_dual_lshlrev_b32 v65, 16, v21 :: v_dual_lshlrev_b32 v64, 16, v19
	global_load_b64 v[46:47], v[40:41], off
	s_clause 0x1
	global_load_b128 v[30:33], v[10:11], off offset:-2078
	global_load_b128 v[34:37], v[10:11], off offset:-2062
	s_wait_xcnt 0x2
	v_subrev_nc_u32_e32 v41, s16, v43
	v_ashrrev_i32_e32 v39, 31, v38
	v_subrev_nc_u32_e32 v40, s16, v42
	v_and_b32_e32 v19, 0xffff0000, v25
	s_delay_alu instid0(VALU_DEP_4) | instskip(NEXT) | instid1(VALU_DEP_4)
	v_dual_lshlrev_b32 v25, 16, v28 :: v_dual_lshlrev_b32 v42, 2, v41
	v_lshl_add_u64 v[38:39], v[38:39], 1, s[4:5]
	v_lshlrev_b32_e32 v61, 16, v17
	v_and_b32_e32 v71, 0xffff0000, v28
	v_and_b32_e32 v66, 0xffff0000, v22
	v_ashrrev_i32_e32 v43, 31, v42
	global_load_b64 v[48:49], v[38:39], off
	s_wait_xcnt 0x0
	v_lshlrev_b32_e32 v38, 2, v40
	v_lshlrev_b32_e32 v57, 16, v16
	v_and_b32_e32 v67, 0xffff0000, v24
	v_lshl_add_u64 v[52:53], v[42:43], 1, s[4:5]
	v_and_b32_e32 v70, 0xffff0000, v26
	v_ashrrev_i32_e32 v39, 31, v38
	v_lshlrev_b32_e32 v16, 16, v18
	v_and_b32_e32 v18, 0xffff0000, v23
	v_and_b32_e32 v23, 0xffff0000, v29
	s_delay_alu instid0(VALU_DEP_4)
	v_lshl_add_u64 v[44:45], v[38:39], 1, s[4:5]
	global_load_b64 v[50:51], v[44:45], off
	s_clause 0x1
	global_load_b128 v[38:41], v[10:11], off offset:-30
	global_load_b128 v[42:45], v[10:11], off offset:-14
	global_load_b64 v[54:55], v[52:53], off
	s_wait_xcnt 0x0
	v_and_b32_e32 v53, 0xffff0000, v17
	v_lshlrev_b32_e32 v17, 16, v20
	v_and_b32_e32 v52, 0xffff0000, v15
	v_and_b32_e32 v15, 0xffff0000, v21
	v_dual_lshlrev_b32 v21, 16, v24 :: v_dual_lshlrev_b32 v20, 16, v22
	v_and_b32_e32 v22, 0xffff0000, v27
	v_lshlrev_b32_e32 v24, 16, v26
	v_add_nc_u64_e32 v[10:11], 0x2000, v[10:11]
	s_wait_loadcnt 0x6
	v_dual_lshlrev_b32 v74, 16, v46 :: v_dual_lshlrev_b32 v29, 16, v32
	v_and_b32_e32 v75, 0xffff0000, v32
	v_and_b32_e32 v32, 0xffff0000, v46
	v_lshlrev_b32_e32 v28, 16, v30
	v_and_b32_e32 v27, 0xffff0000, v33
	v_and_b32_e32 v26, 0xffff0000, v31
	v_pk_fma_f32 v[8:9], v[56:57], v[74:75], v[8:9] op_sel_hi:[1,0,1]
	v_pk_fma_f32 v[6:7], v[16:17], v[74:75], v[6:7] op_sel_hi:[1,0,1]
	v_and_b32_e32 v74, 0xffff0000, v30
	v_dual_lshlrev_b32 v30, 16, v47 :: v_dual_lshlrev_b32 v17, 16, v33
	s_delay_alu instid0(VALU_DEP_4) | instskip(NEXT) | instid1(VALU_DEP_4)
	v_pk_fma_f32 v[8:9], v[58:59], v[32:33], v[8:9] op_sel_hi:[1,0,1]
	v_pk_fma_f32 v[6:7], v[62:63], v[32:33], v[6:7] op_sel_hi:[1,0,1]
	v_and_b32_e32 v32, 0xffff0000, v47
	s_wait_loadcnt 0x5
	v_dual_lshlrev_b32 v33, 16, v36 :: v_dual_lshlrev_b32 v16, 16, v31
	s_wait_loadcnt 0x4
	v_lshlrev_b32_e32 v46, 16, v48
	v_pk_fma_f32 v[8:9], v[60:61], v[30:31], v[8:9] op_sel_hi:[1,0,1]
	v_pk_fma_f32 v[6:7], v[64:65], v[30:31], v[6:7] op_sel_hi:[1,0,1]
	v_and_b32_e32 v30, 0xffff0000, v35
	v_and_b32_e32 v31, 0xffff0000, v37
	s_delay_alu instid0(VALU_DEP_4) | instskip(NEXT) | instid1(VALU_DEP_4)
	v_pk_fma_f32 v[8:9], v[52:53], v[32:33], v[8:9] op_sel_hi:[1,0,1]
	v_pk_fma_f32 v[6:7], v[14:15], v[32:33], v[6:7] op_sel_hi:[1,0,1]
	v_and_b32_e32 v15, 0xffff0000, v36
	v_and_b32_e32 v36, 0xffff0000, v48
	v_lshlrev_b32_e32 v32, 16, v34
	v_pk_fma_f32 v[8:9], v[20:21], v[46:47], v[8:9] op_sel_hi:[1,0,1]
	v_pk_fma_f32 v[6:7], v[24:25], v[46:47], v[6:7] op_sel_hi:[1,0,1]
	v_dual_lshlrev_b32 v24, 16, v49 :: v_dual_lshlrev_b32 v20, 16, v35
	v_and_b32_e32 v14, 0xffff0000, v34
	s_delay_alu instid0(VALU_DEP_4) | instskip(NEXT) | instid1(VALU_DEP_4)
	v_pk_fma_f32 v[8:9], v[66:67], v[36:37], v[8:9] op_sel_hi:[1,0,1]
	v_pk_fma_f32 v[6:7], v[70:71], v[36:37], v[6:7] op_sel_hi:[1,0,1]
	v_and_b32_e32 v34, 0xffff0000, v49
	s_wait_loadcnt 0x2
	v_dual_lshlrev_b32 v35, 16, v40 :: v_dual_lshlrev_b32 v36, 16, v50
	v_pk_fma_f32 v[8:9], v[68:69], v[24:25], v[8:9] op_sel_hi:[1,0,1]
	v_pk_fma_f32 v[6:7], v[72:73], v[24:25], v[6:7] op_sel_hi:[1,0,1]
	v_lshlrev_b32_e32 v21, 16, v37
	v_and_b32_e32 v24, 0xffff0000, v39
	v_and_b32_e32 v25, 0xffff0000, v41
	v_pk_fma_f32 v[8:9], v[18:19], v[34:35], v[8:9] op_sel_hi:[1,0,1]
	v_pk_fma_f32 v[6:7], v[22:23], v[34:35], v[6:7] op_sel_hi:[1,0,1]
	v_dual_lshlrev_b32 v34, 16, v38 :: v_dual_lshlrev_b32 v23, 16, v41
	v_and_b32_e32 v22, 0xffff0000, v50
	s_delay_alu instid0(VALU_DEP_4) | instskip(NEXT) | instid1(VALU_DEP_4)
	v_pk_fma_f32 v[8:9], v[28:29], v[36:37], v[8:9] op_sel_hi:[1,0,1]
	v_pk_fma_f32 v[6:7], v[32:33], v[36:37], v[6:7] op_sel_hi:[1,0,1]
	v_lshlrev_b32_e32 v28, 16, v51
	v_and_b32_e32 v19, 0xffff0000, v40
	v_and_b32_e32 v18, 0xffff0000, v38
	v_pk_fma_f32 v[8:9], v[74:75], v[22:23], v[8:9] op_sel_hi:[1,0,1]
	v_pk_fma_f32 v[6:7], v[14:15], v[22:23], v[6:7] op_sel_hi:[1,0,1]
	v_and_b32_e32 v14, 0xffff0000, v51
	v_lshlrev_b32_e32 v22, 16, v39
	s_delay_alu instid0(VALU_DEP_4)
	v_pk_fma_f32 v[8:9], v[16:17], v[28:29], v[8:9] op_sel_hi:[1,0,1]
	s_wait_loadcnt 0x1
	v_lshlrev_b32_e32 v17, 16, v44
	v_pk_fma_f32 v[6:7], v[20:21], v[28:29], v[6:7] op_sel_hi:[1,0,1]
	v_lshlrev_b32_e32 v16, 16, v42
	s_wait_loadcnt 0x0
	v_lshlrev_b32_e32 v20, 16, v54
	v_pk_fma_f32 v[8:9], v[26:27], v[14:15], v[8:9] op_sel_hi:[1,0,1]
	v_and_b32_e32 v26, 0xffff0000, v54
	v_pk_fma_f32 v[6:7], v[30:31], v[14:15], v[6:7] op_sel_hi:[1,0,1]
	v_and_b32_e32 v15, 0xffff0000, v44
	v_and_b32_e32 v14, 0xffff0000, v42
	s_delay_alu instid0(VALU_DEP_3)
	v_pk_fma_f32 v[6:7], v[16:17], v[20:21], v[6:7] op_sel_hi:[1,0,1]
	v_lshlrev_b32_e32 v17, 16, v45
	v_pk_fma_f32 v[8:9], v[34:35], v[20:21], v[8:9] op_sel_hi:[1,0,1]
	v_lshlrev_b32_e32 v16, 16, v43
	v_lshlrev_b32_e32 v20, 16, v55
	v_pk_fma_f32 v[6:7], v[14:15], v[26:27], v[6:7] op_sel_hi:[1,0,1]
	v_and_b32_e32 v14, 0xffff0000, v43
	v_pk_fma_f32 v[8:9], v[18:19], v[26:27], v[8:9] op_sel_hi:[1,0,1]
	v_and_b32_e32 v15, 0xffff0000, v45
	v_and_b32_e32 v18, 0xffff0000, v55
	v_pk_fma_f32 v[6:7], v[16:17], v[20:21], v[6:7] op_sel_hi:[1,0,1]
	s_delay_alu instid0(VALU_DEP_4) | instskip(NEXT) | instid1(VALU_DEP_2)
	v_pk_fma_f32 v[8:9], v[22:23], v[20:21], v[8:9] op_sel_hi:[1,0,1]
	v_pk_fma_f32 v[6:7], v[14:15], v[18:19], v[6:7] op_sel_hi:[1,0,1]
	s_delay_alu instid0(VALU_DEP_2)
	v_pk_fma_f32 v[8:9], v[24:25], v[18:19], v[8:9] op_sel_hi:[1,0,1]
	s_and_not1_b32 exec_lo, exec_lo, s7
	s_cbranch_execnz .LBB109_21
; %bb.22:
	s_or_b32 exec_lo, exec_lo, s7
.LBB109_23:
	s_delay_alu instid0(SALU_CYCLE_1)
	s_or_b32 exec_lo, exec_lo, s6
.LBB109_24:
	s_delay_alu instid0(SALU_CYCLE_1)
	s_or_b32 exec_lo, exec_lo, s3
	s_cbranch_execz .LBB109_26
	s_branch .LBB109_37
.LBB109_25:
                                        ; implicit-def: $vgpr7
                                        ; implicit-def: $vgpr9
.LBB109_26:
	v_dual_mov_b32 v7, 0 :: v_dual_mov_b32 v6, 0
	v_dual_mov_b32 v9, 0 :: v_dual_mov_b32 v8, 0
	s_and_saveexec_b32 s3, s2
	s_cbranch_execz .LBB109_36
; %bb.27:
	v_add_nc_u32_e32 v6, v12, v3
	v_not_b32_e32 v7, v12
	v_mov_b64_e32 v[8:9], 0
	s_mov_b32 s2, exec_lo
	s_delay_alu instid0(VALU_DEP_3) | instskip(NEXT) | instid1(VALU_DEP_1)
	v_subrev_nc_u32_e32 v6, s16, v6
	v_add_max_i32_e64 v6, v6, 64, v1
	s_delay_alu instid0(VALU_DEP_1) | instskip(NEXT) | instid1(VALU_DEP_1)
	v_add3_u32 v6, s16, v6, v7
	v_sub_nc_u32_e32 v10, v6, v3
	v_mov_b64_e32 v[6:7], 0
	s_delay_alu instid0(VALU_DEP_2) | instskip(NEXT) | instid1(VALU_DEP_1)
	v_and_b32_e32 v11, 0xc0, v10
	v_cmpx_ne_u32_e32 0xc0, v11
	s_cbranch_execz .LBB109_31
; %bb.28:
	v_lshrrev_b32_e32 v6, 6, v10
	s_mov_b32 s6, 0
	s_delay_alu instid0(VALU_DEP_1) | instskip(NEXT) | instid1(VALU_DEP_1)
	v_dual_mov_b32 v6, 0 :: v_dual_add_nc_u32 v7, 1, v6
	v_dual_mov_b32 v7, v6 :: v_dual_bitop2_b32 v9, 3, v7 bitop3:0x40
	s_delay_alu instid0(VALU_DEP_1)
	v_dual_mov_b32 v8, v6 :: v_dual_sub_nc_u32 v11, 0, v9
	v_mov_b32_e32 v9, v6
.LBB109_29:                             ; =>This Inner Loop Header: Depth=1
	global_load_b32 v16, v0, s[8:9] scale_offset
	global_load_b128 v[12:15], v[4:5], off
	v_add_co_u32 v11, s7, v11, 1
	s_or_b32 s6, s7, s6
	s_wait_xcnt 0x1
	v_add_nc_u32_e32 v0, 64, v0
	s_wait_loadcnt 0x1
	v_subrev_nc_u32_e32 v16, s16, v16
	s_wait_loadcnt 0x0
	v_dual_lshlrev_b32 v24, 16, v14 :: v_dual_lshlrev_b32 v26, 16, v13
	v_and_b32_e32 v25, 0xffff0000, v14
	v_and_b32_e32 v27, 0xffff0000, v13
	v_lshlrev_b32_e32 v16, 2, v16
	v_and_b32_e32 v13, 0xffff0000, v15
	s_delay_alu instid0(VALU_DEP_2) | instskip(SKIP_1) | instid1(VALU_DEP_1)
	v_ashrrev_i32_e32 v17, 31, v16
	s_wait_kmcnt 0x0
	v_lshl_add_u64 v[20:21], v[16:17], 1, s[4:5]
	global_load_b64 v[22:23], v[20:21], off
	global_load_b128 v[16:19], v[4:5], off offset:16
	s_wait_xcnt 0x1
	v_and_b32_e32 v21, 0xffff0000, v12
	v_dual_lshlrev_b32 v20, 16, v12 :: v_dual_lshlrev_b32 v12, 16, v15
	s_wait_xcnt 0x0
	v_add_nc_u64_e32 v[4:5], 0x800, v[4:5]
	s_wait_loadcnt 0x0
	v_and_b32_e32 v15, 0xffff0000, v16
	v_dual_lshlrev_b32 v14, 16, v16 :: v_dual_lshlrev_b32 v16, 16, v22
	v_and_b32_e32 v22, 0xffff0000, v22
	v_and_b32_e32 v29, 0xffff0000, v17
	v_lshlrev_b32_e32 v28, 16, v17
	s_delay_alu instid0(VALU_DEP_4) | instskip(SKIP_3) | instid1(VALU_DEP_4)
	v_pk_fma_f32 v[8:9], v[20:21], v[16:17], v[8:9] op_sel_hi:[1,0,1]
	v_pk_fma_f32 v[6:7], v[26:27], v[16:17], v[6:7] op_sel_hi:[1,0,1]
	v_and_b32_e32 v17, 0xffff0000, v18
	v_dual_lshlrev_b32 v16, 16, v18 :: v_dual_lshlrev_b32 v18, 16, v23
	v_pk_fma_f32 v[8:9], v[24:25], v[22:23], v[8:9] op_sel_hi:[1,0,1]
	s_delay_alu instid0(VALU_DEP_4)
	v_pk_fma_f32 v[6:7], v[12:13], v[22:23], v[6:7] op_sel_hi:[1,0,1]
	v_and_b32_e32 v13, 0xffff0000, v19
	v_lshlrev_b32_e32 v12, 16, v19
	v_and_b32_e32 v20, 0xffff0000, v23
	v_pk_fma_f32 v[8:9], v[14:15], v[18:19], v[8:9] op_sel_hi:[1,0,1]
	v_pk_fma_f32 v[6:7], v[28:29], v[18:19], v[6:7] op_sel_hi:[1,0,1]
	s_delay_alu instid0(VALU_DEP_2) | instskip(NEXT) | instid1(VALU_DEP_2)
	v_pk_fma_f32 v[8:9], v[16:17], v[20:21], v[8:9] op_sel_hi:[1,0,1]
	v_pk_fma_f32 v[6:7], v[12:13], v[20:21], v[6:7] op_sel_hi:[1,0,1]
	s_and_not1_b32 exec_lo, exec_lo, s6
	s_cbranch_execnz .LBB109_29
; %bb.30:
	s_or_b32 exec_lo, exec_lo, s6
.LBB109_31:
	s_delay_alu instid0(SALU_CYCLE_1) | instskip(NEXT) | instid1(SALU_CYCLE_1)
	s_or_b32 exec_lo, exec_lo, s2
	s_mov_b32 s2, exec_lo
	v_cmpx_lt_u32_e32 0xbf, v10
	s_cbranch_execz .LBB109_35
; %bb.32:
	s_mov_b32 s6, 0
.LBB109_33:                             ; =>This Inner Loop Header: Depth=1
	s_clause 0x4
	global_load_b128 v[10:13], v[4:5], off
	global_load_b128 v[14:17], v[4:5], off offset:16
	global_load_b128 v[18:21], v[4:5], off offset:2048
	;; [unrolled: 1-line block ×4, first 2 shown]
	s_clause 0x2
	global_load_b32 v56, v0, s[8:9] scale_offset
	global_load_b32 v57, v0, s[8:9] offset:256 scale_offset
	global_load_b32 v58, v0, s[8:9] offset:512 scale_offset
	global_load_b128 v[30:33], v[4:5], off offset:4112
	s_wait_loadcnt 0x8
	v_and_b32_e32 v35, 0xffff0000, v10
	v_dual_lshlrev_b32 v34, 16, v10 :: v_dual_lshlrev_b32 v36, 16, v12
	v_and_b32_e32 v37, 0xffff0000, v12
	v_and_b32_e32 v39, 0xffff0000, v11
	v_dual_lshlrev_b32 v38, 16, v11 :: v_dual_lshlrev_b32 v10, 16, v13
	v_and_b32_e32 v11, 0xffff0000, v13
	s_wait_loadcnt 0x7
	v_and_b32_e32 v13, 0xffff0000, v14
	v_dual_lshlrev_b32 v12, 16, v14 :: v_dual_lshlrev_b32 v40, 16, v15
	v_and_b32_e32 v41, 0xffff0000, v15
	v_and_b32_e32 v15, 0xffff0000, v16
	v_dual_lshlrev_b32 v14, 16, v16 :: v_dual_lshlrev_b32 v42, 16, v17
	v_and_b32_e32 v43, 0xffff0000, v17
	;; [unrolled: 7-line block ×3, first 2 shown]
	s_wait_loadcnt 0x5
	v_and_b32_e32 v21, 0xffff0000, v22
	v_dual_lshlrev_b32 v20, 16, v22 :: v_dual_lshlrev_b32 v48, 16, v23
	v_and_b32_e32 v49, 0xffff0000, v23
	v_and_b32_e32 v23, 0xffff0000, v24
	v_dual_lshlrev_b32 v22, 16, v24 :: v_dual_lshlrev_b32 v50, 16, v25
	s_wait_loadcnt 0x4
	v_dual_lshlrev_b32 v24, 16, v26 :: v_dual_lshlrev_b32 v52, 16, v28
	v_and_b32_e32 v53, 0xffff0000, v28
	global_load_b32 v28, v0, s[8:9] offset:768 scale_offset
	v_and_b32_e32 v51, 0xffff0000, v25
	v_and_b32_e32 v25, 0xffff0000, v26
	;; [unrolled: 1-line block ×3, first 2 shown]
	v_dual_lshlrev_b32 v54, 16, v27 :: v_dual_lshlrev_b32 v26, 16, v29
	v_and_b32_e32 v27, 0xffff0000, v29
	s_wait_loadcnt 0x4
	v_subrev_nc_u32_e32 v29, s16, v56
	s_wait_loadcnt 0x3
	v_subrev_nc_u32_e32 v56, s16, v57
	;; [unrolled: 2-line block ×3, first 2 shown]
	s_wait_xcnt 0x0
	v_add_nc_u32_e32 v0, 0x100, v0
	s_delay_alu instid0(VALU_DEP_2) | instskip(NEXT) | instid1(VALU_DEP_2)
	v_dual_lshlrev_b32 v56, 2, v56 :: v_dual_lshlrev_b32 v58, 2, v57
	v_cmp_ge_i32_e32 vcc_lo, v0, v1
	s_delay_alu instid0(VALU_DEP_2) | instskip(SKIP_2) | instid1(VALU_DEP_1)
	v_dual_ashrrev_i32 v57, 31, v56 :: v_dual_ashrrev_i32 v59, 31, v58
	s_or_b32 s6, vcc_lo, s6
	s_wait_kmcnt 0x0
	v_lshl_add_u64 v[56:57], v[56:57], 1, s[4:5]
	s_delay_alu instid0(VALU_DEP_2) | instskip(SKIP_3) | instid1(VALU_DEP_1)
	v_lshl_add_u64 v[58:59], v[58:59], 1, s[4:5]
	s_wait_loadcnt 0x0
	v_subrev_nc_u32_e32 v60, s16, v28
	v_lshlrev_b32_e32 v28, 2, v29
	v_ashrrev_i32_e32 v29, 31, v28
	s_delay_alu instid0(VALU_DEP_1) | instskip(SKIP_2) | instid1(VALU_DEP_1)
	v_lshl_add_u64 v[28:29], v[28:29], 1, s[4:5]
	global_load_b64 v[28:29], v[28:29], off
	v_lshlrev_b32_e32 v60, 2, v60
	v_ashrrev_i32_e32 v61, 31, v60
	s_delay_alu instid0(VALU_DEP_1)
	v_lshl_add_u64 v[60:61], v[60:61], 1, s[4:5]
	s_clause 0x2
	global_load_b64 v[62:63], v[56:57], off
	global_load_b64 v[64:65], v[58:59], off
	;; [unrolled: 1-line block ×3, first 2 shown]
	s_wait_loadcnt 0x3
	s_wait_xcnt 0x2
	v_lshlrev_b32_e32 v56, 16, v28
	v_and_b32_e32 v28, 0xffff0000, v28
	s_delay_alu instid0(VALU_DEP_2) | instskip(SKIP_2) | instid1(VALU_DEP_3)
	v_pk_fma_f32 v[6:7], v[38:39], v[56:57], v[6:7] op_sel_hi:[1,0,1]
	v_and_b32_e32 v39, 0xffff0000, v30
	v_lshlrev_b32_e32 v38, 16, v30
	v_pk_fma_f32 v[10:11], v[10:11], v[28:29], v[6:7] op_sel_hi:[1,0,1]
	s_wait_loadcnt 0x2
	v_lshlrev_b32_e32 v30, 16, v62
	v_pk_fma_f32 v[8:9], v[34:35], v[56:57], v[8:9] op_sel_hi:[1,0,1]
	s_delay_alu instid0(VALU_DEP_1) | instskip(SKIP_2) | instid1(VALU_DEP_1)
	v_pk_fma_f32 v[34:35], v[36:37], v[28:29], v[8:9] op_sel_hi:[1,0,1]
	global_load_b128 v[6:9], v[4:5], off offset:6144
	v_lshlrev_b32_e32 v28, 16, v29
	v_pk_fma_f32 v[34:35], v[12:13], v[28:29], v[34:35] op_sel_hi:[1,0,1]
	v_pk_fma_f32 v[36:37], v[40:41], v[28:29], v[10:11] op_sel_hi:[1,0,1]
	global_load_b128 v[10:13], v[4:5], off offset:6160
	v_and_b32_e32 v28, 0xffff0000, v29
	s_wait_xcnt 0x0
	v_add_nc_u64_e32 v[4:5], 0x2000, v[4:5]
	s_delay_alu instid0(VALU_DEP_2)
	v_pk_fma_f32 v[14:15], v[14:15], v[28:29], v[34:35] op_sel_hi:[1,0,1]
	v_pk_fma_f32 v[28:29], v[42:43], v[28:29], v[36:37] op_sel_hi:[1,0,1]
	v_and_b32_e32 v36, 0xffff0000, v62
	v_lshlrev_b32_e32 v34, 16, v31
	v_and_b32_e32 v35, 0xffff0000, v31
	v_pk_fma_f32 v[14:15], v[16:17], v[30:31], v[14:15] op_sel_hi:[1,0,1]
	v_pk_fma_f32 v[16:17], v[46:47], v[30:31], v[28:29] op_sel_hi:[1,0,1]
	v_lshlrev_b32_e32 v30, 16, v63
	v_and_b32_e32 v29, 0xffff0000, v32
	v_lshlrev_b32_e32 v28, 16, v32
	v_pk_fma_f32 v[14:15], v[44:45], v[36:37], v[14:15] op_sel_hi:[1,0,1]
	v_pk_fma_f32 v[16:17], v[18:19], v[36:37], v[16:17] op_sel_hi:[1,0,1]
	v_lshlrev_b32_e32 v18, 16, v33
	v_and_b32_e32 v32, 0xffff0000, v63
	v_and_b32_e32 v19, 0xffff0000, v33
	v_pk_fma_f32 v[14:15], v[20:21], v[30:31], v[14:15] op_sel_hi:[1,0,1]
	v_pk_fma_f32 v[16:17], v[48:49], v[30:31], v[16:17] op_sel_hi:[1,0,1]
	s_delay_alu instid0(VALU_DEP_2) | instskip(NEXT) | instid1(VALU_DEP_2)
	v_pk_fma_f32 v[14:15], v[22:23], v[32:33], v[14:15] op_sel_hi:[1,0,1]
	v_pk_fma_f32 v[16:17], v[50:51], v[32:33], v[16:17] op_sel_hi:[1,0,1]
	s_wait_loadcnt 0x1
	v_and_b32_e32 v21, 0xffff0000, v6
	v_dual_lshlrev_b32 v20, 16, v6 :: v_dual_lshlrev_b32 v6, 16, v64
	v_and_b32_e32 v23, 0xffff0000, v8
	v_lshlrev_b32_e32 v22, 16, v8
	v_and_b32_e32 v8, 0xffff0000, v64
	s_delay_alu instid0(VALU_DEP_4)
	v_pk_fma_f32 v[14:15], v[24:25], v[6:7], v[14:15] op_sel_hi:[1,0,1]
	v_pk_fma_f32 v[16:17], v[54:55], v[6:7], v[16:17] op_sel_hi:[1,0,1]
	v_lshlrev_b32_e32 v6, 16, v65
	v_and_b32_e32 v25, 0xffff0000, v7
	v_lshlrev_b32_e32 v24, 16, v7
	v_pk_fma_f32 v[14:15], v[52:53], v[8:9], v[14:15] op_sel_hi:[1,0,1]
	v_pk_fma_f32 v[16:17], v[26:27], v[8:9], v[16:17] op_sel_hi:[1,0,1]
	v_and_b32_e32 v8, 0xffff0000, v65
	v_lshlrev_b32_e32 v26, 16, v9
	v_and_b32_e32 v27, 0xffff0000, v9
	v_pk_fma_f32 v[14:15], v[38:39], v[6:7], v[14:15] op_sel_hi:[1,0,1]
	v_pk_fma_f32 v[6:7], v[34:35], v[6:7], v[16:17] op_sel_hi:[1,0,1]
	s_wait_loadcnt 0x0
	v_and_b32_e32 v17, 0xffff0000, v10
	v_lshlrev_b32_e32 v16, 16, v10
	v_lshlrev_b32_e32 v10, 16, v66
	v_pk_fma_f32 v[14:15], v[28:29], v[8:9], v[14:15] op_sel_hi:[1,0,1]
	v_pk_fma_f32 v[6:7], v[18:19], v[8:9], v[6:7] op_sel_hi:[1,0,1]
	v_and_b32_e32 v18, 0xffff0000, v66
	v_and_b32_e32 v9, 0xffff0000, v11
	v_lshlrev_b32_e32 v8, 16, v11
	v_pk_fma_f32 v[14:15], v[20:21], v[10:11], v[14:15] op_sel_hi:[1,0,1]
	v_pk_fma_f32 v[6:7], v[24:25], v[10:11], v[6:7] op_sel_hi:[1,0,1]
	v_and_b32_e32 v11, 0xffff0000, v12
	v_dual_lshlrev_b32 v10, 16, v12 :: v_dual_lshlrev_b32 v12, 16, v67
	s_delay_alu instid0(VALU_DEP_4) | instskip(NEXT) | instid1(VALU_DEP_4)
	v_pk_fma_f32 v[14:15], v[22:23], v[18:19], v[14:15] op_sel_hi:[1,0,1]
	v_pk_fma_f32 v[6:7], v[26:27], v[18:19], v[6:7] op_sel_hi:[1,0,1]
	v_and_b32_e32 v19, 0xffff0000, v13
	v_lshlrev_b32_e32 v18, 16, v13
	v_and_b32_e32 v20, 0xffff0000, v67
	v_pk_fma_f32 v[14:15], v[16:17], v[12:13], v[14:15] op_sel_hi:[1,0,1]
	v_pk_fma_f32 v[6:7], v[8:9], v[12:13], v[6:7] op_sel_hi:[1,0,1]
	s_delay_alu instid0(VALU_DEP_2) | instskip(NEXT) | instid1(VALU_DEP_2)
	v_pk_fma_f32 v[8:9], v[10:11], v[20:21], v[14:15] op_sel_hi:[1,0,1]
	v_pk_fma_f32 v[6:7], v[18:19], v[20:21], v[6:7] op_sel_hi:[1,0,1]
	s_and_not1_b32 exec_lo, exec_lo, s6
	s_cbranch_execnz .LBB109_33
; %bb.34:
	s_or_b32 exec_lo, exec_lo, s6
.LBB109_35:
	s_delay_alu instid0(SALU_CYCLE_1)
	s_or_b32 exec_lo, exec_lo, s2
.LBB109_36:
	s_delay_alu instid0(SALU_CYCLE_1)
	s_or_b32 exec_lo, exec_lo, s3
.LBB109_37:
	v_mbcnt_lo_u32_b32 v10, -1, 0
	s_mov_b32 s2, -1
	s_delay_alu instid0(VALU_DEP_1) | instskip(SKIP_1) | instid1(VALU_DEP_1)
	v_xor_b32_e32 v11, 16, v10
	v_or_b32_e32 v0, 32, v10
	v_cmp_gt_i32_e32 vcc_lo, 32, v0
	v_cndmask_b32_e32 v0, v10, v0, vcc_lo
	s_delay_alu instid0(VALU_DEP_4) | instskip(SKIP_1) | instid1(VALU_DEP_1)
	v_cmp_gt_i32_e32 vcc_lo, 32, v11
	v_cndmask_b32_e32 v11, v10, v11, vcc_lo
	v_dual_lshlrev_b32 v11, 2, v11 :: v_dual_lshlrev_b32 v5, 2, v0
	ds_bpermute_b32 v0, v5, v8
	ds_bpermute_b32 v1, v5, v9
	;; [unrolled: 1-line block ×4, first 2 shown]
	s_wait_dscnt 0x2
	v_pk_add_f32 v[0:1], v[8:9], v[0:1]
	s_wait_dscnt 0x0
	v_pk_add_f32 v[4:5], v[6:7], v[4:5]
	ds_bpermute_b32 v6, v11, v0
	ds_bpermute_b32 v7, v11, v1
	ds_bpermute_b32 v8, v11, v4
	ds_bpermute_b32 v9, v11, v5
	v_xor_b32_e32 v11, 8, v10
	s_delay_alu instid0(VALU_DEP_1) | instskip(SKIP_1) | instid1(VALU_DEP_1)
	v_cmp_gt_i32_e32 vcc_lo, 32, v11
	v_cndmask_b32_e32 v11, v10, v11, vcc_lo
	v_lshlrev_b32_e32 v11, 2, v11
	s_wait_dscnt 0x2
	v_pk_add_f32 v[0:1], v[0:1], v[6:7]
	s_wait_dscnt 0x0
	v_pk_add_f32 v[4:5], v[4:5], v[8:9]
	ds_bpermute_b32 v6, v11, v0
	ds_bpermute_b32 v7, v11, v1
	ds_bpermute_b32 v8, v11, v4
	ds_bpermute_b32 v9, v11, v5
	v_xor_b32_e32 v11, 4, v10
	s_delay_alu instid0(VALU_DEP_1) | instskip(SKIP_1) | instid1(VALU_DEP_1)
	v_cmp_gt_i32_e32 vcc_lo, 32, v11
	v_cndmask_b32_e32 v11, v10, v11, vcc_lo
	v_lshlrev_b32_e32 v11, 2, v11
	;; [unrolled: 13-line block ×3, first 2 shown]
	s_wait_dscnt 0x2
	v_pk_add_f32 v[0:1], v[0:1], v[6:7]
	s_wait_dscnt 0x0
	v_pk_add_f32 v[4:5], v[4:5], v[8:9]
	ds_bpermute_b32 v6, v11, v0
	ds_bpermute_b32 v7, v11, v1
	;; [unrolled: 1-line block ×4, first 2 shown]
	v_xor_b32_e32 v11, 1, v10
	s_delay_alu instid0(VALU_DEP_1) | instskip(SKIP_2) | instid1(VALU_DEP_2)
	v_cmp_gt_i32_e32 vcc_lo, 32, v11
	v_cndmask_b32_e32 v10, v10, v11, vcc_lo
	v_cmp_eq_u32_e32 vcc_lo, 63, v3
	v_lshlrev_b32_e32 v10, 2, v10
	s_wait_dscnt 0x2
	v_pk_add_f32 v[0:1], v[0:1], v[6:7]
	s_wait_dscnt 0x0
	v_pk_add_f32 v[6:7], v[4:5], v[8:9]
	ds_bpermute_b32 v4, v10, v0
	ds_bpermute_b32 v5, v10, v1
	ds_bpermute_b32 v8, v10, v6
	ds_bpermute_b32 v9, v10, v7
	s_and_b32 exec_lo, exec_lo, vcc_lo
	s_cbranch_execz .LBB109_10
; %bb.38:
	s_load_b64 s[0:1], s[0:1], 0x50
	s_wait_dscnt 0x2
	v_pk_add_f32 v[4:5], v[0:1], v[4:5]
	s_wait_dscnt 0x0
	v_pk_add_f32 v[0:1], v[6:7], v[8:9]
	v_lshlrev_b32_e32 v2, 2, v2
	s_cmp_eq_f32 s14, 0
	s_cbranch_scc0 .LBB109_40
; %bb.39:
	s_delay_alu instid0(VALU_DEP_1)
	v_ashrrev_i32_e32 v3, 31, v2
	v_pk_mul_f32 v[6:7], s[12:13], v[4:5] op_sel_hi:[0,1]
	v_pk_mul_f32 v[8:9], s[12:13], v[0:1] op_sel_hi:[0,1]
	s_mov_b32 s2, 0
	s_wait_kmcnt 0x0
	v_lshl_add_u64 v[10:11], v[2:3], 2, s[0:1]
	global_store_b128 v[10:11], v[6:9], off
.LBB109_40:
	s_and_not1_b32 vcc_lo, exec_lo, s2
	s_cbranch_vccnz .LBB109_10
; %bb.41:
	v_ashrrev_i32_e32 v3, 31, v2
	s_wait_kmcnt 0x0
	s_delay_alu instid0(VALU_DEP_1)
	v_lshl_add_u64 v[10:11], v[2:3], 2, s[0:1]
	v_pk_mul_f32 v[2:3], s[12:13], v[4:5] op_sel_hi:[0,1]
	v_pk_mul_f32 v[4:5], s[12:13], v[0:1] op_sel_hi:[0,1]
	global_load_b128 v[6:9], v[10:11], off
	s_wait_loadcnt 0x0
	v_pk_fma_f32 v[0:1], s[14:15], v[6:7], v[2:3] op_sel_hi:[0,1,1]
	v_pk_fma_f32 v[2:3], s[14:15], v[8:9], v[4:5] op_sel_hi:[0,1,1]
	global_store_b128 v[10:11], v[0:3], off
	s_sendmsg sendmsg(MSG_DEALLOC_VGPRS)
	s_endpgm
	.section	.rodata,"a",@progbits
	.p2align	6, 0x0
	.amdhsa_kernel _ZN9rocsparseL18bsrxmvn_4x4_kernelILj128ELj64Efii18rocsparse_bfloat16S1_fEEvT3_20rocsparse_direction_NS_24const_host_device_scalarIT1_EES2_PKS2_PKT2_SB_S8_PKT4_PKT5_S6_PT6_21rocsparse_index_base_b
		.amdhsa_group_segment_fixed_size 0
		.amdhsa_private_segment_fixed_size 0
		.amdhsa_kernarg_size 96
		.amdhsa_user_sgpr_count 2
		.amdhsa_user_sgpr_dispatch_ptr 0
		.amdhsa_user_sgpr_queue_ptr 0
		.amdhsa_user_sgpr_kernarg_segment_ptr 1
		.amdhsa_user_sgpr_dispatch_id 0
		.amdhsa_user_sgpr_kernarg_preload_length 0
		.amdhsa_user_sgpr_kernarg_preload_offset 0
		.amdhsa_user_sgpr_private_segment_size 0
		.amdhsa_wavefront_size32 1
		.amdhsa_uses_dynamic_stack 0
		.amdhsa_enable_private_segment 0
		.amdhsa_system_sgpr_workgroup_id_x 1
		.amdhsa_system_sgpr_workgroup_id_y 0
		.amdhsa_system_sgpr_workgroup_id_z 0
		.amdhsa_system_sgpr_workgroup_info 0
		.amdhsa_system_vgpr_workitem_id 0
		.amdhsa_next_free_vgpr 76
		.amdhsa_next_free_sgpr 18
		.amdhsa_named_barrier_count 0
		.amdhsa_reserve_vcc 1
		.amdhsa_float_round_mode_32 0
		.amdhsa_float_round_mode_16_64 0
		.amdhsa_float_denorm_mode_32 3
		.amdhsa_float_denorm_mode_16_64 3
		.amdhsa_fp16_overflow 0
		.amdhsa_memory_ordered 1
		.amdhsa_forward_progress 1
		.amdhsa_inst_pref_size 37
		.amdhsa_round_robin_scheduling 0
		.amdhsa_exception_fp_ieee_invalid_op 0
		.amdhsa_exception_fp_denorm_src 0
		.amdhsa_exception_fp_ieee_div_zero 0
		.amdhsa_exception_fp_ieee_overflow 0
		.amdhsa_exception_fp_ieee_underflow 0
		.amdhsa_exception_fp_ieee_inexact 0
		.amdhsa_exception_int_div_zero 0
	.end_amdhsa_kernel
	.section	.text._ZN9rocsparseL18bsrxmvn_4x4_kernelILj128ELj64Efii18rocsparse_bfloat16S1_fEEvT3_20rocsparse_direction_NS_24const_host_device_scalarIT1_EES2_PKS2_PKT2_SB_S8_PKT4_PKT5_S6_PT6_21rocsparse_index_base_b,"axG",@progbits,_ZN9rocsparseL18bsrxmvn_4x4_kernelILj128ELj64Efii18rocsparse_bfloat16S1_fEEvT3_20rocsparse_direction_NS_24const_host_device_scalarIT1_EES2_PKS2_PKT2_SB_S8_PKT4_PKT5_S6_PT6_21rocsparse_index_base_b,comdat
.Lfunc_end109:
	.size	_ZN9rocsparseL18bsrxmvn_4x4_kernelILj128ELj64Efii18rocsparse_bfloat16S1_fEEvT3_20rocsparse_direction_NS_24const_host_device_scalarIT1_EES2_PKS2_PKT2_SB_S8_PKT4_PKT5_S6_PT6_21rocsparse_index_base_b, .Lfunc_end109-_ZN9rocsparseL18bsrxmvn_4x4_kernelILj128ELj64Efii18rocsparse_bfloat16S1_fEEvT3_20rocsparse_direction_NS_24const_host_device_scalarIT1_EES2_PKS2_PKT2_SB_S8_PKT4_PKT5_S6_PT6_21rocsparse_index_base_b
                                        ; -- End function
	.set _ZN9rocsparseL18bsrxmvn_4x4_kernelILj128ELj64Efii18rocsparse_bfloat16S1_fEEvT3_20rocsparse_direction_NS_24const_host_device_scalarIT1_EES2_PKS2_PKT2_SB_S8_PKT4_PKT5_S6_PT6_21rocsparse_index_base_b.num_vgpr, 76
	.set _ZN9rocsparseL18bsrxmvn_4x4_kernelILj128ELj64Efii18rocsparse_bfloat16S1_fEEvT3_20rocsparse_direction_NS_24const_host_device_scalarIT1_EES2_PKS2_PKT2_SB_S8_PKT4_PKT5_S6_PT6_21rocsparse_index_base_b.num_agpr, 0
	.set _ZN9rocsparseL18bsrxmvn_4x4_kernelILj128ELj64Efii18rocsparse_bfloat16S1_fEEvT3_20rocsparse_direction_NS_24const_host_device_scalarIT1_EES2_PKS2_PKT2_SB_S8_PKT4_PKT5_S6_PT6_21rocsparse_index_base_b.numbered_sgpr, 18
	.set _ZN9rocsparseL18bsrxmvn_4x4_kernelILj128ELj64Efii18rocsparse_bfloat16S1_fEEvT3_20rocsparse_direction_NS_24const_host_device_scalarIT1_EES2_PKS2_PKT2_SB_S8_PKT4_PKT5_S6_PT6_21rocsparse_index_base_b.num_named_barrier, 0
	.set _ZN9rocsparseL18bsrxmvn_4x4_kernelILj128ELj64Efii18rocsparse_bfloat16S1_fEEvT3_20rocsparse_direction_NS_24const_host_device_scalarIT1_EES2_PKS2_PKT2_SB_S8_PKT4_PKT5_S6_PT6_21rocsparse_index_base_b.private_seg_size, 0
	.set _ZN9rocsparseL18bsrxmvn_4x4_kernelILj128ELj64Efii18rocsparse_bfloat16S1_fEEvT3_20rocsparse_direction_NS_24const_host_device_scalarIT1_EES2_PKS2_PKT2_SB_S8_PKT4_PKT5_S6_PT6_21rocsparse_index_base_b.uses_vcc, 1
	.set _ZN9rocsparseL18bsrxmvn_4x4_kernelILj128ELj64Efii18rocsparse_bfloat16S1_fEEvT3_20rocsparse_direction_NS_24const_host_device_scalarIT1_EES2_PKS2_PKT2_SB_S8_PKT4_PKT5_S6_PT6_21rocsparse_index_base_b.uses_flat_scratch, 0
	.set _ZN9rocsparseL18bsrxmvn_4x4_kernelILj128ELj64Efii18rocsparse_bfloat16S1_fEEvT3_20rocsparse_direction_NS_24const_host_device_scalarIT1_EES2_PKS2_PKT2_SB_S8_PKT4_PKT5_S6_PT6_21rocsparse_index_base_b.has_dyn_sized_stack, 0
	.set _ZN9rocsparseL18bsrxmvn_4x4_kernelILj128ELj64Efii18rocsparse_bfloat16S1_fEEvT3_20rocsparse_direction_NS_24const_host_device_scalarIT1_EES2_PKS2_PKT2_SB_S8_PKT4_PKT5_S6_PT6_21rocsparse_index_base_b.has_recursion, 0
	.set _ZN9rocsparseL18bsrxmvn_4x4_kernelILj128ELj64Efii18rocsparse_bfloat16S1_fEEvT3_20rocsparse_direction_NS_24const_host_device_scalarIT1_EES2_PKS2_PKT2_SB_S8_PKT4_PKT5_S6_PT6_21rocsparse_index_base_b.has_indirect_call, 0
	.section	.AMDGPU.csdata,"",@progbits
; Kernel info:
; codeLenInByte = 4736
; TotalNumSgprs: 20
; NumVgprs: 76
; ScratchSize: 0
; MemoryBound: 0
; FloatMode: 240
; IeeeMode: 1
; LDSByteSize: 0 bytes/workgroup (compile time only)
; SGPRBlocks: 0
; VGPRBlocks: 4
; NumSGPRsForWavesPerEU: 20
; NumVGPRsForWavesPerEU: 76
; NamedBarCnt: 0
; Occupancy: 12
; WaveLimiterHint : 1
; COMPUTE_PGM_RSRC2:SCRATCH_EN: 0
; COMPUTE_PGM_RSRC2:USER_SGPR: 2
; COMPUTE_PGM_RSRC2:TRAP_HANDLER: 0
; COMPUTE_PGM_RSRC2:TGID_X_EN: 1
; COMPUTE_PGM_RSRC2:TGID_Y_EN: 0
; COMPUTE_PGM_RSRC2:TGID_Z_EN: 0
; COMPUTE_PGM_RSRC2:TIDIG_COMP_CNT: 0
	.section	.text._ZN9rocsparseL18bsrxmvn_4x4_kernelILj128ELj4Efli18rocsparse_bfloat16S1_fEEvT3_20rocsparse_direction_NS_24const_host_device_scalarIT1_EES2_PKS2_PKT2_SB_S8_PKT4_PKT5_S6_PT6_21rocsparse_index_base_b,"axG",@progbits,_ZN9rocsparseL18bsrxmvn_4x4_kernelILj128ELj4Efli18rocsparse_bfloat16S1_fEEvT3_20rocsparse_direction_NS_24const_host_device_scalarIT1_EES2_PKS2_PKT2_SB_S8_PKT4_PKT5_S6_PT6_21rocsparse_index_base_b,comdat
	.globl	_ZN9rocsparseL18bsrxmvn_4x4_kernelILj128ELj4Efli18rocsparse_bfloat16S1_fEEvT3_20rocsparse_direction_NS_24const_host_device_scalarIT1_EES2_PKS2_PKT2_SB_S8_PKT4_PKT5_S6_PT6_21rocsparse_index_base_b ; -- Begin function _ZN9rocsparseL18bsrxmvn_4x4_kernelILj128ELj4Efli18rocsparse_bfloat16S1_fEEvT3_20rocsparse_direction_NS_24const_host_device_scalarIT1_EES2_PKS2_PKT2_SB_S8_PKT4_PKT5_S6_PT6_21rocsparse_index_base_b
	.p2align	8
	.type	_ZN9rocsparseL18bsrxmvn_4x4_kernelILj128ELj4Efli18rocsparse_bfloat16S1_fEEvT3_20rocsparse_direction_NS_24const_host_device_scalarIT1_EES2_PKS2_PKT2_SB_S8_PKT4_PKT5_S6_PT6_21rocsparse_index_base_b,@function
_ZN9rocsparseL18bsrxmvn_4x4_kernelILj128ELj4Efli18rocsparse_bfloat16S1_fEEvT3_20rocsparse_direction_NS_24const_host_device_scalarIT1_EES2_PKS2_PKT2_SB_S8_PKT4_PKT5_S6_PT6_21rocsparse_index_base_b: ; @_ZN9rocsparseL18bsrxmvn_4x4_kernelILj128ELj4Efli18rocsparse_bfloat16S1_fEEvT3_20rocsparse_direction_NS_24const_host_device_scalarIT1_EES2_PKS2_PKT2_SB_S8_PKT4_PKT5_S6_PT6_21rocsparse_index_base_b
; %bb.0:
	s_clause 0x2
	s_load_b64 s[16:17], s[0:1], 0x58
	s_load_b64 s[12:13], s[0:1], 0x8
	;; [unrolled: 1-line block ×3, first 2 shown]
	s_wait_kmcnt 0x0
	s_bitcmp1_b32 s17, 0
	s_cselect_b32 s2, -1, 0
	s_delay_alu instid0(SALU_CYCLE_1)
	s_and_b32 vcc_lo, exec_lo, s2
	s_xor_b32 s2, s2, -1
	s_cbranch_vccnz .LBB110_2
; %bb.1:
	s_load_b32 s12, s[12:13], 0x0
.LBB110_2:
	s_and_not1_b32 vcc_lo, exec_lo, s2
	s_cbranch_vccnz .LBB110_4
; %bb.3:
	s_load_b32 s14, s[14:15], 0x0
.LBB110_4:
	s_wait_kmcnt 0x0
	s_cmp_neq_f32 s12, 0
	s_mov_b32 s6, 0
	s_cselect_b32 s2, -1, 0
	s_cmp_neq_f32 s14, 1.0
	s_cselect_b32 s3, -1, 0
	s_delay_alu instid0(SALU_CYCLE_1) | instskip(NEXT) | instid1(SALU_CYCLE_1)
	s_or_b32 s2, s2, s3
	s_and_not1_b32 vcc_lo, exec_lo, s2
	s_cbranch_vccnz .LBB110_10
; %bb.5:
	s_clause 0x1
	s_load_b64 s[4:5], s[0:1], 0x18
	s_load_b64 s[2:3], s[0:1], 0x0
	s_bfe_u32 s7, ttmp6, 0x4000c
	s_and_b32 s8, ttmp6, 15
	s_add_co_i32 s7, s7, 1
	s_getreg_b32 s9, hwreg(HW_REG_IB_STS2, 6, 4)
	s_mul_i32 s7, ttmp9, s7
	v_lshrrev_b32_e32 v1, 2, v0
	s_add_co_i32 s8, s8, s7
	s_cmp_eq_u32 s9, 0
	s_cselect_b32 s7, ttmp9, s8
	s_delay_alu instid0(VALU_DEP_1) | instid1(SALU_CYCLE_1)
	v_lshl_or_b32 v2, s7, 5, v1
	s_wait_kmcnt 0x0
	s_cmp_lg_u64 s[4:5], 0
	s_cbranch_scc0 .LBB110_11
; %bb.6:
	s_load_b32 s6, s[0:1], 0x10
	s_mov_b32 s7, 0
                                        ; implicit-def: $vgpr1
	s_wait_kmcnt 0x0
	v_cmp_gt_i32_e32 vcc_lo, s6, v2
	s_mov_b32 s6, 0
	s_and_saveexec_b32 s8, vcc_lo
	s_delay_alu instid0(SALU_CYCLE_1)
	s_xor_b32 s8, exec_lo, s8
	s_cbranch_execz .LBB110_8
; %bb.7:
	global_load_b32 v1, v2, s[4:5] scale_offset
	s_mov_b32 s6, exec_lo
	s_wait_loadcnt 0x0
	v_subrev_nc_u32_e32 v1, s16, v1
.LBB110_8:
	s_or_b32 exec_lo, exec_lo, s8
	s_delay_alu instid0(SALU_CYCLE_1)
	s_and_b32 vcc_lo, exec_lo, s7
	s_cbranch_vccz .LBB110_12
.LBB110_9:
	v_cmp_gt_i32_e32 vcc_lo, s2, v2
	s_and_not1_b32 s2, s6, exec_lo
	s_and_b32 s4, vcc_lo, exec_lo
	s_delay_alu instid0(SALU_CYCLE_1) | instskip(NEXT) | instid1(SALU_CYCLE_1)
	s_or_b32 s6, s2, s4
	s_and_saveexec_b32 s2, s6
	s_cbranch_execnz .LBB110_13
.LBB110_10:
	s_sendmsg sendmsg(MSG_DEALLOC_VGPRS)
	s_endpgm
.LBB110_11:
                                        ; implicit-def: $vgpr1
	s_cbranch_execnz .LBB110_9
.LBB110_12:
	s_delay_alu instid0(VALU_DEP_1)
	v_mov_b32_e32 v2, v1
	s_and_saveexec_b32 s2, s6
	s_cbranch_execz .LBB110_10
.LBB110_13:
	s_load_b256 s[4:11], s[0:1], 0x20
	s_mov_b32 s17, 0
	v_dual_mov_b32 v1, 0 :: v_dual_bitop2_b32 v0, 3, v0 bitop3:0x40
	s_wait_kmcnt 0x0
	s_cmp_eq_u64 s[6:7], 0
	global_load_b64 v[14:15], v2, s[4:5] scale_offset
	s_cselect_b32 vcc_lo, -1, 0
	v_ashrrev_i32_e32 v3, 31, v2
	s_cmp_eq_u32 s3, 1
	s_delay_alu instid0(VALU_DEP_1) | instskip(NEXT) | instid1(VALU_DEP_1)
	v_lshlrev_b64_e32 v[4:5], 3, v[2:3]
	v_add_nc_u64_e32 v[6:7], s[4:5], v[4:5]
	v_add_nc_u64_e32 v[4:5], s[6:7], v[4:5]
	s_wait_xcnt 0x0
	s_load_b64 s[4:5], s[0:1], 0x40
	s_delay_alu instid0(VALU_DEP_2) | instskip(NEXT) | instid1(VALU_DEP_1)
	v_add_nc_u64_e32 v[6:7], 8, v[6:7]
	v_dual_cndmask_b32 v5, v5, v7 :: v_dual_cndmask_b32 v4, v4, v6
	global_load_b64 v[6:7], v[4:5], off
	s_wait_loadcnt 0x1
	s_wait_xcnt 0x0
	v_sub_nc_u64_e64 v[4:5], v[14:15], s[16:17]
	s_delay_alu instid0(VALU_DEP_1) | instskip(NEXT) | instid1(VALU_DEP_1)
	v_add_nc_u64_e32 v[4:5], v[4:5], v[0:1]
	v_lshlrev_b64_e32 v[8:9], 5, v[4:5]
	s_delay_alu instid0(VALU_DEP_1) | instskip(SKIP_2) | instid1(VALU_DEP_1)
	v_add_nc_u64_e32 v[8:9], s[10:11], v[8:9]
	s_wait_loadcnt 0x0
	v_sub_nc_u64_e64 v[6:7], v[6:7], s[16:17]
	v_cmp_lt_i64_e64 s2, v[4:5], v[6:7]
	s_cbranch_scc1 .LBB110_25
; %bb.14:
	v_dual_mov_b32 v13, v1 :: v_dual_mov_b32 v12, v1
	v_dual_mov_b32 v11, v1 :: v_dual_mov_b32 v10, v1
	s_and_saveexec_b32 s3, s2
	s_cbranch_execz .LBB110_24
; %bb.15:
	v_dual_mov_b32 v11, v1 :: v_dual_bitop2_b32 v10, 4, v0 bitop3:0x54
	v_sub_nc_u64_e32 v[12:13], s[16:17], v[0:1]
	v_not_b32_e32 v17, v15
	v_not_b32_e32 v16, v14
	v_mov_b64_e32 v[18:19], v[8:9]
	v_sub_nc_u64_e64 v[10:11], v[10:11], s[16:17]
	s_delay_alu instid0(VALU_DEP_3) | instskip(SKIP_1) | instid1(VALU_DEP_3)
	v_add_nc_u64_e32 v[12:13], v[12:13], v[16:17]
	v_mov_b64_e32 v[16:17], v[4:5]
	v_add_nc_u64_e32 v[10:11], v[10:11], v[14:15]
	s_delay_alu instid0(VALU_DEP_1) | instskip(NEXT) | instid1(VALU_DEP_1)
	v_max_i64 v[10:11], v[10:11], v[6:7]
	v_add_nc_u64_e32 v[20:21], v[12:13], v[10:11]
	s_delay_alu instid0(VALU_DEP_1) | instskip(NEXT) | instid1(VALU_DEP_1)
	v_dual_mov_b32 v11, 0 :: v_dual_bitop2_b32 v10, 12, v20 bitop3:0x40
	v_dual_mov_b32 v12, v11 :: v_dual_mov_b32 v13, v11
	s_delay_alu instid0(VALU_DEP_2)
	v_cmp_ne_u64_e32 vcc_lo, 12, v[10:11]
	v_mov_b32_e32 v10, v11
	s_and_saveexec_b32 s6, vcc_lo
	s_cbranch_execz .LBB110_19
; %bb.16:
	v_dual_lshrrev_b32 v3, 2, v20 :: v_dual_mov_b32 v11, 0
	v_mov_b64_e32 v[18:19], v[8:9]
	v_mov_b64_e32 v[16:17], v[4:5]
	v_lshl_add_u64 v[22:23], v[4:5], 2, s[8:9]
	s_delay_alu instid0(VALU_DEP_4) | instskip(SKIP_1) | instid1(VALU_DEP_1)
	v_dual_add_nc_u32 v3, 1, v3 :: v_dual_mov_b32 v13, v11
	s_mov_b32 s7, 0
	v_dual_mov_b32 v12, v11 :: v_dual_bitop2_b32 v10, 3, v3 bitop3:0x40
	s_delay_alu instid0(VALU_DEP_1)
	v_sub_nc_u64_e32 v[24:25], 0, v[10:11]
	v_mov_b32_e32 v10, v11
.LBB110_17:                             ; =>This Inner Loop Header: Depth=1
	global_load_b32 v3, v[22:23], off
	v_add_nc_u64_e32 v[24:25], 1, v[24:25]
	v_add_nc_u64_e32 v[16:17], 4, v[16:17]
	s_wait_xcnt 0x0
	v_add_nc_u64_e32 v[22:23], 16, v[22:23]
	s_delay_alu instid0(VALU_DEP_3) | instskip(SKIP_3) | instid1(VALU_DEP_1)
	v_cmp_eq_u64_e32 vcc_lo, 0, v[24:25]
	s_or_b32 s7, vcc_lo, s7
	s_wait_loadcnt 0x0
	v_subrev_nc_u32_e32 v3, s16, v3
	v_lshlrev_b32_e32 v26, 2, v3
	s_delay_alu instid0(VALU_DEP_1) | instskip(SKIP_1) | instid1(VALU_DEP_1)
	v_ashrrev_i32_e32 v27, 31, v26
	s_wait_kmcnt 0x0
	v_lshl_add_u64 v[34:35], v[26:27], 1, s[4:5]
	s_clause 0x1
	global_load_b128 v[26:29], v[18:19], off
	global_load_b128 v[30:33], v[18:19], off offset:16
	global_load_b64 v[36:37], v[34:35], off
	s_wait_xcnt 0x1
	v_add_nc_u64_e32 v[18:19], 0x80, v[18:19]
	s_wait_loadcnt 0x2
	s_wait_xcnt 0x0
	v_dual_lshlrev_b32 v34, 16, v26 :: v_dual_lshlrev_b32 v35, 16, v28
	v_and_b32_e32 v39, 0xffff0000, v28
	v_and_b32_e32 v38, 0xffff0000, v26
	v_dual_lshlrev_b32 v41, 16, v29 :: v_dual_lshlrev_b32 v40, 16, v27
	v_and_b32_e32 v28, 0xffff0000, v27
	s_wait_loadcnt 0x1
	v_dual_lshlrev_b32 v26, 16, v30 :: v_dual_lshlrev_b32 v27, 16, v32
	s_wait_loadcnt 0x0
	v_lshlrev_b32_e32 v42, 16, v36
	v_and_b32_e32 v45, 0xffff0000, v32
	v_and_b32_e32 v44, 0xffff0000, v30
	;; [unrolled: 1-line block ×3, first 2 shown]
	v_lshlrev_b32_e32 v32, 16, v37
	v_pk_fma_f32 v[12:13], v[26:27], v[42:43], v[12:13] op_sel_hi:[1,0,1]
	v_lshlrev_b32_e32 v27, 16, v33
	v_pk_fma_f32 v[10:11], v[34:35], v[42:43], v[10:11] op_sel_hi:[1,0,1]
	v_lshlrev_b32_e32 v26, 16, v31
	v_and_b32_e32 v29, 0xffff0000, v29
	v_pk_fma_f32 v[12:13], v[44:45], v[30:31], v[12:13] op_sel_hi:[1,0,1]
	v_and_b32_e32 v35, 0xffff0000, v33
	v_pk_fma_f32 v[10:11], v[38:39], v[30:31], v[10:11] op_sel_hi:[1,0,1]
	v_and_b32_e32 v34, 0xffff0000, v31
	v_and_b32_e32 v30, 0xffff0000, v37
	v_pk_fma_f32 v[12:13], v[26:27], v[32:33], v[12:13] op_sel_hi:[1,0,1]
	s_delay_alu instid0(VALU_DEP_4) | instskip(NEXT) | instid1(VALU_DEP_2)
	v_pk_fma_f32 v[10:11], v[40:41], v[32:33], v[10:11] op_sel_hi:[1,0,1]
	v_pk_fma_f32 v[12:13], v[34:35], v[30:31], v[12:13] op_sel_hi:[1,0,1]
	s_delay_alu instid0(VALU_DEP_2)
	v_pk_fma_f32 v[10:11], v[28:29], v[30:31], v[10:11] op_sel_hi:[1,0,1]
	s_and_not1_b32 exec_lo, exec_lo, s7
	s_cbranch_execnz .LBB110_17
; %bb.18:
	s_or_b32 exec_lo, exec_lo, s7
.LBB110_19:
	s_delay_alu instid0(SALU_CYCLE_1) | instskip(NEXT) | instid1(SALU_CYCLE_1)
	s_or_b32 exec_lo, exec_lo, s6
	s_mov_b32 s6, exec_lo
	v_cmpx_lt_u64_e32 11, v[20:21]
	s_cbranch_execz .LBB110_23
; %bb.20:
	v_lshl_add_u64 v[20:21], v[16:17], 2, s[8:9]
	s_mov_b32 s7, 0
	s_delay_alu instid0(VALU_DEP_1)
	v_add_nc_u64_e32 v[20:21], 32, v[20:21]
.LBB110_21:                             ; =>This Inner Loop Header: Depth=1
	s_clause 0x3
	global_load_b32 v3, v[20:21], off offset:-32
	global_load_b32 v42, v[20:21], off offset:-16
	global_load_b32 v50, v[20:21], off
	global_load_b32 v51, v[20:21], off offset:16
	s_clause 0x4
	global_load_b128 v[22:25], v[18:19], off
	global_load_b128 v[26:29], v[18:19], off offset:16
	global_load_b128 v[30:33], v[18:19], off offset:256
	global_load_b128 v[34:37], v[18:19], off offset:128
	global_load_b128 v[38:41], v[18:19], off offset:272
	v_add_nc_u64_e32 v[16:17], 16, v[16:17]
	s_wait_xcnt 0x5
	v_add_nc_u64_e32 v[20:21], 64, v[20:21]
	s_delay_alu instid0(VALU_DEP_2)
	v_cmp_ge_i64_e32 vcc_lo, v[16:17], v[6:7]
	s_or_b32 s7, vcc_lo, s7
	s_wait_loadcnt 0x8
	v_subrev_nc_u32_e32 v3, s16, v3
	s_wait_loadcnt 0x7
	v_subrev_nc_u32_e32 v43, s16, v42
	s_wait_loadcnt 0x4
	v_and_b32_e32 v69, 0xffff0000, v24
	s_wait_loadcnt 0x3
	v_dual_lshlrev_b32 v64, 16, v26 :: v_dual_lshlrev_b32 v70, 16, v23
	v_lshlrev_b32_e32 v46, 2, v43
	v_lshlrev_b32_e32 v42, 2, v3
	v_subrev_nc_u32_e32 v3, s16, v50
	s_wait_loadcnt 0x2
	v_and_b32_e32 v66, 0xffff0000, v31
	v_and_b32_e32 v68, 0xffff0000, v22
	v_ashrrev_i32_e32 v47, 31, v46
	v_ashrrev_i32_e32 v43, 31, v42
	s_wait_loadcnt 0x1
	v_and_b32_e32 v73, 0xffff0000, v36
	v_and_b32_e32 v72, 0xffff0000, v34
	v_dual_lshlrev_b32 v75, 16, v37 :: v_dual_lshlrev_b32 v74, 16, v35
	s_wait_kmcnt 0x0
	v_lshl_add_u64 v[48:49], v[42:43], 1, s[4:5]
	v_lshl_add_u64 v[46:47], v[46:47], 1, s[4:5]
	v_and_b32_e32 v76, 0xffff0000, v30
	global_load_b64 v[54:55], v[48:49], off
	global_load_b128 v[42:45], v[18:19], off offset:144
	global_load_b64 v[56:57], v[46:47], off
	s_wait_xcnt 0x2
	v_subrev_nc_u32_e32 v48, s16, v51
	s_wait_xcnt 0x0
	v_dual_lshlrev_b32 v46, 2, v3 :: v_dual_lshlrev_b32 v79, 16, v33
	v_lshlrev_b32_e32 v78, 16, v31
	v_and_b32_e32 v31, 0xffff0000, v28
	s_delay_alu instid0(VALU_DEP_3) | instskip(SKIP_3) | instid1(VALU_DEP_4)
	v_dual_lshlrev_b32 v50, 2, v48 :: v_dual_ashrrev_i32 v47, 31, v46
	v_lshlrev_b32_e32 v65, 16, v28
	v_and_b32_e32 v77, 0xffff0000, v32
	v_and_b32_e32 v67, 0xffff0000, v33
	v_ashrrev_i32_e32 v51, 31, v50
	v_lshl_add_u64 v[52:53], v[46:47], 1, s[4:5]
	global_load_b64 v[58:59], v[52:53], off
	global_load_b128 v[46:49], v[18:19], off offset:384
	v_lshl_add_u64 v[60:61], v[50:51], 1, s[4:5]
	global_load_b128 v[50:53], v[18:19], off offset:400
	global_load_b64 v[62:63], v[60:61], off
	s_wait_xcnt 0x0
	v_dual_lshlrev_b32 v60, 16, v22 :: v_dual_lshlrev_b32 v71, 16, v25
	v_lshlrev_b32_e32 v61, 16, v24
	v_and_b32_e32 v24, 0xffff0000, v23
	v_dual_lshlrev_b32 v23, 16, v36 :: v_dual_lshlrev_b32 v22, 16, v34
	v_and_b32_e32 v36, 0xffff0000, v35
	v_dual_lshlrev_b32 v35, 16, v32 :: v_dual_lshlrev_b32 v34, 16, v30
	;; [unrolled: 2-line block ×3, first 2 shown]
	v_and_b32_e32 v25, 0xffff0000, v25
	v_and_b32_e32 v29, 0xffff0000, v29
	;; [unrolled: 1-line block ×4, first 2 shown]
	s_wait_loadcnt 0x7
	v_and_b32_e32 v26, 0xffff0000, v39
	v_and_b32_e32 v27, 0xffff0000, v41
	v_add_nc_u64_e32 v[18:19], 0x200, v[18:19]
	s_wait_loadcnt 0x5
	v_dual_lshlrev_b32 v82, 16, v54 :: v_dual_lshlrev_b32 v81, 16, v44
	v_and_b32_e32 v83, 0xffff0000, v44
	v_and_b32_e32 v44, 0xffff0000, v54
	v_lshlrev_b32_e32 v80, 16, v42
	s_delay_alu instid0(VALU_DEP_3)
	v_pk_fma_f32 v[10:11], v[60:61], v[82:83], v[10:11] op_sel_hi:[1,0,1]
	v_pk_fma_f32 v[12:13], v[64:65], v[82:83], v[12:13] op_sel_hi:[1,0,1]
	v_and_b32_e32 v82, 0xffff0000, v42
	v_lshlrev_b32_e32 v42, 16, v55
	v_lshlrev_b32_e32 v60, 16, v43
	v_pk_fma_f32 v[10:11], v[68:69], v[44:45], v[10:11] op_sel_hi:[1,0,1]
	v_pk_fma_f32 v[12:13], v[30:31], v[44:45], v[12:13] op_sel_hi:[1,0,1]
	v_and_b32_e32 v44, 0xffff0000, v55
	v_lshlrev_b32_e32 v61, 16, v45
	v_and_b32_e32 v31, 0xffff0000, v45
	v_and_b32_e32 v30, 0xffff0000, v43
	v_pk_fma_f32 v[12:13], v[32:33], v[42:43], v[12:13] op_sel_hi:[1,0,1]
	v_lshlrev_b32_e32 v33, 16, v40
	v_pk_fma_f32 v[10:11], v[70:71], v[42:43], v[10:11] op_sel_hi:[1,0,1]
	s_wait_loadcnt 0x4
	v_dual_lshlrev_b32 v42, 16, v56 :: v_dual_lshlrev_b32 v32, 16, v38
	v_pk_fma_f32 v[12:13], v[28:29], v[44:45], v[12:13] op_sel_hi:[1,0,1]
	v_and_b32_e32 v28, 0xffff0000, v56
	v_pk_fma_f32 v[10:11], v[24:25], v[44:45], v[10:11] op_sel_hi:[1,0,1]
	v_and_b32_e32 v24, 0xffff0000, v38
	v_lshlrev_b32_e32 v38, 16, v57
	v_pk_fma_f32 v[12:13], v[80:81], v[42:43], v[12:13] op_sel_hi:[1,0,1]
	v_and_b32_e32 v25, 0xffff0000, v40
	v_pk_fma_f32 v[10:11], v[22:23], v[42:43], v[10:11] op_sel_hi:[1,0,1]
	s_wait_loadcnt 0x3
	v_dual_lshlrev_b32 v22, 16, v39 :: v_dual_lshlrev_b32 v40, 16, v58
	v_pk_fma_f32 v[12:13], v[82:83], v[28:29], v[12:13] op_sel_hi:[1,0,1]
	v_lshlrev_b32_e32 v23, 16, v41
	v_pk_fma_f32 v[10:11], v[72:73], v[28:29], v[10:11] op_sel_hi:[1,0,1]
	v_and_b32_e32 v28, 0xffff0000, v57
	s_delay_alu instid0(VALU_DEP_4) | instskip(NEXT) | instid1(VALU_DEP_3)
	v_pk_fma_f32 v[12:13], v[60:61], v[38:39], v[12:13] op_sel_hi:[1,0,1]
	v_pk_fma_f32 v[10:11], v[74:75], v[38:39], v[10:11] op_sel_hi:[1,0,1]
	s_wait_loadcnt 0x2
	v_dual_lshlrev_b32 v39, 16, v48 :: v_dual_lshlrev_b32 v38, 16, v46
	s_delay_alu instid0(VALU_DEP_3)
	v_pk_fma_f32 v[12:13], v[30:31], v[28:29], v[12:13] op_sel_hi:[1,0,1]
	v_and_b32_e32 v30, 0xffff0000, v58
	v_pk_fma_f32 v[10:11], v[36:37], v[28:29], v[10:11] op_sel_hi:[1,0,1]
	v_and_b32_e32 v29, 0xffff0000, v48
	v_and_b32_e32 v28, 0xffff0000, v46
	v_pk_fma_f32 v[12:13], v[32:33], v[40:41], v[12:13] op_sel_hi:[1,0,1]
	v_lshlrev_b32_e32 v33, 16, v49
	v_pk_fma_f32 v[10:11], v[34:35], v[40:41], v[10:11] op_sel_hi:[1,0,1]
	v_lshlrev_b32_e32 v34, 16, v59
	v_lshlrev_b32_e32 v32, 16, v47
	v_pk_fma_f32 v[12:13], v[24:25], v[30:31], v[12:13] op_sel_hi:[1,0,1]
	v_and_b32_e32 v25, 0xffff0000, v49
	v_pk_fma_f32 v[10:11], v[76:77], v[30:31], v[10:11] op_sel_hi:[1,0,1]
	v_and_b32_e32 v30, 0xffff0000, v59
	v_and_b32_e32 v24, 0xffff0000, v47
	v_pk_fma_f32 v[12:13], v[22:23], v[34:35], v[12:13] op_sel_hi:[1,0,1]
	s_wait_loadcnt 0x1
	v_lshlrev_b32_e32 v22, 16, v50
	v_pk_fma_f32 v[10:11], v[78:79], v[34:35], v[10:11] op_sel_hi:[1,0,1]
	s_wait_loadcnt 0x0
	v_dual_lshlrev_b32 v23, 16, v52 :: v_dual_lshlrev_b32 v34, 16, v62
	v_pk_fma_f32 v[12:13], v[26:27], v[30:31], v[12:13] op_sel_hi:[1,0,1]
	v_and_b32_e32 v27, 0xffff0000, v52
	v_pk_fma_f32 v[10:11], v[66:67], v[30:31], v[10:11] op_sel_hi:[1,0,1]
	v_and_b32_e32 v26, 0xffff0000, v50
	v_and_b32_e32 v30, 0xffff0000, v62
	v_pk_fma_f32 v[12:13], v[22:23], v[34:35], v[12:13] op_sel_hi:[1,0,1]
	v_lshlrev_b32_e32 v23, 16, v53
	v_pk_fma_f32 v[10:11], v[38:39], v[34:35], v[10:11] op_sel_hi:[1,0,1]
	v_lshlrev_b32_e32 v22, 16, v51
	v_lshlrev_b32_e32 v34, 16, v63
	v_pk_fma_f32 v[12:13], v[26:27], v[30:31], v[12:13] op_sel_hi:[1,0,1]
	v_and_b32_e32 v27, 0xffff0000, v53
	v_pk_fma_f32 v[10:11], v[28:29], v[30:31], v[10:11] op_sel_hi:[1,0,1]
	v_and_b32_e32 v26, 0xffff0000, v51
	v_and_b32_e32 v28, 0xffff0000, v63
	v_pk_fma_f32 v[12:13], v[22:23], v[34:35], v[12:13] op_sel_hi:[1,0,1]
	s_delay_alu instid0(VALU_DEP_4) | instskip(NEXT) | instid1(VALU_DEP_2)
	v_pk_fma_f32 v[10:11], v[32:33], v[34:35], v[10:11] op_sel_hi:[1,0,1]
	v_pk_fma_f32 v[12:13], v[26:27], v[28:29], v[12:13] op_sel_hi:[1,0,1]
	s_delay_alu instid0(VALU_DEP_2)
	v_pk_fma_f32 v[10:11], v[24:25], v[28:29], v[10:11] op_sel_hi:[1,0,1]
	s_and_not1_b32 exec_lo, exec_lo, s7
	s_cbranch_execnz .LBB110_21
; %bb.22:
	s_or_b32 exec_lo, exec_lo, s7
.LBB110_23:
	s_delay_alu instid0(SALU_CYCLE_1)
	s_or_b32 exec_lo, exec_lo, s6
.LBB110_24:
	s_delay_alu instid0(SALU_CYCLE_1)
	s_or_b32 exec_lo, exec_lo, s3
	s_cbranch_execz .LBB110_26
	s_branch .LBB110_37
.LBB110_25:
                                        ; implicit-def: $vgpr13
                                        ; implicit-def: $vgpr11
.LBB110_26:
	v_dual_mov_b32 v13, 0 :: v_dual_mov_b32 v12, 0
	v_dual_mov_b32 v11, 0 :: v_dual_mov_b32 v10, 0
	s_and_saveexec_b32 s3, s2
	s_cbranch_execz .LBB110_36
; %bb.27:
	v_dual_mov_b32 v11, v1 :: v_dual_bitop2_b32 v10, 4, v0 bitop3:0x54
	v_sub_nc_u64_e32 v[12:13], s[16:17], v[0:1]
	s_delay_alu instid0(VALU_DEP_2) | instskip(NEXT) | instid1(VALU_DEP_1)
	v_sub_nc_u64_e64 v[10:11], v[10:11], s[16:17]
	v_add_nc_u64_e32 v[10:11], v[10:11], v[14:15]
	v_not_b32_e32 v15, v15
	v_not_b32_e32 v14, v14
	s_delay_alu instid0(VALU_DEP_1) | instskip(NEXT) | instid1(VALU_DEP_4)
	v_add_nc_u64_e32 v[12:13], v[12:13], v[14:15]
	v_max_i64 v[10:11], v[10:11], v[6:7]
	s_delay_alu instid0(VALU_DEP_1) | instskip(NEXT) | instid1(VALU_DEP_1)
	v_add_nc_u64_e32 v[14:15], v[12:13], v[10:11]
	v_dual_mov_b32 v11, 0 :: v_dual_bitop2_b32 v10, 12, v14 bitop3:0x40
	s_delay_alu instid0(VALU_DEP_1) | instskip(NEXT) | instid1(VALU_DEP_2)
	v_dual_mov_b32 v13, v11 :: v_dual_mov_b32 v12, v11
	v_cmp_ne_u64_e32 vcc_lo, 12, v[10:11]
	v_mov_b32_e32 v10, v11
	s_and_saveexec_b32 s2, vcc_lo
	s_cbranch_execz .LBB110_31
; %bb.28:
	v_dual_lshrrev_b32 v1, 2, v14 :: v_dual_mov_b32 v11, 0
	v_lshl_add_u64 v[16:17], v[4:5], 2, s[8:9]
	s_mov_b32 s6, 0
	s_delay_alu instid0(VALU_DEP_2) | instskip(NEXT) | instid1(VALU_DEP_1)
	v_dual_add_nc_u32 v1, 1, v1 :: v_dual_mov_b32 v13, v11
	v_dual_mov_b32 v12, v11 :: v_dual_bitop2_b32 v10, 3, v1 bitop3:0x40
	s_delay_alu instid0(VALU_DEP_1)
	v_sub_nc_u64_e32 v[18:19], 0, v[10:11]
	v_mov_b32_e32 v10, v11
.LBB110_29:                             ; =>This Inner Loop Header: Depth=1
	global_load_b32 v1, v[16:17], off
	global_load_b128 v[20:23], v[8:9], off
	v_add_nc_u64_e32 v[18:19], 1, v[18:19]
	v_add_nc_u64_e32 v[4:5], 4, v[4:5]
	s_wait_xcnt 0x1
	v_add_nc_u64_e32 v[16:17], 16, v[16:17]
	s_delay_alu instid0(VALU_DEP_3)
	v_cmp_eq_u64_e32 vcc_lo, 0, v[18:19]
	s_or_b32 s6, vcc_lo, s6
	s_wait_loadcnt 0x1
	v_subrev_nc_u32_e32 v1, s16, v1
	s_wait_loadcnt 0x0
	v_and_b32_e32 v33, 0xffff0000, v21
	v_and_b32_e32 v39, 0xffff0000, v23
	v_lshlrev_b32_e32 v32, 16, v21
	v_and_b32_e32 v21, 0xffff0000, v22
	v_dual_lshlrev_b32 v24, 2, v1 :: v_dual_lshlrev_b32 v38, 16, v23
	s_delay_alu instid0(VALU_DEP_1) | instskip(SKIP_1) | instid1(VALU_DEP_1)
	v_ashrrev_i32_e32 v25, 31, v24
	s_wait_kmcnt 0x0
	v_lshl_add_u64 v[28:29], v[24:25], 1, s[4:5]
	global_load_b64 v[30:31], v[28:29], off
	global_load_b128 v[24:27], v[8:9], off offset:16
	s_wait_xcnt 0x1
	v_and_b32_e32 v29, 0xffff0000, v20
	v_dual_lshlrev_b32 v28, 16, v20 :: v_dual_lshlrev_b32 v20, 16, v22
	s_wait_xcnt 0x0
	v_add_nc_u64_e32 v[8:9], 0x80, v[8:9]
	s_wait_loadcnt 0x1
	v_lshlrev_b32_e32 v22, 16, v30
	s_wait_loadcnt 0x0
	v_and_b32_e32 v35, 0xffff0000, v24
	v_lshlrev_b32_e32 v34, 16, v24
	v_and_b32_e32 v37, 0xffff0000, v26
	v_lshlrev_b32_e32 v36, 16, v26
	;; [unrolled: 2-line block ×3, first 2 shown]
	v_pk_fma_f32 v[10:11], v[28:29], v[22:23], v[10:11] op_sel_hi:[1,0,1]
	v_pk_fma_f32 v[12:13], v[32:33], v[22:23], v[12:13] op_sel_hi:[1,0,1]
	v_and_b32_e32 v23, 0xffff0000, v25
	v_lshlrev_b32_e32 v22, 16, v25
	s_delay_alu instid0(VALU_DEP_4) | instskip(NEXT) | instid1(VALU_DEP_4)
	v_pk_fma_f32 v[10:11], v[20:21], v[24:25], v[10:11] op_sel_hi:[1,0,1]
	v_pk_fma_f32 v[12:13], v[38:39], v[24:25], v[12:13] op_sel_hi:[1,0,1]
	v_and_b32_e32 v21, 0xffff0000, v27
	v_lshlrev_b32_e32 v20, 16, v27
	v_and_b32_e32 v24, 0xffff0000, v31
	v_pk_fma_f32 v[10:11], v[34:35], v[26:27], v[10:11] op_sel_hi:[1,0,1]
	v_pk_fma_f32 v[12:13], v[22:23], v[26:27], v[12:13] op_sel_hi:[1,0,1]
	s_delay_alu instid0(VALU_DEP_2) | instskip(NEXT) | instid1(VALU_DEP_2)
	v_pk_fma_f32 v[10:11], v[36:37], v[24:25], v[10:11] op_sel_hi:[1,0,1]
	v_pk_fma_f32 v[12:13], v[20:21], v[24:25], v[12:13] op_sel_hi:[1,0,1]
	s_and_not1_b32 exec_lo, exec_lo, s6
	s_cbranch_execnz .LBB110_29
; %bb.30:
	s_or_b32 exec_lo, exec_lo, s6
.LBB110_31:
	s_delay_alu instid0(SALU_CYCLE_1) | instskip(NEXT) | instid1(SALU_CYCLE_1)
	s_or_b32 exec_lo, exec_lo, s2
	s_mov_b32 s2, exec_lo
	v_cmpx_lt_u64_e32 11, v[14:15]
	s_cbranch_execz .LBB110_35
; %bb.32:
	v_lshl_add_u64 v[14:15], v[4:5], 2, s[8:9]
	s_mov_b32 s6, 0
	s_delay_alu instid0(VALU_DEP_1)
	v_add_nc_u64_e32 v[14:15], 32, v[14:15]
.LBB110_33:                             ; =>This Inner Loop Header: Depth=1
	s_clause 0x3
	global_load_b32 v1, v[14:15], off offset:-32
	global_load_b32 v3, v[14:15], off offset:-16
	global_load_b32 v38, v[14:15], off
	global_load_b32 v46, v[14:15], off offset:16
	s_clause 0x4
	global_load_b128 v[16:19], v[8:9], off
	global_load_b128 v[20:23], v[8:9], off offset:16
	global_load_b128 v[24:27], v[8:9], off offset:128
	;; [unrolled: 1-line block ×4, first 2 shown]
	v_add_nc_u64_e32 v[4:5], 16, v[4:5]
	s_wait_xcnt 0x5
	v_add_nc_u64_e32 v[14:15], 64, v[14:15]
	s_delay_alu instid0(VALU_DEP_2)
	v_cmp_ge_i64_e32 vcc_lo, v[4:5], v[6:7]
	s_or_b32 s6, vcc_lo, s6
	s_wait_loadcnt 0x8
	v_subrev_nc_u32_e32 v1, s16, v1
	s_wait_loadcnt 0x4
	v_and_b32_e32 v59, 0xffff0000, v17
	s_delay_alu instid0(VALU_DEP_2)
	v_lshlrev_b32_e32 v36, 2, v1
	v_subrev_nc_u32_e32 v1, s16, v3
	v_subrev_nc_u32_e32 v3, s16, v38
	s_wait_loadcnt 0x1
	v_dual_lshlrev_b32 v66, 16, v26 :: v_dual_lshlrev_b32 v68, 16, v28
	v_ashrrev_i32_e32 v37, 31, v36
	v_and_b32_e32 v69, 0xffff0000, v28
	v_and_b32_e32 v71, 0xffff0000, v30
	s_wait_loadcnt 0x0
	v_dual_lshlrev_b32 v70, 16, v30 :: v_dual_lshlrev_b32 v72, 16, v32
	s_wait_kmcnt 0x0
	v_lshl_add_u64 v[36:37], v[36:37], 1, s[4:5]
	v_and_b32_e32 v73, 0xffff0000, v32
	v_and_b32_e32 v75, 0xffff0000, v19
	v_lshlrev_b32_e32 v74, 16, v19
	v_and_b32_e32 v61, 0xffff0000, v20
	global_load_b64 v[48:49], v[36:37], off
	s_wait_xcnt 0x0
	v_lshlrev_b32_e32 v36, 2, v1
	v_subrev_nc_u32_e32 v1, s16, v46
	v_lshlrev_b32_e32 v28, 16, v31
	v_and_b32_e32 v19, 0xffff0000, v21
	v_and_b32_e32 v77, 0xffff0000, v34
	s_delay_alu instid0(VALU_DEP_4) | instskip(SKIP_3) | instid1(VALU_DEP_4)
	v_dual_ashrrev_i32 v37, 31, v36 :: v_dual_lshlrev_b32 v46, 2, v1
	v_lshlrev_b32_e32 v76, 16, v34
	v_and_b32_e32 v63, 0xffff0000, v22
	v_dual_lshlrev_b32 v62, 16, v22 :: v_dual_lshlrev_b32 v64, 16, v24
	v_lshl_add_u64 v[44:45], v[36:37], 1, s[4:5]
	v_and_b32_e32 v65, 0xffff0000, v24
	v_and_b32_e32 v67, 0xffff0000, v26
	global_load_b64 v[50:51], v[44:45], off
	s_clause 0x1
	global_load_b128 v[36:39], v[8:9], off offset:272
	global_load_b128 v[40:43], v[8:9], off offset:384
	s_wait_xcnt 0x2
	v_lshlrev_b32_e32 v44, 2, v3
	v_dual_lshlrev_b32 v24, 16, v27 :: v_dual_lshlrev_b32 v26, 16, v29
	v_dual_ashrrev_i32 v47, 31, v46 :: v_dual_lshlrev_b32 v58, 16, v17
	s_delay_alu instid0(VALU_DEP_3) | instskip(SKIP_2) | instid1(VALU_DEP_4)
	v_ashrrev_i32_e32 v45, 31, v44
	v_and_b32_e32 v17, 0xffff0000, v18
	v_lshlrev_b32_e32 v60, 16, v20
	v_lshl_add_u64 v[54:55], v[46:47], 1, s[4:5]
	v_dual_lshlrev_b32 v20, 16, v23 :: v_dual_lshlrev_b32 v22, 16, v25
	v_lshl_add_u64 v[44:45], v[44:45], 1, s[4:5]
	s_clause 0x1
	global_load_b64 v[52:53], v[44:45], off
	global_load_b64 v[56:57], v[54:55], off
	global_load_b128 v[44:47], v[8:9], off offset:400
	s_wait_xcnt 0x1
	v_and_b32_e32 v55, 0xffff0000, v16
	v_dual_lshlrev_b32 v54, 16, v16 :: v_dual_lshlrev_b32 v16, 16, v18
	v_lshlrev_b32_e32 v18, 16, v21
	v_and_b32_e32 v21, 0xffff0000, v23
	v_and_b32_e32 v23, 0xffff0000, v25
	;; [unrolled: 1-line block ×5, first 2 shown]
	s_wait_xcnt 0x0
	v_add_nc_u64_e32 v[8:9], 0x200, v[8:9]
	s_wait_loadcnt 0x6
	v_lshlrev_b32_e32 v30, 16, v48
	v_and_b32_e32 v32, 0xffff0000, v48
	v_lshlrev_b32_e32 v34, 16, v49
	s_delay_alu instid0(VALU_DEP_3) | instskip(SKIP_3) | instid1(VALU_DEP_4)
	v_pk_fma_f32 v[10:11], v[54:55], v[30:31], v[10:11] op_sel_hi:[1,0,1]
	v_pk_fma_f32 v[12:13], v[58:59], v[30:31], v[12:13] op_sel_hi:[1,0,1]
	v_and_b32_e32 v31, 0xffff0000, v33
	v_lshlrev_b32_e32 v30, 16, v33
	v_pk_fma_f32 v[10:11], v[16:17], v[32:33], v[10:11] op_sel_hi:[1,0,1]
	s_delay_alu instid0(VALU_DEP_4)
	v_pk_fma_f32 v[12:13], v[74:75], v[32:33], v[12:13] op_sel_hi:[1,0,1]
	v_lshlrev_b32_e32 v16, 16, v35
	v_and_b32_e32 v32, 0xffff0000, v49
	v_and_b32_e32 v17, 0xffff0000, v35
	v_pk_fma_f32 v[10:11], v[60:61], v[34:35], v[10:11] op_sel_hi:[1,0,1]
	v_pk_fma_f32 v[12:13], v[18:19], v[34:35], v[12:13] op_sel_hi:[1,0,1]
	s_wait_loadcnt 0x4
	v_dual_lshlrev_b32 v18, 16, v36 :: v_dual_lshlrev_b32 v34, 16, v50
	v_and_b32_e32 v19, 0xffff0000, v36
	v_pk_fma_f32 v[10:11], v[62:63], v[32:33], v[10:11] op_sel_hi:[1,0,1]
	v_pk_fma_f32 v[12:13], v[20:21], v[32:33], v[12:13] op_sel_hi:[1,0,1]
	v_and_b32_e32 v32, 0xffff0000, v50
	v_and_b32_e32 v21, 0xffff0000, v37
	v_lshlrev_b32_e32 v20, 16, v37
	v_pk_fma_f32 v[10:11], v[64:65], v[34:35], v[10:11] op_sel_hi:[1,0,1]
	v_pk_fma_f32 v[12:13], v[22:23], v[34:35], v[12:13] op_sel_hi:[1,0,1]
	v_lshlrev_b32_e32 v34, 16, v51
	v_and_b32_e32 v23, 0xffff0000, v38
	v_lshlrev_b32_e32 v22, 16, v38
	v_pk_fma_f32 v[10:11], v[66:67], v[32:33], v[10:11] op_sel_hi:[1,0,1]
	v_pk_fma_f32 v[12:13], v[24:25], v[32:33], v[12:13] op_sel_hi:[1,0,1]
	v_and_b32_e32 v32, 0xffff0000, v51
	v_lshlrev_b32_e32 v24, 16, v39
	v_and_b32_e32 v25, 0xffff0000, v39
	s_delay_alu instid0(VALU_DEP_4)
	v_pk_fma_f32 v[12:13], v[26:27], v[34:35], v[12:13] op_sel_hi:[1,0,1]
	s_wait_loadcnt 0x3
	v_lshlrev_b32_e32 v26, 16, v40
	v_pk_fma_f32 v[10:11], v[68:69], v[34:35], v[10:11] op_sel_hi:[1,0,1]
	s_wait_loadcnt 0x2
	v_lshlrev_b32_e32 v34, 16, v52
	v_and_b32_e32 v27, 0xffff0000, v40
	v_pk_fma_f32 v[12:13], v[28:29], v[32:33], v[12:13] op_sel_hi:[1,0,1]
	v_and_b32_e32 v29, 0xffff0000, v42
	v_pk_fma_f32 v[10:11], v[70:71], v[32:33], v[10:11] op_sel_hi:[1,0,1]
	v_and_b32_e32 v32, 0xffff0000, v52
	v_lshlrev_b32_e32 v28, 16, v42
	v_pk_fma_f32 v[12:13], v[30:31], v[34:35], v[12:13] op_sel_hi:[1,0,1]
	s_wait_loadcnt 0x0
	v_and_b32_e32 v31, 0xffff0000, v44
	v_pk_fma_f32 v[10:11], v[72:73], v[34:35], v[10:11] op_sel_hi:[1,0,1]
	v_dual_lshlrev_b32 v34, 16, v53 :: v_dual_lshlrev_b32 v30, 16, v44
	v_pk_fma_f32 v[12:13], v[16:17], v[32:33], v[12:13] op_sel_hi:[1,0,1]
	v_lshlrev_b32_e32 v16, 16, v46
	s_delay_alu instid0(VALU_DEP_4)
	v_pk_fma_f32 v[10:11], v[76:77], v[32:33], v[10:11] op_sel_hi:[1,0,1]
	v_and_b32_e32 v32, 0xffff0000, v53
	v_and_b32_e32 v17, 0xffff0000, v46
	v_pk_fma_f32 v[12:13], v[20:21], v[34:35], v[12:13] op_sel_hi:[1,0,1]
	v_lshlrev_b32_e32 v20, 16, v56
	v_pk_fma_f32 v[10:11], v[18:19], v[34:35], v[10:11] op_sel_hi:[1,0,1]
	v_and_b32_e32 v19, 0xffff0000, v41
	v_lshlrev_b32_e32 v18, 16, v41
	v_pk_fma_f32 v[12:13], v[24:25], v[32:33], v[12:13] op_sel_hi:[1,0,1]
	v_and_b32_e32 v24, 0xffff0000, v56
	v_pk_fma_f32 v[10:11], v[22:23], v[32:33], v[10:11] op_sel_hi:[1,0,1]
	v_and_b32_e32 v23, 0xffff0000, v43
	v_lshlrev_b32_e32 v22, 16, v43
	v_pk_fma_f32 v[12:13], v[18:19], v[20:21], v[12:13] op_sel_hi:[1,0,1]
	v_and_b32_e32 v19, 0xffff0000, v45
	v_pk_fma_f32 v[10:11], v[26:27], v[20:21], v[10:11] op_sel_hi:[1,0,1]
	v_lshlrev_b32_e32 v18, 16, v45
	v_lshlrev_b32_e32 v20, 16, v57
	v_pk_fma_f32 v[12:13], v[22:23], v[24:25], v[12:13] op_sel_hi:[1,0,1]
	v_and_b32_e32 v23, 0xffff0000, v47
	v_pk_fma_f32 v[10:11], v[28:29], v[24:25], v[10:11] op_sel_hi:[1,0,1]
	v_lshlrev_b32_e32 v22, 16, v47
	v_and_b32_e32 v24, 0xffff0000, v57
	v_pk_fma_f32 v[12:13], v[18:19], v[20:21], v[12:13] op_sel_hi:[1,0,1]
	s_delay_alu instid0(VALU_DEP_4) | instskip(NEXT) | instid1(VALU_DEP_2)
	v_pk_fma_f32 v[10:11], v[30:31], v[20:21], v[10:11] op_sel_hi:[1,0,1]
	v_pk_fma_f32 v[12:13], v[22:23], v[24:25], v[12:13] op_sel_hi:[1,0,1]
	s_delay_alu instid0(VALU_DEP_2)
	v_pk_fma_f32 v[10:11], v[16:17], v[24:25], v[10:11] op_sel_hi:[1,0,1]
	s_and_not1_b32 exec_lo, exec_lo, s6
	s_cbranch_execnz .LBB110_33
; %bb.34:
	s_or_b32 exec_lo, exec_lo, s6
.LBB110_35:
	s_delay_alu instid0(SALU_CYCLE_1)
	s_or_b32 exec_lo, exec_lo, s2
.LBB110_36:
	s_delay_alu instid0(SALU_CYCLE_1)
	s_or_b32 exec_lo, exec_lo, s3
.LBB110_37:
	v_mbcnt_lo_u32_b32 v1, -1, 0
	s_mov_b32 s2, -1
	s_delay_alu instid0(VALU_DEP_1) | instskip(NEXT) | instid1(VALU_DEP_1)
	v_xor_b32_e32 v3, 2, v1
	v_cmp_gt_i32_e32 vcc_lo, 32, v3
	v_cndmask_b32_e32 v3, v1, v3, vcc_lo
	s_delay_alu instid0(VALU_DEP_1)
	v_lshlrev_b32_e32 v3, 2, v3
	ds_bpermute_b32 v4, v3, v10
	ds_bpermute_b32 v5, v3, v11
	;; [unrolled: 1-line block ×4, first 2 shown]
	v_xor_b32_e32 v3, 1, v1
	s_delay_alu instid0(VALU_DEP_1) | instskip(SKIP_2) | instid1(VALU_DEP_2)
	v_cmp_gt_i32_e32 vcc_lo, 32, v3
	v_cndmask_b32_e32 v1, v1, v3, vcc_lo
	v_cmp_eq_u32_e32 vcc_lo, 3, v0
	v_lshlrev_b32_e32 v1, 2, v1
	s_wait_dscnt 0x2
	v_pk_add_f32 v[4:5], v[10:11], v[4:5]
	s_wait_dscnt 0x0
	v_pk_add_f32 v[6:7], v[12:13], v[6:7]
	ds_bpermute_b32 v10, v1, v4
	ds_bpermute_b32 v11, v1, v5
	;; [unrolled: 1-line block ×4, first 2 shown]
	s_and_b32 exec_lo, exec_lo, vcc_lo
	s_cbranch_execz .LBB110_10
; %bb.38:
	s_load_b64 s[0:1], s[0:1], 0x50
	s_wait_dscnt 0x2
	v_pk_add_f32 v[4:5], v[4:5], v[10:11]
	s_wait_dscnt 0x0
	v_pk_add_f32 v[0:1], v[6:7], v[8:9]
	v_lshlrev_b32_e32 v2, 2, v2
	s_cmp_eq_f32 s14, 0
	s_cbranch_scc0 .LBB110_40
; %bb.39:
	s_delay_alu instid0(VALU_DEP_1)
	v_ashrrev_i32_e32 v3, 31, v2
	v_pk_mul_f32 v[6:7], s[12:13], v[4:5] op_sel_hi:[0,1]
	v_pk_mul_f32 v[8:9], s[12:13], v[0:1] op_sel_hi:[0,1]
	s_mov_b32 s2, 0
	s_wait_kmcnt 0x0
	v_lshl_add_u64 v[10:11], v[2:3], 2, s[0:1]
	global_store_b128 v[10:11], v[6:9], off
.LBB110_40:
	s_and_not1_b32 vcc_lo, exec_lo, s2
	s_cbranch_vccnz .LBB110_10
; %bb.41:
	v_ashrrev_i32_e32 v3, 31, v2
	s_wait_kmcnt 0x0
	s_delay_alu instid0(VALU_DEP_1)
	v_lshl_add_u64 v[10:11], v[2:3], 2, s[0:1]
	v_pk_mul_f32 v[2:3], s[12:13], v[4:5] op_sel_hi:[0,1]
	v_pk_mul_f32 v[4:5], s[12:13], v[0:1] op_sel_hi:[0,1]
	global_load_b128 v[6:9], v[10:11], off
	s_wait_loadcnt 0x0
	v_pk_fma_f32 v[0:1], s[14:15], v[6:7], v[2:3] op_sel_hi:[0,1,1]
	v_pk_fma_f32 v[2:3], s[14:15], v[8:9], v[4:5] op_sel_hi:[0,1,1]
	global_store_b128 v[10:11], v[0:3], off
	s_sendmsg sendmsg(MSG_DEALLOC_VGPRS)
	s_endpgm
	.section	.rodata,"a",@progbits
	.p2align	6, 0x0
	.amdhsa_kernel _ZN9rocsparseL18bsrxmvn_4x4_kernelILj128ELj4Efli18rocsparse_bfloat16S1_fEEvT3_20rocsparse_direction_NS_24const_host_device_scalarIT1_EES2_PKS2_PKT2_SB_S8_PKT4_PKT5_S6_PT6_21rocsparse_index_base_b
		.amdhsa_group_segment_fixed_size 0
		.amdhsa_private_segment_fixed_size 0
		.amdhsa_kernarg_size 96
		.amdhsa_user_sgpr_count 2
		.amdhsa_user_sgpr_dispatch_ptr 0
		.amdhsa_user_sgpr_queue_ptr 0
		.amdhsa_user_sgpr_kernarg_segment_ptr 1
		.amdhsa_user_sgpr_dispatch_id 0
		.amdhsa_user_sgpr_kernarg_preload_length 0
		.amdhsa_user_sgpr_kernarg_preload_offset 0
		.amdhsa_user_sgpr_private_segment_size 0
		.amdhsa_wavefront_size32 1
		.amdhsa_uses_dynamic_stack 0
		.amdhsa_enable_private_segment 0
		.amdhsa_system_sgpr_workgroup_id_x 1
		.amdhsa_system_sgpr_workgroup_id_y 0
		.amdhsa_system_sgpr_workgroup_id_z 0
		.amdhsa_system_sgpr_workgroup_info 0
		.amdhsa_system_vgpr_workitem_id 0
		.amdhsa_next_free_vgpr 84
		.amdhsa_next_free_sgpr 18
		.amdhsa_named_barrier_count 0
		.amdhsa_reserve_vcc 1
		.amdhsa_float_round_mode_32 0
		.amdhsa_float_round_mode_16_64 0
		.amdhsa_float_denorm_mode_32 3
		.amdhsa_float_denorm_mode_16_64 3
		.amdhsa_fp16_overflow 0
		.amdhsa_memory_ordered 1
		.amdhsa_forward_progress 1
		.amdhsa_inst_pref_size 36
		.amdhsa_round_robin_scheduling 0
		.amdhsa_exception_fp_ieee_invalid_op 0
		.amdhsa_exception_fp_denorm_src 0
		.amdhsa_exception_fp_ieee_div_zero 0
		.amdhsa_exception_fp_ieee_overflow 0
		.amdhsa_exception_fp_ieee_underflow 0
		.amdhsa_exception_fp_ieee_inexact 0
		.amdhsa_exception_int_div_zero 0
	.end_amdhsa_kernel
	.section	.text._ZN9rocsparseL18bsrxmvn_4x4_kernelILj128ELj4Efli18rocsparse_bfloat16S1_fEEvT3_20rocsparse_direction_NS_24const_host_device_scalarIT1_EES2_PKS2_PKT2_SB_S8_PKT4_PKT5_S6_PT6_21rocsparse_index_base_b,"axG",@progbits,_ZN9rocsparseL18bsrxmvn_4x4_kernelILj128ELj4Efli18rocsparse_bfloat16S1_fEEvT3_20rocsparse_direction_NS_24const_host_device_scalarIT1_EES2_PKS2_PKT2_SB_S8_PKT4_PKT5_S6_PT6_21rocsparse_index_base_b,comdat
.Lfunc_end110:
	.size	_ZN9rocsparseL18bsrxmvn_4x4_kernelILj128ELj4Efli18rocsparse_bfloat16S1_fEEvT3_20rocsparse_direction_NS_24const_host_device_scalarIT1_EES2_PKS2_PKT2_SB_S8_PKT4_PKT5_S6_PT6_21rocsparse_index_base_b, .Lfunc_end110-_ZN9rocsparseL18bsrxmvn_4x4_kernelILj128ELj4Efli18rocsparse_bfloat16S1_fEEvT3_20rocsparse_direction_NS_24const_host_device_scalarIT1_EES2_PKS2_PKT2_SB_S8_PKT4_PKT5_S6_PT6_21rocsparse_index_base_b
                                        ; -- End function
	.set _ZN9rocsparseL18bsrxmvn_4x4_kernelILj128ELj4Efli18rocsparse_bfloat16S1_fEEvT3_20rocsparse_direction_NS_24const_host_device_scalarIT1_EES2_PKS2_PKT2_SB_S8_PKT4_PKT5_S6_PT6_21rocsparse_index_base_b.num_vgpr, 84
	.set _ZN9rocsparseL18bsrxmvn_4x4_kernelILj128ELj4Efli18rocsparse_bfloat16S1_fEEvT3_20rocsparse_direction_NS_24const_host_device_scalarIT1_EES2_PKS2_PKT2_SB_S8_PKT4_PKT5_S6_PT6_21rocsparse_index_base_b.num_agpr, 0
	.set _ZN9rocsparseL18bsrxmvn_4x4_kernelILj128ELj4Efli18rocsparse_bfloat16S1_fEEvT3_20rocsparse_direction_NS_24const_host_device_scalarIT1_EES2_PKS2_PKT2_SB_S8_PKT4_PKT5_S6_PT6_21rocsparse_index_base_b.numbered_sgpr, 18
	.set _ZN9rocsparseL18bsrxmvn_4x4_kernelILj128ELj4Efli18rocsparse_bfloat16S1_fEEvT3_20rocsparse_direction_NS_24const_host_device_scalarIT1_EES2_PKS2_PKT2_SB_S8_PKT4_PKT5_S6_PT6_21rocsparse_index_base_b.num_named_barrier, 0
	.set _ZN9rocsparseL18bsrxmvn_4x4_kernelILj128ELj4Efli18rocsparse_bfloat16S1_fEEvT3_20rocsparse_direction_NS_24const_host_device_scalarIT1_EES2_PKS2_PKT2_SB_S8_PKT4_PKT5_S6_PT6_21rocsparse_index_base_b.private_seg_size, 0
	.set _ZN9rocsparseL18bsrxmvn_4x4_kernelILj128ELj4Efli18rocsparse_bfloat16S1_fEEvT3_20rocsparse_direction_NS_24const_host_device_scalarIT1_EES2_PKS2_PKT2_SB_S8_PKT4_PKT5_S6_PT6_21rocsparse_index_base_b.uses_vcc, 1
	.set _ZN9rocsparseL18bsrxmvn_4x4_kernelILj128ELj4Efli18rocsparse_bfloat16S1_fEEvT3_20rocsparse_direction_NS_24const_host_device_scalarIT1_EES2_PKS2_PKT2_SB_S8_PKT4_PKT5_S6_PT6_21rocsparse_index_base_b.uses_flat_scratch, 0
	.set _ZN9rocsparseL18bsrxmvn_4x4_kernelILj128ELj4Efli18rocsparse_bfloat16S1_fEEvT3_20rocsparse_direction_NS_24const_host_device_scalarIT1_EES2_PKS2_PKT2_SB_S8_PKT4_PKT5_S6_PT6_21rocsparse_index_base_b.has_dyn_sized_stack, 0
	.set _ZN9rocsparseL18bsrxmvn_4x4_kernelILj128ELj4Efli18rocsparse_bfloat16S1_fEEvT3_20rocsparse_direction_NS_24const_host_device_scalarIT1_EES2_PKS2_PKT2_SB_S8_PKT4_PKT5_S6_PT6_21rocsparse_index_base_b.has_recursion, 0
	.set _ZN9rocsparseL18bsrxmvn_4x4_kernelILj128ELj4Efli18rocsparse_bfloat16S1_fEEvT3_20rocsparse_direction_NS_24const_host_device_scalarIT1_EES2_PKS2_PKT2_SB_S8_PKT4_PKT5_S6_PT6_21rocsparse_index_base_b.has_indirect_call, 0
	.section	.AMDGPU.csdata,"",@progbits
; Kernel info:
; codeLenInByte = 4488
; TotalNumSgprs: 20
; NumVgprs: 84
; ScratchSize: 0
; MemoryBound: 0
; FloatMode: 240
; IeeeMode: 1
; LDSByteSize: 0 bytes/workgroup (compile time only)
; SGPRBlocks: 0
; VGPRBlocks: 5
; NumSGPRsForWavesPerEU: 20
; NumVGPRsForWavesPerEU: 84
; NamedBarCnt: 0
; Occupancy: 10
; WaveLimiterHint : 1
; COMPUTE_PGM_RSRC2:SCRATCH_EN: 0
; COMPUTE_PGM_RSRC2:USER_SGPR: 2
; COMPUTE_PGM_RSRC2:TRAP_HANDLER: 0
; COMPUTE_PGM_RSRC2:TGID_X_EN: 1
; COMPUTE_PGM_RSRC2:TGID_Y_EN: 0
; COMPUTE_PGM_RSRC2:TGID_Z_EN: 0
; COMPUTE_PGM_RSRC2:TIDIG_COMP_CNT: 0
	.section	.text._ZN9rocsparseL18bsrxmvn_4x4_kernelILj128ELj8Efli18rocsparse_bfloat16S1_fEEvT3_20rocsparse_direction_NS_24const_host_device_scalarIT1_EES2_PKS2_PKT2_SB_S8_PKT4_PKT5_S6_PT6_21rocsparse_index_base_b,"axG",@progbits,_ZN9rocsparseL18bsrxmvn_4x4_kernelILj128ELj8Efli18rocsparse_bfloat16S1_fEEvT3_20rocsparse_direction_NS_24const_host_device_scalarIT1_EES2_PKS2_PKT2_SB_S8_PKT4_PKT5_S6_PT6_21rocsparse_index_base_b,comdat
	.globl	_ZN9rocsparseL18bsrxmvn_4x4_kernelILj128ELj8Efli18rocsparse_bfloat16S1_fEEvT3_20rocsparse_direction_NS_24const_host_device_scalarIT1_EES2_PKS2_PKT2_SB_S8_PKT4_PKT5_S6_PT6_21rocsparse_index_base_b ; -- Begin function _ZN9rocsparseL18bsrxmvn_4x4_kernelILj128ELj8Efli18rocsparse_bfloat16S1_fEEvT3_20rocsparse_direction_NS_24const_host_device_scalarIT1_EES2_PKS2_PKT2_SB_S8_PKT4_PKT5_S6_PT6_21rocsparse_index_base_b
	.p2align	8
	.type	_ZN9rocsparseL18bsrxmvn_4x4_kernelILj128ELj8Efli18rocsparse_bfloat16S1_fEEvT3_20rocsparse_direction_NS_24const_host_device_scalarIT1_EES2_PKS2_PKT2_SB_S8_PKT4_PKT5_S6_PT6_21rocsparse_index_base_b,@function
_ZN9rocsparseL18bsrxmvn_4x4_kernelILj128ELj8Efli18rocsparse_bfloat16S1_fEEvT3_20rocsparse_direction_NS_24const_host_device_scalarIT1_EES2_PKS2_PKT2_SB_S8_PKT4_PKT5_S6_PT6_21rocsparse_index_base_b: ; @_ZN9rocsparseL18bsrxmvn_4x4_kernelILj128ELj8Efli18rocsparse_bfloat16S1_fEEvT3_20rocsparse_direction_NS_24const_host_device_scalarIT1_EES2_PKS2_PKT2_SB_S8_PKT4_PKT5_S6_PT6_21rocsparse_index_base_b
; %bb.0:
	s_clause 0x2
	s_load_b64 s[16:17], s[0:1], 0x58
	s_load_b64 s[12:13], s[0:1], 0x8
	;; [unrolled: 1-line block ×3, first 2 shown]
	s_wait_kmcnt 0x0
	s_bitcmp1_b32 s17, 0
	s_cselect_b32 s2, -1, 0
	s_delay_alu instid0(SALU_CYCLE_1)
	s_and_b32 vcc_lo, exec_lo, s2
	s_xor_b32 s2, s2, -1
	s_cbranch_vccnz .LBB111_2
; %bb.1:
	s_load_b32 s12, s[12:13], 0x0
.LBB111_2:
	s_and_not1_b32 vcc_lo, exec_lo, s2
	s_cbranch_vccnz .LBB111_4
; %bb.3:
	s_load_b32 s14, s[14:15], 0x0
.LBB111_4:
	s_wait_kmcnt 0x0
	s_cmp_neq_f32 s12, 0
	s_mov_b32 s6, 0
	s_cselect_b32 s2, -1, 0
	s_cmp_neq_f32 s14, 1.0
	s_cselect_b32 s3, -1, 0
	s_delay_alu instid0(SALU_CYCLE_1) | instskip(NEXT) | instid1(SALU_CYCLE_1)
	s_or_b32 s2, s2, s3
	s_and_not1_b32 vcc_lo, exec_lo, s2
	s_cbranch_vccnz .LBB111_10
; %bb.5:
	s_clause 0x1
	s_load_b64 s[4:5], s[0:1], 0x18
	s_load_b64 s[2:3], s[0:1], 0x0
	s_bfe_u32 s7, ttmp6, 0x4000c
	s_and_b32 s8, ttmp6, 15
	s_add_co_i32 s7, s7, 1
	s_getreg_b32 s9, hwreg(HW_REG_IB_STS2, 6, 4)
	s_mul_i32 s7, ttmp9, s7
	v_lshrrev_b32_e32 v1, 3, v0
	s_add_co_i32 s8, s8, s7
	s_cmp_eq_u32 s9, 0
	s_cselect_b32 s7, ttmp9, s8
	s_delay_alu instid0(VALU_DEP_1) | instid1(SALU_CYCLE_1)
	v_lshl_or_b32 v2, s7, 4, v1
	s_wait_kmcnt 0x0
	s_cmp_lg_u64 s[4:5], 0
	s_cbranch_scc0 .LBB111_11
; %bb.6:
	s_load_b32 s6, s[0:1], 0x10
	s_mov_b32 s7, 0
                                        ; implicit-def: $vgpr1
	s_wait_kmcnt 0x0
	v_cmp_gt_i32_e32 vcc_lo, s6, v2
	s_mov_b32 s6, 0
	s_and_saveexec_b32 s8, vcc_lo
	s_delay_alu instid0(SALU_CYCLE_1)
	s_xor_b32 s8, exec_lo, s8
	s_cbranch_execz .LBB111_8
; %bb.7:
	global_load_b32 v1, v2, s[4:5] scale_offset
	s_mov_b32 s6, exec_lo
	s_wait_loadcnt 0x0
	v_subrev_nc_u32_e32 v1, s16, v1
.LBB111_8:
	s_or_b32 exec_lo, exec_lo, s8
	s_delay_alu instid0(SALU_CYCLE_1)
	s_and_b32 vcc_lo, exec_lo, s7
	s_cbranch_vccz .LBB111_12
.LBB111_9:
	v_cmp_gt_i32_e32 vcc_lo, s2, v2
	s_and_not1_b32 s2, s6, exec_lo
	s_and_b32 s4, vcc_lo, exec_lo
	s_delay_alu instid0(SALU_CYCLE_1) | instskip(NEXT) | instid1(SALU_CYCLE_1)
	s_or_b32 s6, s2, s4
	s_and_saveexec_b32 s2, s6
	s_cbranch_execnz .LBB111_13
.LBB111_10:
	s_sendmsg sendmsg(MSG_DEALLOC_VGPRS)
	s_endpgm
.LBB111_11:
                                        ; implicit-def: $vgpr1
	s_cbranch_execnz .LBB111_9
.LBB111_12:
	s_delay_alu instid0(VALU_DEP_1)
	v_mov_b32_e32 v2, v1
	s_and_saveexec_b32 s2, s6
	s_cbranch_execz .LBB111_10
.LBB111_13:
	s_load_b256 s[4:11], s[0:1], 0x20
	s_mov_b32 s17, 0
	v_dual_mov_b32 v1, 0 :: v_dual_bitop2_b32 v0, 7, v0 bitop3:0x40
	s_wait_kmcnt 0x0
	s_cmp_eq_u64 s[6:7], 0
	global_load_b64 v[14:15], v2, s[4:5] scale_offset
	s_cselect_b32 vcc_lo, -1, 0
	v_ashrrev_i32_e32 v3, 31, v2
	s_cmp_eq_u32 s3, 1
	s_delay_alu instid0(VALU_DEP_1) | instskip(NEXT) | instid1(VALU_DEP_1)
	v_lshlrev_b64_e32 v[4:5], 3, v[2:3]
	v_add_nc_u64_e32 v[6:7], s[4:5], v[4:5]
	v_add_nc_u64_e32 v[4:5], s[6:7], v[4:5]
	s_wait_xcnt 0x0
	s_load_b64 s[4:5], s[0:1], 0x40
	s_delay_alu instid0(VALU_DEP_2) | instskip(NEXT) | instid1(VALU_DEP_1)
	v_add_nc_u64_e32 v[6:7], 8, v[6:7]
	v_dual_cndmask_b32 v5, v5, v7 :: v_dual_cndmask_b32 v4, v4, v6
	global_load_b64 v[6:7], v[4:5], off
	s_wait_loadcnt 0x1
	s_wait_xcnt 0x0
	v_sub_nc_u64_e64 v[4:5], v[14:15], s[16:17]
	s_delay_alu instid0(VALU_DEP_1) | instskip(NEXT) | instid1(VALU_DEP_1)
	v_add_nc_u64_e32 v[4:5], v[4:5], v[0:1]
	v_lshlrev_b64_e32 v[8:9], 5, v[4:5]
	s_delay_alu instid0(VALU_DEP_1) | instskip(SKIP_2) | instid1(VALU_DEP_1)
	v_add_nc_u64_e32 v[8:9], s[10:11], v[8:9]
	s_wait_loadcnt 0x0
	v_sub_nc_u64_e64 v[6:7], v[6:7], s[16:17]
	v_cmp_lt_i64_e64 s2, v[4:5], v[6:7]
	s_cbranch_scc1 .LBB111_25
; %bb.14:
	v_dual_mov_b32 v11, v1 :: v_dual_mov_b32 v10, v1
	v_dual_mov_b32 v13, v1 :: v_dual_mov_b32 v12, v1
	s_and_saveexec_b32 s3, s2
	s_cbranch_execz .LBB111_24
; %bb.15:
	v_dual_mov_b32 v11, v1 :: v_dual_bitop2_b32 v10, 8, v0 bitop3:0x54
	v_sub_nc_u64_e32 v[12:13], s[16:17], v[0:1]
	v_not_b32_e32 v17, v15
	v_not_b32_e32 v16, v14
	v_mov_b64_e32 v[18:19], v[8:9]
	v_sub_nc_u64_e64 v[10:11], v[10:11], s[16:17]
	s_delay_alu instid0(VALU_DEP_3) | instskip(SKIP_1) | instid1(VALU_DEP_3)
	v_add_nc_u64_e32 v[12:13], v[12:13], v[16:17]
	v_mov_b64_e32 v[16:17], v[4:5]
	v_add_nc_u64_e32 v[10:11], v[10:11], v[14:15]
	s_delay_alu instid0(VALU_DEP_1) | instskip(NEXT) | instid1(VALU_DEP_1)
	v_max_i64 v[10:11], v[10:11], v[6:7]
	v_add_nc_u64_e32 v[20:21], v[12:13], v[10:11]
	s_delay_alu instid0(VALU_DEP_1) | instskip(NEXT) | instid1(VALU_DEP_1)
	v_dual_mov_b32 v13, 0 :: v_dual_bitop2_b32 v12, 24, v20 bitop3:0x40
	v_dual_mov_b32 v10, v13 :: v_dual_mov_b32 v11, v13
	s_delay_alu instid0(VALU_DEP_2)
	v_cmp_ne_u64_e32 vcc_lo, 24, v[12:13]
	v_mov_b32_e32 v12, v13
	s_and_saveexec_b32 s6, vcc_lo
	s_cbranch_execz .LBB111_19
; %bb.16:
	v_dual_lshrrev_b32 v3, 3, v20 :: v_dual_mov_b32 v11, 0
	v_mov_b64_e32 v[18:19], v[8:9]
	v_mov_b64_e32 v[16:17], v[4:5]
	v_lshl_add_u64 v[22:23], v[4:5], 2, s[8:9]
	s_delay_alu instid0(VALU_DEP_4) | instskip(SKIP_1) | instid1(VALU_DEP_1)
	v_dual_mov_b32 v12, v11 :: v_dual_add_nc_u32 v3, 1, v3
	s_mov_b32 s7, 0
	v_dual_mov_b32 v13, v11 :: v_dual_bitop2_b32 v10, 3, v3 bitop3:0x40
	s_delay_alu instid0(VALU_DEP_1)
	v_sub_nc_u64_e32 v[24:25], 0, v[10:11]
	v_mov_b32_e32 v10, v11
.LBB111_17:                             ; =>This Inner Loop Header: Depth=1
	global_load_b32 v3, v[22:23], off
	v_add_nc_u64_e32 v[24:25], 1, v[24:25]
	v_add_nc_u64_e32 v[16:17], 8, v[16:17]
	s_wait_xcnt 0x0
	v_add_nc_u64_e32 v[22:23], 32, v[22:23]
	s_delay_alu instid0(VALU_DEP_3) | instskip(SKIP_3) | instid1(VALU_DEP_1)
	v_cmp_eq_u64_e32 vcc_lo, 0, v[24:25]
	s_or_b32 s7, vcc_lo, s7
	s_wait_loadcnt 0x0
	v_subrev_nc_u32_e32 v3, s16, v3
	v_lshlrev_b32_e32 v26, 2, v3
	s_delay_alu instid0(VALU_DEP_1) | instskip(SKIP_1) | instid1(VALU_DEP_1)
	v_ashrrev_i32_e32 v27, 31, v26
	s_wait_kmcnt 0x0
	v_lshl_add_u64 v[34:35], v[26:27], 1, s[4:5]
	s_clause 0x1
	global_load_b128 v[26:29], v[18:19], off
	global_load_b128 v[30:33], v[18:19], off offset:16
	global_load_b64 v[36:37], v[34:35], off
	s_wait_xcnt 0x1
	v_add_nc_u64_e32 v[18:19], 0x100, v[18:19]
	s_wait_loadcnt 0x2
	s_wait_xcnt 0x0
	v_and_b32_e32 v34, 0xffff0000, v26
	v_dual_lshlrev_b32 v39, 16, v28 :: v_dual_lshlrev_b32 v38, 16, v26
	v_and_b32_e32 v35, 0xffff0000, v28
	v_dual_lshlrev_b32 v41, 16, v29 :: v_dual_lshlrev_b32 v40, 16, v27
	v_and_b32_e32 v28, 0xffff0000, v27
	s_wait_loadcnt 0x1
	v_dual_lshlrev_b32 v27, 16, v32 :: v_dual_lshlrev_b32 v26, 16, v30
	s_wait_loadcnt 0x0
	v_lshlrev_b32_e32 v42, 16, v36
	v_and_b32_e32 v44, 0xffff0000, v30
	v_and_b32_e32 v45, 0xffff0000, v32
	v_and_b32_e32 v30, 0xffff0000, v36
	v_lshlrev_b32_e32 v32, 16, v37
	v_pk_fma_f32 v[10:11], v[26:27], v[42:43], v[10:11] op_sel_hi:[1,0,1]
	v_lshlrev_b32_e32 v27, 16, v33
	v_pk_fma_f32 v[12:13], v[38:39], v[42:43], v[12:13] op_sel_hi:[1,0,1]
	v_lshlrev_b32_e32 v26, 16, v31
	v_and_b32_e32 v29, 0xffff0000, v29
	v_pk_fma_f32 v[10:11], v[44:45], v[30:31], v[10:11] op_sel_hi:[1,0,1]
	s_delay_alu instid0(VALU_DEP_4)
	v_pk_fma_f32 v[12:13], v[34:35], v[30:31], v[12:13] op_sel_hi:[1,0,1]
	v_and_b32_e32 v35, 0xffff0000, v33
	v_and_b32_e32 v34, 0xffff0000, v31
	;; [unrolled: 1-line block ×3, first 2 shown]
	v_pk_fma_f32 v[10:11], v[26:27], v[32:33], v[10:11] op_sel_hi:[1,0,1]
	v_pk_fma_f32 v[12:13], v[40:41], v[32:33], v[12:13] op_sel_hi:[1,0,1]
	s_delay_alu instid0(VALU_DEP_2) | instskip(NEXT) | instid1(VALU_DEP_2)
	v_pk_fma_f32 v[10:11], v[34:35], v[30:31], v[10:11] op_sel_hi:[1,0,1]
	v_pk_fma_f32 v[12:13], v[28:29], v[30:31], v[12:13] op_sel_hi:[1,0,1]
	s_and_not1_b32 exec_lo, exec_lo, s7
	s_cbranch_execnz .LBB111_17
; %bb.18:
	s_or_b32 exec_lo, exec_lo, s7
.LBB111_19:
	s_delay_alu instid0(SALU_CYCLE_1) | instskip(NEXT) | instid1(SALU_CYCLE_1)
	s_or_b32 exec_lo, exec_lo, s6
	s_mov_b32 s6, exec_lo
	v_cmpx_lt_u64_e32 23, v[20:21]
	s_cbranch_execz .LBB111_23
; %bb.20:
	v_lshl_add_u64 v[20:21], v[16:17], 2, s[8:9]
	s_mov_b32 s7, 0
	s_delay_alu instid0(VALU_DEP_1)
	v_add_nc_u64_e32 v[20:21], 64, v[20:21]
.LBB111_21:                             ; =>This Inner Loop Header: Depth=1
	s_clause 0x3
	global_load_b32 v3, v[20:21], off offset:-64
	global_load_b32 v38, v[20:21], off offset:-32
	global_load_b32 v50, v[20:21], off
	global_load_b32 v51, v[20:21], off offset:32
	s_clause 0x3
	global_load_b128 v[22:25], v[18:19], off
	global_load_b128 v[26:29], v[18:19], off offset:16
	global_load_b128 v[30:33], v[18:19], off offset:256
	;; [unrolled: 1-line block ×3, first 2 shown]
	v_add_nc_u64_e32 v[16:17], 32, v[16:17]
	s_wait_xcnt 0x4
	v_add_nc_u64_e32 v[20:21], 0x80, v[20:21]
	s_delay_alu instid0(VALU_DEP_2)
	v_cmp_ge_i64_e32 vcc_lo, v[16:17], v[6:7]
	s_or_b32 s7, vcc_lo, s7
	s_wait_loadcnt 0x7
	v_subrev_nc_u32_e32 v3, s16, v3
	s_wait_loadcnt 0x6
	v_subrev_nc_u32_e32 v39, s16, v38
	s_wait_loadcnt 0x3
	v_dual_lshlrev_b32 v64, 16, v22 :: v_dual_lshlrev_b32 v71, 16, v25
	s_delay_alu instid0(VALU_DEP_2)
	v_lshlrev_b32_e32 v46, 2, v39
	v_lshlrev_b32_e32 v38, 2, v3
	v_subrev_nc_u32_e32 v3, s16, v50
	s_wait_loadcnt 0x2
	v_dual_lshlrev_b32 v68, 16, v26 :: v_dual_lshlrev_b32 v70, 16, v23
	v_ashrrev_i32_e32 v47, 31, v46
	v_ashrrev_i32_e32 v39, 31, v38
	v_and_b32_e32 v66, 0xffff0000, v26
	v_and_b32_e32 v67, 0xffff0000, v28
	s_wait_loadcnt 0x1
	v_and_b32_e32 v73, 0xffff0000, v32
	s_wait_kmcnt 0x0
	v_lshl_add_u64 v[46:47], v[46:47], 1, s[4:5]
	v_lshl_add_u64 v[48:49], v[38:39], 1, s[4:5]
	v_and_b32_e32 v72, 0xffff0000, v30
	v_dual_lshlrev_b32 v75, 16, v33 :: v_dual_lshlrev_b32 v74, 16, v31
	global_load_b64 v[54:55], v[48:49], off
	s_clause 0x1
	global_load_b128 v[38:41], v[18:19], off offset:272
	global_load_b128 v[42:45], v[18:19], off offset:528
	global_load_b64 v[56:57], v[46:47], off
	s_wait_xcnt 0x3
	v_subrev_nc_u32_e32 v48, s16, v51
	s_wait_xcnt 0x0
	v_dual_lshlrev_b32 v46, 2, v3 :: v_dual_lshlrev_b32 v65, 16, v24
	s_wait_loadcnt 0x4
	v_and_b32_e32 v77, 0xffff0000, v36
	v_and_b32_e32 v76, 0xffff0000, v34
	s_delay_alu instid0(VALU_DEP_3) | instskip(SKIP_1) | instid1(VALU_DEP_2)
	v_dual_lshlrev_b32 v50, 2, v48 :: v_dual_ashrrev_i32 v47, 31, v46
	v_dual_lshlrev_b32 v69, 16, v28 :: v_dual_lshlrev_b32 v79, 16, v37
	v_dual_lshlrev_b32 v78, 16, v35 :: v_dual_ashrrev_i32 v51, 31, v50
	s_delay_alu instid0(VALU_DEP_3)
	v_lshl_add_u64 v[52:53], v[46:47], 1, s[4:5]
	global_load_b64 v[58:59], v[52:53], off
	global_load_b128 v[46:49], v[18:19], off offset:768
	v_lshl_add_u64 v[60:61], v[50:51], 1, s[4:5]
	global_load_b128 v[50:53], v[18:19], off offset:784
	global_load_b64 v[62:63], v[60:61], off
	s_wait_xcnt 0x0
	v_and_b32_e32 v60, 0xffff0000, v22
	v_and_b32_e32 v61, 0xffff0000, v24
	;; [unrolled: 1-line block ×3, first 2 shown]
	v_dual_lshlrev_b32 v23, 16, v32 :: v_dual_lshlrev_b32 v22, 16, v30
	v_and_b32_e32 v32, 0xffff0000, v31
	v_dual_lshlrev_b32 v31, 16, v36 :: v_dual_lshlrev_b32 v30, 16, v34
	v_and_b32_e32 v36, 0xffff0000, v35
	;; [unrolled: 2-line block ×3, first 2 shown]
	v_and_b32_e32 v25, 0xffff0000, v25
	v_and_b32_e32 v29, 0xffff0000, v29
	;; [unrolled: 1-line block ×4, first 2 shown]
	v_add_nc_u64_e32 v[18:19], 0x400, v[18:19]
	s_wait_loadcnt 0x6
	v_dual_lshlrev_b32 v80, 16, v54 :: v_dual_lshlrev_b32 v27, 16, v40
	v_lshlrev_b32_e32 v26, 16, v38
	v_and_b32_e32 v82, 0xffff0000, v38
	v_and_b32_e32 v38, 0xffff0000, v54
	s_delay_alu instid0(VALU_DEP_4)
	v_pk_fma_f32 v[12:13], v[64:65], v[80:81], v[12:13] op_sel_hi:[1,0,1]
	v_lshlrev_b32_e32 v65, 16, v41
	v_pk_fma_f32 v[10:11], v[68:69], v[80:81], v[10:11] op_sel_hi:[1,0,1]
	v_and_b32_e32 v83, 0xffff0000, v40
	v_lshlrev_b32_e32 v40, 16, v55
	v_pk_fma_f32 v[12:13], v[60:61], v[38:39], v[12:13] op_sel_hi:[1,0,1]
	v_lshlrev_b32_e32 v64, 16, v39
	v_pk_fma_f32 v[10:11], v[66:67], v[38:39], v[10:11] op_sel_hi:[1,0,1]
	v_and_b32_e32 v38, 0xffff0000, v55
	v_and_b32_e32 v61, 0xffff0000, v41
	;; [unrolled: 1-line block ×3, first 2 shown]
	s_delay_alu instid0(VALU_DEP_4)
	v_pk_fma_f32 v[10:11], v[34:35], v[40:41], v[10:11] op_sel_hi:[1,0,1]
	s_wait_loadcnt 0x5
	v_lshlrev_b32_e32 v34, 16, v42
	v_pk_fma_f32 v[12:13], v[70:71], v[40:41], v[12:13] op_sel_hi:[1,0,1]
	s_wait_loadcnt 0x4
	v_lshlrev_b32_e32 v40, 16, v56
	v_lshlrev_b32_e32 v35, 16, v44
	v_pk_fma_f32 v[10:11], v[28:29], v[38:39], v[10:11] op_sel_hi:[1,0,1]
	v_and_b32_e32 v28, 0xffff0000, v56
	v_pk_fma_f32 v[12:13], v[24:25], v[38:39], v[12:13] op_sel_hi:[1,0,1]
	v_and_b32_e32 v38, 0xffff0000, v57
	v_and_b32_e32 v25, 0xffff0000, v44
	;; [unrolled: 1-line block ×3, first 2 shown]
	s_delay_alu instid0(VALU_DEP_4) | instskip(SKIP_3) | instid1(VALU_DEP_4)
	v_pk_fma_f32 v[12:13], v[22:23], v[40:41], v[12:13] op_sel_hi:[1,0,1]
	v_lshlrev_b32_e32 v23, 16, v45
	v_pk_fma_f32 v[10:11], v[26:27], v[40:41], v[10:11] op_sel_hi:[1,0,1]
	v_dual_lshlrev_b32 v22, 16, v43 :: v_dual_lshlrev_b32 v26, 16, v57
	v_pk_fma_f32 v[12:13], v[72:73], v[28:29], v[12:13] op_sel_hi:[1,0,1]
	s_wait_loadcnt 0x3
	v_lshlrev_b32_e32 v40, 16, v58
	v_pk_fma_f32 v[10:11], v[82:83], v[28:29], v[10:11] op_sel_hi:[1,0,1]
	v_and_b32_e32 v29, 0xffff0000, v45
	v_and_b32_e32 v28, 0xffff0000, v43
	v_pk_fma_f32 v[12:13], v[74:75], v[26:27], v[12:13] op_sel_hi:[1,0,1]
	s_delay_alu instid0(VALU_DEP_4) | instskip(SKIP_2) | instid1(VALU_DEP_3)
	v_pk_fma_f32 v[10:11], v[64:65], v[26:27], v[10:11] op_sel_hi:[1,0,1]
	s_wait_loadcnt 0x2
	v_dual_lshlrev_b32 v26, 16, v46 :: v_dual_lshlrev_b32 v27, 16, v48
	v_pk_fma_f32 v[12:13], v[32:33], v[38:39], v[12:13] op_sel_hi:[1,0,1]
	v_and_b32_e32 v33, 0xffff0000, v48
	v_pk_fma_f32 v[10:11], v[60:61], v[38:39], v[10:11] op_sel_hi:[1,0,1]
	v_and_b32_e32 v38, 0xffff0000, v58
	v_and_b32_e32 v32, 0xffff0000, v46
	v_pk_fma_f32 v[12:13], v[30:31], v[40:41], v[12:13] op_sel_hi:[1,0,1]
	v_lshlrev_b32_e32 v31, 16, v49
	v_pk_fma_f32 v[10:11], v[34:35], v[40:41], v[10:11] op_sel_hi:[1,0,1]
	v_lshlrev_b32_e32 v34, 16, v59
	v_lshlrev_b32_e32 v30, 16, v47
	v_pk_fma_f32 v[12:13], v[76:77], v[38:39], v[12:13] op_sel_hi:[1,0,1]
	s_delay_alu instid0(VALU_DEP_4) | instskip(SKIP_3) | instid1(VALU_DEP_4)
	v_pk_fma_f32 v[10:11], v[24:25], v[38:39], v[10:11] op_sel_hi:[1,0,1]
	v_and_b32_e32 v38, 0xffff0000, v59
	v_and_b32_e32 v25, 0xffff0000, v49
	;; [unrolled: 1-line block ×3, first 2 shown]
	v_pk_fma_f32 v[10:11], v[22:23], v[34:35], v[10:11] op_sel_hi:[1,0,1]
	s_wait_loadcnt 0x1
	v_lshlrev_b32_e32 v23, 16, v52
	v_pk_fma_f32 v[12:13], v[78:79], v[34:35], v[12:13] op_sel_hi:[1,0,1]
	v_lshlrev_b32_e32 v22, 16, v50
	s_wait_loadcnt 0x0
	v_lshlrev_b32_e32 v34, 16, v62
	v_pk_fma_f32 v[10:11], v[28:29], v[38:39], v[10:11] op_sel_hi:[1,0,1]
	v_and_b32_e32 v29, 0xffff0000, v52
	v_pk_fma_f32 v[12:13], v[36:37], v[38:39], v[12:13] op_sel_hi:[1,0,1]
	v_and_b32_e32 v28, 0xffff0000, v50
	v_and_b32_e32 v36, 0xffff0000, v62
	v_pk_fma_f32 v[10:11], v[22:23], v[34:35], v[10:11] op_sel_hi:[1,0,1]
	v_lshlrev_b32_e32 v23, 16, v53
	v_pk_fma_f32 v[12:13], v[26:27], v[34:35], v[12:13] op_sel_hi:[1,0,1]
	v_lshlrev_b32_e32 v22, 16, v51
	v_lshlrev_b32_e32 v26, 16, v63
	v_pk_fma_f32 v[10:11], v[28:29], v[36:37], v[10:11] op_sel_hi:[1,0,1]
	v_and_b32_e32 v29, 0xffff0000, v53
	v_pk_fma_f32 v[12:13], v[32:33], v[36:37], v[12:13] op_sel_hi:[1,0,1]
	v_and_b32_e32 v28, 0xffff0000, v51
	v_and_b32_e32 v32, 0xffff0000, v63
	v_pk_fma_f32 v[10:11], v[22:23], v[26:27], v[10:11] op_sel_hi:[1,0,1]
	s_delay_alu instid0(VALU_DEP_4) | instskip(NEXT) | instid1(VALU_DEP_2)
	v_pk_fma_f32 v[12:13], v[30:31], v[26:27], v[12:13] op_sel_hi:[1,0,1]
	v_pk_fma_f32 v[10:11], v[28:29], v[32:33], v[10:11] op_sel_hi:[1,0,1]
	s_delay_alu instid0(VALU_DEP_2)
	v_pk_fma_f32 v[12:13], v[24:25], v[32:33], v[12:13] op_sel_hi:[1,0,1]
	s_and_not1_b32 exec_lo, exec_lo, s7
	s_cbranch_execnz .LBB111_21
; %bb.22:
	s_or_b32 exec_lo, exec_lo, s7
.LBB111_23:
	s_delay_alu instid0(SALU_CYCLE_1)
	s_or_b32 exec_lo, exec_lo, s6
.LBB111_24:
	s_delay_alu instid0(SALU_CYCLE_1)
	s_or_b32 exec_lo, exec_lo, s3
	s_cbranch_execz .LBB111_26
	s_branch .LBB111_37
.LBB111_25:
                                        ; implicit-def: $vgpr11
                                        ; implicit-def: $vgpr13
.LBB111_26:
	v_dual_mov_b32 v11, 0 :: v_dual_mov_b32 v10, 0
	v_dual_mov_b32 v13, 0 :: v_dual_mov_b32 v12, 0
	s_and_saveexec_b32 s3, s2
	s_cbranch_execz .LBB111_36
; %bb.27:
	v_dual_mov_b32 v11, v1 :: v_dual_bitop2_b32 v10, 8, v0 bitop3:0x54
	v_sub_nc_u64_e32 v[12:13], s[16:17], v[0:1]
	s_delay_alu instid0(VALU_DEP_2) | instskip(NEXT) | instid1(VALU_DEP_1)
	v_sub_nc_u64_e64 v[10:11], v[10:11], s[16:17]
	v_add_nc_u64_e32 v[10:11], v[10:11], v[14:15]
	v_not_b32_e32 v15, v15
	v_not_b32_e32 v14, v14
	s_delay_alu instid0(VALU_DEP_1) | instskip(NEXT) | instid1(VALU_DEP_4)
	v_add_nc_u64_e32 v[12:13], v[12:13], v[14:15]
	v_max_i64 v[10:11], v[10:11], v[6:7]
	s_delay_alu instid0(VALU_DEP_1) | instskip(NEXT) | instid1(VALU_DEP_1)
	v_add_nc_u64_e32 v[14:15], v[12:13], v[10:11]
	v_dual_mov_b32 v13, 0 :: v_dual_bitop2_b32 v12, 24, v14 bitop3:0x40
	s_delay_alu instid0(VALU_DEP_1) | instskip(NEXT) | instid1(VALU_DEP_2)
	v_dual_mov_b32 v11, v13 :: v_dual_mov_b32 v10, v13
	v_cmp_ne_u64_e32 vcc_lo, 24, v[12:13]
	v_mov_b32_e32 v12, v13
	s_and_saveexec_b32 s2, vcc_lo
	s_cbranch_execz .LBB111_31
; %bb.28:
	v_dual_lshrrev_b32 v1, 3, v14 :: v_dual_mov_b32 v11, 0
	v_lshl_add_u64 v[16:17], v[4:5], 2, s[8:9]
	s_mov_b32 s6, 0
	s_delay_alu instid0(VALU_DEP_2) | instskip(NEXT) | instid1(VALU_DEP_1)
	v_dual_mov_b32 v12, v11 :: v_dual_add_nc_u32 v1, 1, v1
	v_dual_mov_b32 v13, v11 :: v_dual_bitop2_b32 v10, 3, v1 bitop3:0x40
	s_delay_alu instid0(VALU_DEP_1)
	v_sub_nc_u64_e32 v[18:19], 0, v[10:11]
	v_mov_b32_e32 v10, v11
.LBB111_29:                             ; =>This Inner Loop Header: Depth=1
	global_load_b32 v1, v[16:17], off
	global_load_b128 v[20:23], v[8:9], off
	v_add_nc_u64_e32 v[18:19], 1, v[18:19]
	v_add_nc_u64_e32 v[4:5], 8, v[4:5]
	s_wait_xcnt 0x1
	v_add_nc_u64_e32 v[16:17], 32, v[16:17]
	s_delay_alu instid0(VALU_DEP_3)
	v_cmp_eq_u64_e32 vcc_lo, 0, v[18:19]
	s_or_b32 s6, vcc_lo, s6
	s_wait_loadcnt 0x1
	v_subrev_nc_u32_e32 v1, s16, v1
	s_wait_loadcnt 0x0
	v_and_b32_e32 v33, 0xffff0000, v21
	v_and_b32_e32 v35, 0xffff0000, v23
	v_lshlrev_b32_e32 v32, 16, v21
	v_and_b32_e32 v21, 0xffff0000, v22
	v_dual_lshlrev_b32 v24, 2, v1 :: v_dual_lshlrev_b32 v34, 16, v23
	s_delay_alu instid0(VALU_DEP_1) | instskip(SKIP_1) | instid1(VALU_DEP_1)
	v_ashrrev_i32_e32 v25, 31, v24
	s_wait_kmcnt 0x0
	v_lshl_add_u64 v[28:29], v[24:25], 1, s[4:5]
	global_load_b64 v[30:31], v[28:29], off
	global_load_b128 v[24:27], v[8:9], off offset:16
	s_wait_xcnt 0x1
	v_and_b32_e32 v29, 0xffff0000, v20
	v_dual_lshlrev_b32 v28, 16, v20 :: v_dual_lshlrev_b32 v20, 16, v22
	s_wait_xcnt 0x0
	v_add_nc_u64_e32 v[8:9], 0x100, v[8:9]
	s_wait_loadcnt 0x0
	v_and_b32_e32 v23, 0xffff0000, v24
	v_dual_lshlrev_b32 v22, 16, v24 :: v_dual_lshlrev_b32 v24, 16, v30
	v_and_b32_e32 v37, 0xffff0000, v26
	v_lshlrev_b32_e32 v36, 16, v26
	v_and_b32_e32 v26, 0xffff0000, v30
	s_delay_alu instid0(VALU_DEP_4) | instskip(SKIP_3) | instid1(VALU_DEP_4)
	v_pk_fma_f32 v[12:13], v[28:29], v[24:25], v[12:13] op_sel_hi:[1,0,1]
	v_pk_fma_f32 v[10:11], v[32:33], v[24:25], v[10:11] op_sel_hi:[1,0,1]
	v_and_b32_e32 v29, 0xffff0000, v25
	v_dual_lshlrev_b32 v28, 16, v25 :: v_dual_lshlrev_b32 v24, 16, v31
	v_pk_fma_f32 v[12:13], v[20:21], v[26:27], v[12:13] op_sel_hi:[1,0,1]
	s_delay_alu instid0(VALU_DEP_4)
	v_pk_fma_f32 v[10:11], v[34:35], v[26:27], v[10:11] op_sel_hi:[1,0,1]
	v_and_b32_e32 v21, 0xffff0000, v27
	v_lshlrev_b32_e32 v20, 16, v27
	v_and_b32_e32 v26, 0xffff0000, v31
	v_pk_fma_f32 v[12:13], v[22:23], v[24:25], v[12:13] op_sel_hi:[1,0,1]
	v_pk_fma_f32 v[10:11], v[28:29], v[24:25], v[10:11] op_sel_hi:[1,0,1]
	s_delay_alu instid0(VALU_DEP_2) | instskip(NEXT) | instid1(VALU_DEP_2)
	v_pk_fma_f32 v[12:13], v[36:37], v[26:27], v[12:13] op_sel_hi:[1,0,1]
	v_pk_fma_f32 v[10:11], v[20:21], v[26:27], v[10:11] op_sel_hi:[1,0,1]
	s_and_not1_b32 exec_lo, exec_lo, s6
	s_cbranch_execnz .LBB111_29
; %bb.30:
	s_or_b32 exec_lo, exec_lo, s6
.LBB111_31:
	s_delay_alu instid0(SALU_CYCLE_1) | instskip(NEXT) | instid1(SALU_CYCLE_1)
	s_or_b32 exec_lo, exec_lo, s2
	s_mov_b32 s2, exec_lo
	v_cmpx_lt_u64_e32 23, v[14:15]
	s_cbranch_execz .LBB111_35
; %bb.32:
	v_lshl_add_u64 v[14:15], v[4:5], 2, s[8:9]
	s_mov_b32 s6, 0
	s_delay_alu instid0(VALU_DEP_1)
	v_add_nc_u64_e32 v[14:15], 64, v[14:15]
.LBB111_33:                             ; =>This Inner Loop Header: Depth=1
	s_clause 0x3
	global_load_b32 v1, v[14:15], off offset:-64
	global_load_b32 v3, v[14:15], off offset:-32
	global_load_b32 v38, v[14:15], off
	global_load_b32 v52, v[14:15], off offset:32
	s_clause 0x4
	global_load_b128 v[16:19], v[8:9], off
	global_load_b128 v[20:23], v[8:9], off offset:16
	global_load_b128 v[24:27], v[8:9], off offset:256
	;; [unrolled: 1-line block ×4, first 2 shown]
	v_add_nc_u64_e32 v[4:5], 32, v[4:5]
	s_wait_xcnt 0x5
	v_add_nc_u64_e32 v[14:15], 0x80, v[14:15]
	s_delay_alu instid0(VALU_DEP_2)
	v_cmp_ge_i64_e32 vcc_lo, v[4:5], v[6:7]
	s_or_b32 s6, vcc_lo, s6
	s_wait_loadcnt 0x8
	v_subrev_nc_u32_e32 v1, s16, v1
	s_wait_loadcnt 0x4
	v_and_b32_e32 v59, 0xffff0000, v17
	s_delay_alu instid0(VALU_DEP_2)
	v_lshlrev_b32_e32 v36, 2, v1
	v_subrev_nc_u32_e32 v1, s16, v3
	v_subrev_nc_u32_e32 v3, s16, v38
	s_wait_loadcnt 0x1
	v_and_b32_e32 v69, 0xffff0000, v28
	v_dual_lshlrev_b32 v68, 16, v28 :: v_dual_lshlrev_b32 v70, 16, v30
	v_and_b32_e32 v71, 0xffff0000, v30
	v_dual_lshlrev_b32 v44, 2, v3 :: v_dual_ashrrev_i32 v37, 31, v36
	v_and_b32_e32 v61, 0xffff0000, v19
	s_wait_loadcnt 0x0
	v_and_b32_e32 v73, 0xffff0000, v32
	v_dual_lshlrev_b32 v72, 16, v32 :: v_dual_lshlrev_b32 v74, 16, v21
	s_wait_kmcnt 0x0
	v_lshl_add_u64 v[36:37], v[36:37], 1, s[4:5]
	v_and_b32_e32 v75, 0xffff0000, v21
	v_and_b32_e32 v77, 0xffff0000, v34
	v_lshlrev_b32_e32 v76, 16, v34
	v_and_b32_e32 v63, 0xffff0000, v22
	global_load_b64 v[48:49], v[36:37], off
	s_wait_xcnt 0x0
	v_lshlrev_b32_e32 v36, 2, v1
	v_subrev_nc_u32_e32 v1, s16, v52
	v_lshlrev_b32_e32 v28, 16, v31
	v_and_b32_e32 v21, 0xffff0000, v23
	v_and_b32_e32 v65, 0xffff0000, v24
	v_ashrrev_i32_e32 v37, 31, v36
	v_dual_lshlrev_b32 v64, 16, v24 :: v_dual_lshlrev_b32 v66, 16, v26
	v_and_b32_e32 v67, 0xffff0000, v26
	v_dual_lshlrev_b32 v24, 16, v27 :: v_dual_lshlrev_b32 v26, 16, v29
	s_delay_alu instid0(VALU_DEP_4)
	v_lshl_add_u64 v[46:47], v[36:37], 1, s[4:5]
	global_load_b64 v[50:51], v[46:47], off
	s_clause 0x1
	global_load_b128 v[36:39], v[8:9], off offset:528
	global_load_b128 v[40:43], v[8:9], off offset:768
	s_wait_xcnt 0x2
	v_dual_lshlrev_b32 v46, 2, v1 :: v_dual_ashrrev_i32 v45, 31, v44
	v_lshlrev_b32_e32 v58, 16, v17
	v_and_b32_e32 v17, 0xffff0000, v18
	s_delay_alu instid0(VALU_DEP_3) | instskip(NEXT) | instid1(VALU_DEP_4)
	v_dual_lshlrev_b32 v60, 16, v19 :: v_dual_ashrrev_i32 v47, 31, v46
	v_lshl_add_u64 v[44:45], v[44:45], 1, s[4:5]
	v_and_b32_e32 v19, 0xffff0000, v20
	v_dual_lshlrev_b32 v62, 16, v22 :: v_dual_lshlrev_b32 v22, 16, v25
	s_delay_alu instid0(VALU_DEP_4)
	v_lshl_add_u64 v[54:55], v[46:47], 1, s[4:5]
	s_clause 0x1
	global_load_b64 v[52:53], v[44:45], off
	global_load_b64 v[56:57], v[54:55], off
	global_load_b128 v[44:47], v[8:9], off offset:784
	s_wait_xcnt 0x1
	v_and_b32_e32 v55, 0xffff0000, v16
	v_dual_lshlrev_b32 v54, 16, v16 :: v_dual_lshlrev_b32 v16, 16, v18
	v_dual_lshlrev_b32 v18, 16, v20 :: v_dual_lshlrev_b32 v20, 16, v23
	v_and_b32_e32 v23, 0xffff0000, v25
	v_and_b32_e32 v25, 0xffff0000, v27
	;; [unrolled: 1-line block ×4, first 2 shown]
	s_wait_xcnt 0x0
	v_add_nc_u64_e32 v[8:9], 0x400, v[8:9]
	s_wait_loadcnt 0x6
	v_lshlrev_b32_e32 v30, 16, v48
	v_and_b32_e32 v32, 0xffff0000, v48
	v_lshlrev_b32_e32 v34, 16, v49
	s_delay_alu instid0(VALU_DEP_3) | instskip(SKIP_3) | instid1(VALU_DEP_4)
	v_pk_fma_f32 v[12:13], v[54:55], v[30:31], v[12:13] op_sel_hi:[1,0,1]
	v_pk_fma_f32 v[10:11], v[58:59], v[30:31], v[10:11] op_sel_hi:[1,0,1]
	v_and_b32_e32 v31, 0xffff0000, v33
	v_lshlrev_b32_e32 v30, 16, v33
	v_pk_fma_f32 v[12:13], v[16:17], v[32:33], v[12:13] op_sel_hi:[1,0,1]
	s_delay_alu instid0(VALU_DEP_4)
	v_pk_fma_f32 v[10:11], v[60:61], v[32:33], v[10:11] op_sel_hi:[1,0,1]
	v_lshlrev_b32_e32 v16, 16, v35
	v_and_b32_e32 v32, 0xffff0000, v49
	v_and_b32_e32 v17, 0xffff0000, v35
	v_pk_fma_f32 v[12:13], v[18:19], v[34:35], v[12:13] op_sel_hi:[1,0,1]
	v_pk_fma_f32 v[10:11], v[74:75], v[34:35], v[10:11] op_sel_hi:[1,0,1]
	s_wait_loadcnt 0x4
	v_dual_lshlrev_b32 v18, 16, v36 :: v_dual_lshlrev_b32 v34, 16, v50
	v_and_b32_e32 v19, 0xffff0000, v36
	v_pk_fma_f32 v[12:13], v[62:63], v[32:33], v[12:13] op_sel_hi:[1,0,1]
	v_pk_fma_f32 v[10:11], v[20:21], v[32:33], v[10:11] op_sel_hi:[1,0,1]
	v_and_b32_e32 v32, 0xffff0000, v50
	v_and_b32_e32 v21, 0xffff0000, v37
	v_lshlrev_b32_e32 v20, 16, v37
	v_pk_fma_f32 v[12:13], v[64:65], v[34:35], v[12:13] op_sel_hi:[1,0,1]
	v_pk_fma_f32 v[10:11], v[22:23], v[34:35], v[10:11] op_sel_hi:[1,0,1]
	v_lshlrev_b32_e32 v34, 16, v51
	v_and_b32_e32 v23, 0xffff0000, v38
	v_lshlrev_b32_e32 v22, 16, v38
	v_pk_fma_f32 v[12:13], v[66:67], v[32:33], v[12:13] op_sel_hi:[1,0,1]
	v_pk_fma_f32 v[10:11], v[24:25], v[32:33], v[10:11] op_sel_hi:[1,0,1]
	v_and_b32_e32 v32, 0xffff0000, v51
	v_lshlrev_b32_e32 v24, 16, v39
	v_and_b32_e32 v25, 0xffff0000, v39
	s_delay_alu instid0(VALU_DEP_4)
	v_pk_fma_f32 v[10:11], v[26:27], v[34:35], v[10:11] op_sel_hi:[1,0,1]
	s_wait_loadcnt 0x3
	v_lshlrev_b32_e32 v26, 16, v40
	v_pk_fma_f32 v[12:13], v[68:69], v[34:35], v[12:13] op_sel_hi:[1,0,1]
	s_wait_loadcnt 0x2
	v_lshlrev_b32_e32 v34, 16, v52
	v_and_b32_e32 v27, 0xffff0000, v40
	v_pk_fma_f32 v[10:11], v[28:29], v[32:33], v[10:11] op_sel_hi:[1,0,1]
	v_and_b32_e32 v29, 0xffff0000, v41
	v_pk_fma_f32 v[12:13], v[70:71], v[32:33], v[12:13] op_sel_hi:[1,0,1]
	v_and_b32_e32 v32, 0xffff0000, v52
	v_lshlrev_b32_e32 v28, 16, v41
	v_pk_fma_f32 v[10:11], v[30:31], v[34:35], v[10:11] op_sel_hi:[1,0,1]
	v_and_b32_e32 v31, 0xffff0000, v42
	v_pk_fma_f32 v[12:13], v[72:73], v[34:35], v[12:13] op_sel_hi:[1,0,1]
	v_dual_lshlrev_b32 v34, 16, v53 :: v_dual_lshlrev_b32 v30, 16, v42
	s_delay_alu instid0(VALU_DEP_4)
	v_pk_fma_f32 v[10:11], v[16:17], v[32:33], v[10:11] op_sel_hi:[1,0,1]
	s_wait_loadcnt 0x0
	v_lshlrev_b32_e32 v16, 16, v44
	v_pk_fma_f32 v[12:13], v[76:77], v[32:33], v[12:13] op_sel_hi:[1,0,1]
	v_and_b32_e32 v32, 0xffff0000, v53
	v_and_b32_e32 v17, 0xffff0000, v44
	v_pk_fma_f32 v[10:11], v[20:21], v[34:35], v[10:11] op_sel_hi:[1,0,1]
	v_lshlrev_b32_e32 v20, 16, v56
	v_pk_fma_f32 v[12:13], v[18:19], v[34:35], v[12:13] op_sel_hi:[1,0,1]
	v_lshlrev_b32_e32 v18, 16, v46
	v_and_b32_e32 v19, 0xffff0000, v46
	v_pk_fma_f32 v[10:11], v[24:25], v[32:33], v[10:11] op_sel_hi:[1,0,1]
	v_and_b32_e32 v24, 0xffff0000, v56
	v_pk_fma_f32 v[12:13], v[22:23], v[32:33], v[12:13] op_sel_hi:[1,0,1]
	v_and_b32_e32 v23, 0xffff0000, v43
	v_lshlrev_b32_e32 v22, 16, v43
	v_pk_fma_f32 v[10:11], v[28:29], v[20:21], v[10:11] op_sel_hi:[1,0,1]
	s_delay_alu instid0(VALU_DEP_4)
	v_pk_fma_f32 v[12:13], v[26:27], v[20:21], v[12:13] op_sel_hi:[1,0,1]
	v_and_b32_e32 v21, 0xffff0000, v45
	v_lshlrev_b32_e32 v20, 16, v45
	v_lshlrev_b32_e32 v26, 16, v57
	v_pk_fma_f32 v[10:11], v[22:23], v[24:25], v[10:11] op_sel_hi:[1,0,1]
	v_pk_fma_f32 v[12:13], v[30:31], v[24:25], v[12:13] op_sel_hi:[1,0,1]
	v_and_b32_e32 v23, 0xffff0000, v47
	v_lshlrev_b32_e32 v22, 16, v47
	v_and_b32_e32 v24, 0xffff0000, v57
	v_pk_fma_f32 v[10:11], v[20:21], v[26:27], v[10:11] op_sel_hi:[1,0,1]
	v_pk_fma_f32 v[12:13], v[16:17], v[26:27], v[12:13] op_sel_hi:[1,0,1]
	s_delay_alu instid0(VALU_DEP_2) | instskip(NEXT) | instid1(VALU_DEP_2)
	v_pk_fma_f32 v[10:11], v[22:23], v[24:25], v[10:11] op_sel_hi:[1,0,1]
	v_pk_fma_f32 v[12:13], v[18:19], v[24:25], v[12:13] op_sel_hi:[1,0,1]
	s_and_not1_b32 exec_lo, exec_lo, s6
	s_cbranch_execnz .LBB111_33
; %bb.34:
	s_or_b32 exec_lo, exec_lo, s6
.LBB111_35:
	s_delay_alu instid0(SALU_CYCLE_1)
	s_or_b32 exec_lo, exec_lo, s2
.LBB111_36:
	s_delay_alu instid0(SALU_CYCLE_1)
	s_or_b32 exec_lo, exec_lo, s3
.LBB111_37:
	v_mbcnt_lo_u32_b32 v1, -1, 0
	s_mov_b32 s2, -1
	s_delay_alu instid0(VALU_DEP_1) | instskip(NEXT) | instid1(VALU_DEP_1)
	v_xor_b32_e32 v3, 4, v1
	v_cmp_gt_i32_e32 vcc_lo, 32, v3
	v_cndmask_b32_e32 v3, v1, v3, vcc_lo
	s_delay_alu instid0(VALU_DEP_1)
	v_lshlrev_b32_e32 v3, 2, v3
	ds_bpermute_b32 v4, v3, v12
	ds_bpermute_b32 v5, v3, v13
	ds_bpermute_b32 v6, v3, v10
	ds_bpermute_b32 v7, v3, v11
	v_xor_b32_e32 v3, 2, v1
	s_delay_alu instid0(VALU_DEP_1) | instskip(SKIP_1) | instid1(VALU_DEP_1)
	v_cmp_gt_i32_e32 vcc_lo, 32, v3
	v_cndmask_b32_e32 v3, v1, v3, vcc_lo
	v_lshlrev_b32_e32 v3, 2, v3
	s_wait_dscnt 0x2
	v_pk_add_f32 v[4:5], v[12:13], v[4:5]
	s_wait_dscnt 0x0
	v_pk_add_f32 v[6:7], v[10:11], v[6:7]
	ds_bpermute_b32 v8, v3, v4
	ds_bpermute_b32 v9, v3, v5
	;; [unrolled: 1-line block ×4, first 2 shown]
	v_xor_b32_e32 v3, 1, v1
	s_delay_alu instid0(VALU_DEP_1) | instskip(SKIP_2) | instid1(VALU_DEP_2)
	v_cmp_gt_i32_e32 vcc_lo, 32, v3
	v_cndmask_b32_e32 v1, v1, v3, vcc_lo
	v_cmp_eq_u32_e32 vcc_lo, 7, v0
	v_lshlrev_b32_e32 v1, 2, v1
	s_wait_dscnt 0x2
	v_pk_add_f32 v[4:5], v[4:5], v[8:9]
	s_wait_dscnt 0x0
	v_pk_add_f32 v[6:7], v[6:7], v[10:11]
	ds_bpermute_b32 v10, v1, v4
	ds_bpermute_b32 v11, v1, v5
	;; [unrolled: 1-line block ×4, first 2 shown]
	s_and_b32 exec_lo, exec_lo, vcc_lo
	s_cbranch_execz .LBB111_10
; %bb.38:
	s_load_b64 s[0:1], s[0:1], 0x50
	s_wait_dscnt 0x2
	v_pk_add_f32 v[4:5], v[4:5], v[10:11]
	s_wait_dscnt 0x0
	v_pk_add_f32 v[0:1], v[6:7], v[8:9]
	v_lshlrev_b32_e32 v2, 2, v2
	s_cmp_eq_f32 s14, 0
	s_cbranch_scc0 .LBB111_40
; %bb.39:
	s_delay_alu instid0(VALU_DEP_1)
	v_ashrrev_i32_e32 v3, 31, v2
	v_pk_mul_f32 v[6:7], s[12:13], v[4:5] op_sel_hi:[0,1]
	v_pk_mul_f32 v[8:9], s[12:13], v[0:1] op_sel_hi:[0,1]
	s_mov_b32 s2, 0
	s_wait_kmcnt 0x0
	v_lshl_add_u64 v[10:11], v[2:3], 2, s[0:1]
	global_store_b128 v[10:11], v[6:9], off
.LBB111_40:
	s_and_not1_b32 vcc_lo, exec_lo, s2
	s_cbranch_vccnz .LBB111_10
; %bb.41:
	v_ashrrev_i32_e32 v3, 31, v2
	s_wait_kmcnt 0x0
	s_delay_alu instid0(VALU_DEP_1)
	v_lshl_add_u64 v[10:11], v[2:3], 2, s[0:1]
	v_pk_mul_f32 v[2:3], s[12:13], v[4:5] op_sel_hi:[0,1]
	v_pk_mul_f32 v[4:5], s[12:13], v[0:1] op_sel_hi:[0,1]
	global_load_b128 v[6:9], v[10:11], off
	s_wait_loadcnt 0x0
	v_pk_fma_f32 v[0:1], s[14:15], v[6:7], v[2:3] op_sel_hi:[0,1,1]
	v_pk_fma_f32 v[2:3], s[14:15], v[8:9], v[4:5] op_sel_hi:[0,1,1]
	global_store_b128 v[10:11], v[0:3], off
	s_sendmsg sendmsg(MSG_DEALLOC_VGPRS)
	s_endpgm
	.section	.rodata,"a",@progbits
	.p2align	6, 0x0
	.amdhsa_kernel _ZN9rocsparseL18bsrxmvn_4x4_kernelILj128ELj8Efli18rocsparse_bfloat16S1_fEEvT3_20rocsparse_direction_NS_24const_host_device_scalarIT1_EES2_PKS2_PKT2_SB_S8_PKT4_PKT5_S6_PT6_21rocsparse_index_base_b
		.amdhsa_group_segment_fixed_size 0
		.amdhsa_private_segment_fixed_size 0
		.amdhsa_kernarg_size 96
		.amdhsa_user_sgpr_count 2
		.amdhsa_user_sgpr_dispatch_ptr 0
		.amdhsa_user_sgpr_queue_ptr 0
		.amdhsa_user_sgpr_kernarg_segment_ptr 1
		.amdhsa_user_sgpr_dispatch_id 0
		.amdhsa_user_sgpr_kernarg_preload_length 0
		.amdhsa_user_sgpr_kernarg_preload_offset 0
		.amdhsa_user_sgpr_private_segment_size 0
		.amdhsa_wavefront_size32 1
		.amdhsa_uses_dynamic_stack 0
		.amdhsa_enable_private_segment 0
		.amdhsa_system_sgpr_workgroup_id_x 1
		.amdhsa_system_sgpr_workgroup_id_y 0
		.amdhsa_system_sgpr_workgroup_id_z 0
		.amdhsa_system_sgpr_workgroup_info 0
		.amdhsa_system_vgpr_workitem_id 0
		.amdhsa_next_free_vgpr 84
		.amdhsa_next_free_sgpr 18
		.amdhsa_named_barrier_count 0
		.amdhsa_reserve_vcc 1
		.amdhsa_float_round_mode_32 0
		.amdhsa_float_round_mode_16_64 0
		.amdhsa_float_denorm_mode_32 3
		.amdhsa_float_denorm_mode_16_64 3
		.amdhsa_fp16_overflow 0
		.amdhsa_memory_ordered 1
		.amdhsa_forward_progress 1
		.amdhsa_inst_pref_size 36
		.amdhsa_round_robin_scheduling 0
		.amdhsa_exception_fp_ieee_invalid_op 0
		.amdhsa_exception_fp_denorm_src 0
		.amdhsa_exception_fp_ieee_div_zero 0
		.amdhsa_exception_fp_ieee_overflow 0
		.amdhsa_exception_fp_ieee_underflow 0
		.amdhsa_exception_fp_ieee_inexact 0
		.amdhsa_exception_int_div_zero 0
	.end_amdhsa_kernel
	.section	.text._ZN9rocsparseL18bsrxmvn_4x4_kernelILj128ELj8Efli18rocsparse_bfloat16S1_fEEvT3_20rocsparse_direction_NS_24const_host_device_scalarIT1_EES2_PKS2_PKT2_SB_S8_PKT4_PKT5_S6_PT6_21rocsparse_index_base_b,"axG",@progbits,_ZN9rocsparseL18bsrxmvn_4x4_kernelILj128ELj8Efli18rocsparse_bfloat16S1_fEEvT3_20rocsparse_direction_NS_24const_host_device_scalarIT1_EES2_PKS2_PKT2_SB_S8_PKT4_PKT5_S6_PT6_21rocsparse_index_base_b,comdat
.Lfunc_end111:
	.size	_ZN9rocsparseL18bsrxmvn_4x4_kernelILj128ELj8Efli18rocsparse_bfloat16S1_fEEvT3_20rocsparse_direction_NS_24const_host_device_scalarIT1_EES2_PKS2_PKT2_SB_S8_PKT4_PKT5_S6_PT6_21rocsparse_index_base_b, .Lfunc_end111-_ZN9rocsparseL18bsrxmvn_4x4_kernelILj128ELj8Efli18rocsparse_bfloat16S1_fEEvT3_20rocsparse_direction_NS_24const_host_device_scalarIT1_EES2_PKS2_PKT2_SB_S8_PKT4_PKT5_S6_PT6_21rocsparse_index_base_b
                                        ; -- End function
	.set _ZN9rocsparseL18bsrxmvn_4x4_kernelILj128ELj8Efli18rocsparse_bfloat16S1_fEEvT3_20rocsparse_direction_NS_24const_host_device_scalarIT1_EES2_PKS2_PKT2_SB_S8_PKT4_PKT5_S6_PT6_21rocsparse_index_base_b.num_vgpr, 84
	.set _ZN9rocsparseL18bsrxmvn_4x4_kernelILj128ELj8Efli18rocsparse_bfloat16S1_fEEvT3_20rocsparse_direction_NS_24const_host_device_scalarIT1_EES2_PKS2_PKT2_SB_S8_PKT4_PKT5_S6_PT6_21rocsparse_index_base_b.num_agpr, 0
	.set _ZN9rocsparseL18bsrxmvn_4x4_kernelILj128ELj8Efli18rocsparse_bfloat16S1_fEEvT3_20rocsparse_direction_NS_24const_host_device_scalarIT1_EES2_PKS2_PKT2_SB_S8_PKT4_PKT5_S6_PT6_21rocsparse_index_base_b.numbered_sgpr, 18
	.set _ZN9rocsparseL18bsrxmvn_4x4_kernelILj128ELj8Efli18rocsparse_bfloat16S1_fEEvT3_20rocsparse_direction_NS_24const_host_device_scalarIT1_EES2_PKS2_PKT2_SB_S8_PKT4_PKT5_S6_PT6_21rocsparse_index_base_b.num_named_barrier, 0
	.set _ZN9rocsparseL18bsrxmvn_4x4_kernelILj128ELj8Efli18rocsparse_bfloat16S1_fEEvT3_20rocsparse_direction_NS_24const_host_device_scalarIT1_EES2_PKS2_PKT2_SB_S8_PKT4_PKT5_S6_PT6_21rocsparse_index_base_b.private_seg_size, 0
	.set _ZN9rocsparseL18bsrxmvn_4x4_kernelILj128ELj8Efli18rocsparse_bfloat16S1_fEEvT3_20rocsparse_direction_NS_24const_host_device_scalarIT1_EES2_PKS2_PKT2_SB_S8_PKT4_PKT5_S6_PT6_21rocsparse_index_base_b.uses_vcc, 1
	.set _ZN9rocsparseL18bsrxmvn_4x4_kernelILj128ELj8Efli18rocsparse_bfloat16S1_fEEvT3_20rocsparse_direction_NS_24const_host_device_scalarIT1_EES2_PKS2_PKT2_SB_S8_PKT4_PKT5_S6_PT6_21rocsparse_index_base_b.uses_flat_scratch, 0
	.set _ZN9rocsparseL18bsrxmvn_4x4_kernelILj128ELj8Efli18rocsparse_bfloat16S1_fEEvT3_20rocsparse_direction_NS_24const_host_device_scalarIT1_EES2_PKS2_PKT2_SB_S8_PKT4_PKT5_S6_PT6_21rocsparse_index_base_b.has_dyn_sized_stack, 0
	.set _ZN9rocsparseL18bsrxmvn_4x4_kernelILj128ELj8Efli18rocsparse_bfloat16S1_fEEvT3_20rocsparse_direction_NS_24const_host_device_scalarIT1_EES2_PKS2_PKT2_SB_S8_PKT4_PKT5_S6_PT6_21rocsparse_index_base_b.has_recursion, 0
	.set _ZN9rocsparseL18bsrxmvn_4x4_kernelILj128ELj8Efli18rocsparse_bfloat16S1_fEEvT3_20rocsparse_direction_NS_24const_host_device_scalarIT1_EES2_PKS2_PKT2_SB_S8_PKT4_PKT5_S6_PT6_21rocsparse_index_base_b.has_indirect_call, 0
	.section	.AMDGPU.csdata,"",@progbits
; Kernel info:
; codeLenInByte = 4604
; TotalNumSgprs: 20
; NumVgprs: 84
; ScratchSize: 0
; MemoryBound: 0
; FloatMode: 240
; IeeeMode: 1
; LDSByteSize: 0 bytes/workgroup (compile time only)
; SGPRBlocks: 0
; VGPRBlocks: 5
; NumSGPRsForWavesPerEU: 20
; NumVGPRsForWavesPerEU: 84
; NamedBarCnt: 0
; Occupancy: 10
; WaveLimiterHint : 1
; COMPUTE_PGM_RSRC2:SCRATCH_EN: 0
; COMPUTE_PGM_RSRC2:USER_SGPR: 2
; COMPUTE_PGM_RSRC2:TRAP_HANDLER: 0
; COMPUTE_PGM_RSRC2:TGID_X_EN: 1
; COMPUTE_PGM_RSRC2:TGID_Y_EN: 0
; COMPUTE_PGM_RSRC2:TGID_Z_EN: 0
; COMPUTE_PGM_RSRC2:TIDIG_COMP_CNT: 0
	.section	.text._ZN9rocsparseL18bsrxmvn_4x4_kernelILj128ELj16Efli18rocsparse_bfloat16S1_fEEvT3_20rocsparse_direction_NS_24const_host_device_scalarIT1_EES2_PKS2_PKT2_SB_S8_PKT4_PKT5_S6_PT6_21rocsparse_index_base_b,"axG",@progbits,_ZN9rocsparseL18bsrxmvn_4x4_kernelILj128ELj16Efli18rocsparse_bfloat16S1_fEEvT3_20rocsparse_direction_NS_24const_host_device_scalarIT1_EES2_PKS2_PKT2_SB_S8_PKT4_PKT5_S6_PT6_21rocsparse_index_base_b,comdat
	.globl	_ZN9rocsparseL18bsrxmvn_4x4_kernelILj128ELj16Efli18rocsparse_bfloat16S1_fEEvT3_20rocsparse_direction_NS_24const_host_device_scalarIT1_EES2_PKS2_PKT2_SB_S8_PKT4_PKT5_S6_PT6_21rocsparse_index_base_b ; -- Begin function _ZN9rocsparseL18bsrxmvn_4x4_kernelILj128ELj16Efli18rocsparse_bfloat16S1_fEEvT3_20rocsparse_direction_NS_24const_host_device_scalarIT1_EES2_PKS2_PKT2_SB_S8_PKT4_PKT5_S6_PT6_21rocsparse_index_base_b
	.p2align	8
	.type	_ZN9rocsparseL18bsrxmvn_4x4_kernelILj128ELj16Efli18rocsparse_bfloat16S1_fEEvT3_20rocsparse_direction_NS_24const_host_device_scalarIT1_EES2_PKS2_PKT2_SB_S8_PKT4_PKT5_S6_PT6_21rocsparse_index_base_b,@function
_ZN9rocsparseL18bsrxmvn_4x4_kernelILj128ELj16Efli18rocsparse_bfloat16S1_fEEvT3_20rocsparse_direction_NS_24const_host_device_scalarIT1_EES2_PKS2_PKT2_SB_S8_PKT4_PKT5_S6_PT6_21rocsparse_index_base_b: ; @_ZN9rocsparseL18bsrxmvn_4x4_kernelILj128ELj16Efli18rocsparse_bfloat16S1_fEEvT3_20rocsparse_direction_NS_24const_host_device_scalarIT1_EES2_PKS2_PKT2_SB_S8_PKT4_PKT5_S6_PT6_21rocsparse_index_base_b
; %bb.0:
	s_clause 0x2
	s_load_b64 s[16:17], s[0:1], 0x58
	s_load_b64 s[12:13], s[0:1], 0x8
	;; [unrolled: 1-line block ×3, first 2 shown]
	s_wait_kmcnt 0x0
	s_bitcmp1_b32 s17, 0
	s_cselect_b32 s2, -1, 0
	s_delay_alu instid0(SALU_CYCLE_1)
	s_and_b32 vcc_lo, exec_lo, s2
	s_xor_b32 s2, s2, -1
	s_cbranch_vccnz .LBB112_2
; %bb.1:
	s_load_b32 s12, s[12:13], 0x0
.LBB112_2:
	s_and_not1_b32 vcc_lo, exec_lo, s2
	s_cbranch_vccnz .LBB112_4
; %bb.3:
	s_load_b32 s14, s[14:15], 0x0
.LBB112_4:
	s_wait_kmcnt 0x0
	s_cmp_neq_f32 s12, 0
	s_mov_b32 s6, 0
	s_cselect_b32 s2, -1, 0
	s_cmp_neq_f32 s14, 1.0
	s_cselect_b32 s3, -1, 0
	s_delay_alu instid0(SALU_CYCLE_1) | instskip(NEXT) | instid1(SALU_CYCLE_1)
	s_or_b32 s2, s2, s3
	s_and_not1_b32 vcc_lo, exec_lo, s2
	s_cbranch_vccnz .LBB112_10
; %bb.5:
	s_clause 0x1
	s_load_b64 s[4:5], s[0:1], 0x18
	s_load_b64 s[2:3], s[0:1], 0x0
	s_bfe_u32 s7, ttmp6, 0x4000c
	s_and_b32 s8, ttmp6, 15
	s_add_co_i32 s7, s7, 1
	s_getreg_b32 s9, hwreg(HW_REG_IB_STS2, 6, 4)
	s_mul_i32 s7, ttmp9, s7
	v_lshrrev_b32_e32 v1, 4, v0
	s_add_co_i32 s8, s8, s7
	s_cmp_eq_u32 s9, 0
	s_cselect_b32 s7, ttmp9, s8
	s_delay_alu instid0(VALU_DEP_1) | instid1(SALU_CYCLE_1)
	v_lshl_or_b32 v2, s7, 3, v1
	s_wait_kmcnt 0x0
	s_cmp_lg_u64 s[4:5], 0
	s_cbranch_scc0 .LBB112_11
; %bb.6:
	s_load_b32 s6, s[0:1], 0x10
	s_mov_b32 s7, 0
                                        ; implicit-def: $vgpr1
	s_wait_kmcnt 0x0
	v_cmp_gt_i32_e32 vcc_lo, s6, v2
	s_mov_b32 s6, 0
	s_and_saveexec_b32 s8, vcc_lo
	s_delay_alu instid0(SALU_CYCLE_1)
	s_xor_b32 s8, exec_lo, s8
	s_cbranch_execz .LBB112_8
; %bb.7:
	global_load_b32 v1, v2, s[4:5] scale_offset
	s_mov_b32 s6, exec_lo
	s_wait_loadcnt 0x0
	v_subrev_nc_u32_e32 v1, s16, v1
.LBB112_8:
	s_or_b32 exec_lo, exec_lo, s8
	s_delay_alu instid0(SALU_CYCLE_1)
	s_and_b32 vcc_lo, exec_lo, s7
	s_cbranch_vccz .LBB112_12
.LBB112_9:
	v_cmp_gt_i32_e32 vcc_lo, s2, v2
	s_and_not1_b32 s2, s6, exec_lo
	s_and_b32 s4, vcc_lo, exec_lo
	s_delay_alu instid0(SALU_CYCLE_1) | instskip(NEXT) | instid1(SALU_CYCLE_1)
	s_or_b32 s6, s2, s4
	s_and_saveexec_b32 s2, s6
	s_cbranch_execnz .LBB112_13
.LBB112_10:
	s_sendmsg sendmsg(MSG_DEALLOC_VGPRS)
	s_endpgm
.LBB112_11:
                                        ; implicit-def: $vgpr1
	s_cbranch_execnz .LBB112_9
.LBB112_12:
	s_delay_alu instid0(VALU_DEP_1)
	v_mov_b32_e32 v2, v1
	s_and_saveexec_b32 s2, s6
	s_cbranch_execz .LBB112_10
.LBB112_13:
	s_load_b256 s[4:11], s[0:1], 0x20
	s_mov_b32 s17, 0
	v_dual_mov_b32 v1, 0 :: v_dual_bitop2_b32 v0, 15, v0 bitop3:0x40
	s_wait_kmcnt 0x0
	s_cmp_eq_u64 s[6:7], 0
	global_load_b64 v[12:13], v2, s[4:5] scale_offset
	s_cselect_b32 vcc_lo, -1, 0
	v_ashrrev_i32_e32 v3, 31, v2
	s_cmp_eq_u32 s3, 1
	s_delay_alu instid0(VALU_DEP_1) | instskip(NEXT) | instid1(VALU_DEP_1)
	v_lshlrev_b64_e32 v[4:5], 3, v[2:3]
	v_add_nc_u64_e32 v[6:7], s[4:5], v[4:5]
	v_add_nc_u64_e32 v[4:5], s[6:7], v[4:5]
	s_wait_xcnt 0x0
	s_load_b64 s[4:5], s[0:1], 0x40
	s_delay_alu instid0(VALU_DEP_2) | instskip(NEXT) | instid1(VALU_DEP_1)
	v_add_nc_u64_e32 v[6:7], 8, v[6:7]
	v_dual_cndmask_b32 v5, v5, v7 :: v_dual_cndmask_b32 v4, v4, v6
	global_load_b64 v[6:7], v[4:5], off
	s_wait_loadcnt 0x1
	s_wait_xcnt 0x0
	v_sub_nc_u64_e64 v[4:5], v[12:13], s[16:17]
	s_delay_alu instid0(VALU_DEP_1) | instskip(NEXT) | instid1(VALU_DEP_1)
	v_add_nc_u64_e32 v[4:5], v[4:5], v[0:1]
	v_lshlrev_b64_e32 v[8:9], 5, v[4:5]
	s_delay_alu instid0(VALU_DEP_1) | instskip(SKIP_2) | instid1(VALU_DEP_1)
	v_add_nc_u64_e32 v[8:9], s[10:11], v[8:9]
	s_wait_loadcnt 0x0
	v_sub_nc_u64_e64 v[6:7], v[6:7], s[16:17]
	v_cmp_lt_i64_e64 s2, v[4:5], v[6:7]
	s_cbranch_scc1 .LBB112_25
; %bb.14:
	v_dual_mov_b32 v19, v1 :: v_dual_mov_b32 v18, v1
	v_dual_mov_b32 v11, v1 :: v_dual_mov_b32 v10, v1
	s_and_saveexec_b32 s3, s2
	s_cbranch_execz .LBB112_24
; %bb.15:
	v_dual_mov_b32 v11, v1 :: v_dual_bitop2_b32 v10, 16, v0 bitop3:0x54
	v_sub_nc_u64_e32 v[14:15], s[16:17], v[0:1]
	v_not_b32_e32 v17, v13
	v_not_b32_e32 v16, v12
	v_mov_b64_e32 v[20:21], 0
	v_sub_nc_u64_e64 v[10:11], v[10:11], s[16:17]
	s_delay_alu instid0(VALU_DEP_3) | instskip(SKIP_1) | instid1(VALU_DEP_3)
	v_add_nc_u64_e32 v[14:15], v[14:15], v[16:17]
	v_mov_b64_e32 v[16:17], v[8:9]
	v_add_nc_u64_e32 v[10:11], v[10:11], v[12:13]
	s_delay_alu instid0(VALU_DEP_1) | instskip(NEXT) | instid1(VALU_DEP_1)
	v_max_i64 v[10:11], v[10:11], v[6:7]
	v_add_nc_u64_e32 v[22:23], v[14:15], v[10:11]
	v_mov_b32_e32 v18, 0
	v_mov_b64_e32 v[10:11], 0
	s_delay_alu instid0(VALU_DEP_2) | instskip(NEXT) | instid1(VALU_DEP_1)
	v_dual_mov_b32 v15, v18 :: v_dual_bitop2_b32 v14, 48, v22 bitop3:0x40
	v_cmp_ne_u64_e32 vcc_lo, 48, v[14:15]
	v_mov_b64_e32 v[14:15], v[4:5]
	s_and_saveexec_b32 s6, vcc_lo
	s_cbranch_execz .LBB112_19
; %bb.16:
	v_dual_lshrrev_b32 v3, 4, v22 :: v_dual_mov_b32 v11, v18
	v_mov_b64_e32 v[16:17], v[8:9]
	v_mov_b64_e32 v[14:15], v[4:5]
	v_lshl_add_u64 v[20:21], v[4:5], 2, s[8:9]
	s_delay_alu instid0(VALU_DEP_4) | instskip(SKIP_1) | instid1(VALU_DEP_1)
	v_dual_add_nc_u32 v3, 1, v3 :: v_dual_mov_b32 v19, v18
	s_mov_b32 s7, 0
	v_and_b32_e32 v10, 3, v3
	s_delay_alu instid0(VALU_DEP_1)
	v_sub_nc_u64_e32 v[24:25], 0, v[10:11]
	v_mov_b32_e32 v10, v18
.LBB112_17:                             ; =>This Inner Loop Header: Depth=1
	global_load_b32 v3, v[20:21], off
	v_add_nc_u64_e32 v[24:25], 1, v[24:25]
	v_add_nc_u64_e32 v[14:15], 16, v[14:15]
	s_wait_xcnt 0x0
	v_add_nc_u64_e32 v[20:21], 64, v[20:21]
	s_delay_alu instid0(VALU_DEP_3) | instskip(SKIP_3) | instid1(VALU_DEP_1)
	v_cmp_eq_u64_e32 vcc_lo, 0, v[24:25]
	s_or_b32 s7, vcc_lo, s7
	s_wait_loadcnt 0x0
	v_subrev_nc_u32_e32 v3, s16, v3
	v_lshlrev_b32_e32 v26, 2, v3
	s_delay_alu instid0(VALU_DEP_1) | instskip(SKIP_1) | instid1(VALU_DEP_1)
	v_ashrrev_i32_e32 v27, 31, v26
	s_wait_kmcnt 0x0
	v_lshl_add_u64 v[34:35], v[26:27], 1, s[4:5]
	s_clause 0x1
	global_load_b128 v[26:29], v[16:17], off
	global_load_b128 v[30:33], v[16:17], off offset:16
	global_load_b64 v[36:37], v[34:35], off
	s_wait_xcnt 0x1
	v_add_nc_u64_e32 v[16:17], 0x200, v[16:17]
	s_wait_loadcnt 0x2
	s_wait_xcnt 0x0
	v_dual_lshlrev_b32 v34, 16, v27 :: v_dual_lshlrev_b32 v35, 16, v29
	v_dual_lshlrev_b32 v39, 16, v28 :: v_dual_lshlrev_b32 v38, 16, v26
	v_and_b32_e32 v41, 0xffff0000, v28
	v_and_b32_e32 v40, 0xffff0000, v26
	;; [unrolled: 1-line block ×3, first 2 shown]
	s_wait_loadcnt 0x1
	v_dual_lshlrev_b32 v27, 16, v32 :: v_dual_lshlrev_b32 v26, 16, v30
	s_wait_loadcnt 0x0
	v_lshlrev_b32_e32 v42, 16, v36
	v_and_b32_e32 v45, 0xffff0000, v32
	v_and_b32_e32 v44, 0xffff0000, v30
	;; [unrolled: 1-line block ×3, first 2 shown]
	v_lshlrev_b32_e32 v32, 16, v37
	v_pk_fma_f32 v[18:19], v[26:27], v[42:43], v[18:19] op_sel_hi:[1,0,1]
	v_lshlrev_b32_e32 v26, 16, v31
	v_pk_fma_f32 v[10:11], v[38:39], v[42:43], v[10:11] op_sel_hi:[1,0,1]
	v_lshlrev_b32_e32 v27, 16, v33
	v_and_b32_e32 v29, 0xffff0000, v29
	v_pk_fma_f32 v[18:19], v[44:45], v[30:31], v[18:19] op_sel_hi:[1,0,1]
	v_and_b32_e32 v39, 0xffff0000, v33
	v_pk_fma_f32 v[10:11], v[40:41], v[30:31], v[10:11] op_sel_hi:[1,0,1]
	v_and_b32_e32 v38, 0xffff0000, v31
	v_and_b32_e32 v30, 0xffff0000, v37
	v_pk_fma_f32 v[18:19], v[26:27], v[32:33], v[18:19] op_sel_hi:[1,0,1]
	s_delay_alu instid0(VALU_DEP_4) | instskip(NEXT) | instid1(VALU_DEP_2)
	v_pk_fma_f32 v[10:11], v[34:35], v[32:33], v[10:11] op_sel_hi:[1,0,1]
	v_pk_fma_f32 v[18:19], v[38:39], v[30:31], v[18:19] op_sel_hi:[1,0,1]
	s_delay_alu instid0(VALU_DEP_2)
	v_pk_fma_f32 v[10:11], v[28:29], v[30:31], v[10:11] op_sel_hi:[1,0,1]
	s_and_not1_b32 exec_lo, exec_lo, s7
	s_cbranch_execnz .LBB112_17
; %bb.18:
	s_or_b32 exec_lo, exec_lo, s7
	v_mov_b64_e32 v[20:21], v[18:19]
.LBB112_19:
	s_or_b32 exec_lo, exec_lo, s6
	s_delay_alu instid0(SALU_CYCLE_1)
	s_mov_b32 s6, exec_lo
	v_cmpx_lt_u64_e32 47, v[22:23]
	s_cbranch_execz .LBB112_23
; %bb.20:
	v_lshl_add_u64 v[18:19], v[14:15], 2, s[8:9]
	s_mov_b32 s7, 0
	s_delay_alu instid0(VALU_DEP_1)
	v_add_nc_u64_e32 v[18:19], 0x80, v[18:19]
.LBB112_21:                             ; =>This Inner Loop Header: Depth=1
	s_clause 0x3
	global_load_b32 v3, v[18:19], off offset:-128
	global_load_b32 v38, v[18:19], off offset:-64
	global_load_b32 v50, v[18:19], off
	global_load_b32 v51, v[18:19], off offset:64
	s_clause 0x3
	global_load_b128 v[22:25], v[16:17], off
	global_load_b128 v[26:29], v[16:17], off offset:16
	global_load_b128 v[30:33], v[16:17], off offset:512
	;; [unrolled: 1-line block ×3, first 2 shown]
	v_add_nc_u64_e32 v[14:15], 64, v[14:15]
	s_wait_xcnt 0x4
	v_add_nc_u64_e32 v[18:19], 0x100, v[18:19]
	s_delay_alu instid0(VALU_DEP_2)
	v_cmp_ge_i64_e32 vcc_lo, v[14:15], v[6:7]
	s_or_b32 s7, vcc_lo, s7
	s_wait_loadcnt 0x7
	v_subrev_nc_u32_e32 v3, s16, v3
	s_wait_loadcnt 0x6
	v_subrev_nc_u32_e32 v39, s16, v38
	s_wait_loadcnt 0x3
	v_lshlrev_b32_e32 v64, 16, v22
	v_and_b32_e32 v67, 0xffff0000, v24
	s_delay_alu instid0(VALU_DEP_3)
	v_lshlrev_b32_e32 v46, 2, v39
	v_lshlrev_b32_e32 v38, 2, v3
	v_subrev_nc_u32_e32 v3, s16, v50
	v_and_b32_e32 v66, 0xffff0000, v22
	s_wait_loadcnt 0x2
	v_dual_lshlrev_b32 v68, 16, v27 :: v_dual_lshlrev_b32 v71, 16, v28
	v_ashrrev_i32_e32 v47, 31, v46
	v_ashrrev_i32_e32 v39, 31, v38
	v_dual_lshlrev_b32 v70, 16, v26 :: v_dual_lshlrev_b32 v69, 16, v29
	s_wait_loadcnt 0x1
	v_and_b32_e32 v75, 0xffff0000, v32
	s_wait_kmcnt 0x0
	v_lshl_add_u64 v[46:47], v[46:47], 1, s[4:5]
	v_lshl_add_u64 v[48:49], v[38:39], 1, s[4:5]
	v_and_b32_e32 v74, 0xffff0000, v30
	v_dual_lshlrev_b32 v77, 16, v33 :: v_dual_lshlrev_b32 v76, 16, v31
	global_load_b64 v[54:55], v[48:49], off
	s_clause 0x1
	global_load_b128 v[38:41], v[16:17], off offset:528
	global_load_b128 v[42:45], v[16:17], off offset:1040
	global_load_b64 v[56:57], v[46:47], off
	s_wait_xcnt 0x3
	v_subrev_nc_u32_e32 v48, s16, v51
	s_wait_xcnt 0x0
	v_lshlrev_b32_e32 v46, 2, v3
	s_wait_loadcnt 0x4
	v_and_b32_e32 v78, 0xffff0000, v34
	v_and_b32_e32 v73, 0xffff0000, v28
	;; [unrolled: 1-line block ×3, first 2 shown]
	v_dual_lshlrev_b32 v50, 2, v48 :: v_dual_ashrrev_i32 v47, 31, v46
	v_lshlrev_b32_e32 v65, 16, v24
	v_and_b32_e32 v24, 0xffff0000, v23
	v_and_b32_e32 v28, 0xffff0000, v27
	s_delay_alu instid0(VALU_DEP_4)
	v_ashrrev_i32_e32 v51, 31, v50
	v_lshl_add_u64 v[52:53], v[46:47], 1, s[4:5]
	global_load_b64 v[58:59], v[52:53], off
	global_load_b128 v[46:49], v[16:17], off offset:1536
	v_lshl_add_u64 v[60:61], v[50:51], 1, s[4:5]
	global_load_b128 v[50:53], v[16:17], off offset:1552
	global_load_b64 v[62:63], v[60:61], off
	s_wait_xcnt 0x0
	v_dual_lshlrev_b32 v60, 16, v23 :: v_dual_lshlrev_b32 v23, 16, v32
	v_lshlrev_b32_e32 v22, 16, v30
	v_and_b32_e32 v32, 0xffff0000, v31
	v_dual_lshlrev_b32 v31, 16, v36 :: v_dual_lshlrev_b32 v30, 16, v34
	v_lshlrev_b32_e32 v61, 16, v25
	v_and_b32_e32 v25, 0xffff0000, v25
	v_and_b32_e32 v29, 0xffff0000, v29
	;; [unrolled: 1-line block ×3, first 2 shown]
	v_dual_lshlrev_b32 v81, 16, v37 :: v_dual_lshlrev_b32 v80, 16, v35
	v_and_b32_e32 v36, 0xffff0000, v35
	v_and_b32_e32 v33, 0xffff0000, v33
	;; [unrolled: 1-line block ×3, first 2 shown]
	v_add_nc_u64_e32 v[16:17], 0x800, v[16:17]
	s_wait_loadcnt 0x6
	v_dual_lshlrev_b32 v34, 16, v54 :: v_dual_lshlrev_b32 v27, 16, v40
	v_lshlrev_b32_e32 v26, 16, v38
	v_and_b32_e32 v82, 0xffff0000, v38
	v_and_b32_e32 v38, 0xffff0000, v54
	s_delay_alu instid0(VALU_DEP_4)
	v_pk_fma_f32 v[10:11], v[64:65], v[34:35], v[10:11] op_sel_hi:[1,0,1]
	v_pk_fma_f32 v[20:21], v[70:71], v[34:35], v[20:21] op_sel_hi:[1,0,1]
	v_and_b32_e32 v83, 0xffff0000, v40
	s_wait_loadcnt 0x4
	v_dual_lshlrev_b32 v40, 16, v55 :: v_dual_lshlrev_b32 v54, 16, v56
	v_pk_fma_f32 v[10:11], v[66:67], v[38:39], v[10:11] op_sel_hi:[1,0,1]
	v_pk_fma_f32 v[20:21], v[72:73], v[38:39], v[20:21] op_sel_hi:[1,0,1]
	v_and_b32_e32 v38, 0xffff0000, v55
	v_dual_lshlrev_b32 v35, 16, v41 :: v_dual_lshlrev_b32 v34, 16, v39
	s_delay_alu instid0(VALU_DEP_4) | instskip(NEXT) | instid1(VALU_DEP_4)
	v_pk_fma_f32 v[10:11], v[60:61], v[40:41], v[10:11] op_sel_hi:[1,0,1]
	v_pk_fma_f32 v[20:21], v[68:69], v[40:41], v[20:21] op_sel_hi:[1,0,1]
	v_and_b32_e32 v65, 0xffff0000, v41
	v_and_b32_e32 v64, 0xffff0000, v39
	v_lshlrev_b32_e32 v41, 16, v44
	v_pk_fma_f32 v[10:11], v[24:25], v[38:39], v[10:11] op_sel_hi:[1,0,1]
	v_pk_fma_f32 v[20:21], v[28:29], v[38:39], v[20:21] op_sel_hi:[1,0,1]
	v_and_b32_e32 v28, 0xffff0000, v56
	v_and_b32_e32 v38, 0xffff0000, v57
	v_lshlrev_b32_e32 v40, 16, v42
	v_pk_fma_f32 v[10:11], v[22:23], v[54:55], v[10:11] op_sel_hi:[1,0,1]
	v_pk_fma_f32 v[20:21], v[26:27], v[54:55], v[20:21] op_sel_hi:[1,0,1]
	v_dual_lshlrev_b32 v22, 16, v43 :: v_dual_lshlrev_b32 v26, 16, v57
	v_and_b32_e32 v24, 0xffff0000, v42
	s_delay_alu instid0(VALU_DEP_4) | instskip(NEXT) | instid1(VALU_DEP_4)
	v_pk_fma_f32 v[10:11], v[74:75], v[28:29], v[10:11] op_sel_hi:[1,0,1]
	v_pk_fma_f32 v[20:21], v[82:83], v[28:29], v[20:21] op_sel_hi:[1,0,1]
	v_and_b32_e32 v25, 0xffff0000, v44
	s_wait_loadcnt 0x3
	v_dual_lshlrev_b32 v42, 16, v58 :: v_dual_lshlrev_b32 v23, 16, v45
	v_pk_fma_f32 v[10:11], v[76:77], v[26:27], v[10:11] op_sel_hi:[1,0,1]
	v_pk_fma_f32 v[20:21], v[34:35], v[26:27], v[20:21] op_sel_hi:[1,0,1]
	s_wait_loadcnt 0x2
	v_lshlrev_b32_e32 v35, 16, v48
	v_and_b32_e32 v29, 0xffff0000, v45
	v_and_b32_e32 v28, 0xffff0000, v43
	v_pk_fma_f32 v[10:11], v[32:33], v[38:39], v[10:11] op_sel_hi:[1,0,1]
	v_pk_fma_f32 v[20:21], v[64:65], v[38:39], v[20:21] op_sel_hi:[1,0,1]
	v_and_b32_e32 v32, 0xffff0000, v58
	v_dual_lshlrev_b32 v38, 16, v59 :: v_dual_lshlrev_b32 v34, 16, v46
	s_delay_alu instid0(VALU_DEP_4) | instskip(NEXT) | instid1(VALU_DEP_4)
	v_pk_fma_f32 v[10:11], v[30:31], v[42:43], v[10:11] op_sel_hi:[1,0,1]
	v_pk_fma_f32 v[20:21], v[40:41], v[42:43], v[20:21] op_sel_hi:[1,0,1]
	v_lshlrev_b32_e32 v30, 16, v47
	v_and_b32_e32 v26, 0xffff0000, v46
	v_and_b32_e32 v27, 0xffff0000, v48
	v_pk_fma_f32 v[10:11], v[78:79], v[32:33], v[10:11] op_sel_hi:[1,0,1]
	v_pk_fma_f32 v[20:21], v[24:25], v[32:33], v[20:21] op_sel_hi:[1,0,1]
	v_and_b32_e32 v32, 0xffff0000, v59
	v_lshlrev_b32_e32 v31, 16, v49
	v_and_b32_e32 v25, 0xffff0000, v49
	v_and_b32_e32 v24, 0xffff0000, v47
	v_pk_fma_f32 v[20:21], v[22:23], v[38:39], v[20:21] op_sel_hi:[1,0,1]
	s_wait_loadcnt 0x1
	v_lshlrev_b32_e32 v22, 16, v50
	v_pk_fma_f32 v[10:11], v[80:81], v[38:39], v[10:11] op_sel_hi:[1,0,1]
	s_wait_loadcnt 0x0
	v_dual_lshlrev_b32 v23, 16, v52 :: v_dual_lshlrev_b32 v38, 16, v62
	v_pk_fma_f32 v[20:21], v[28:29], v[32:33], v[20:21] op_sel_hi:[1,0,1]
	v_and_b32_e32 v28, 0xffff0000, v50
	v_pk_fma_f32 v[10:11], v[36:37], v[32:33], v[10:11] op_sel_hi:[1,0,1]
	v_and_b32_e32 v29, 0xffff0000, v52
	v_and_b32_e32 v32, 0xffff0000, v62
	v_pk_fma_f32 v[20:21], v[22:23], v[38:39], v[20:21] op_sel_hi:[1,0,1]
	v_lshlrev_b32_e32 v23, 16, v53
	v_pk_fma_f32 v[10:11], v[34:35], v[38:39], v[10:11] op_sel_hi:[1,0,1]
	v_lshlrev_b32_e32 v22, 16, v51
	v_lshlrev_b32_e32 v34, 16, v63
	v_pk_fma_f32 v[20:21], v[28:29], v[32:33], v[20:21] op_sel_hi:[1,0,1]
	v_and_b32_e32 v28, 0xffff0000, v63
	v_pk_fma_f32 v[10:11], v[26:27], v[32:33], v[10:11] op_sel_hi:[1,0,1]
	v_and_b32_e32 v27, 0xffff0000, v53
	v_and_b32_e32 v26, 0xffff0000, v51
	v_pk_fma_f32 v[20:21], v[22:23], v[34:35], v[20:21] op_sel_hi:[1,0,1]
	s_delay_alu instid0(VALU_DEP_4) | instskip(NEXT) | instid1(VALU_DEP_2)
	v_pk_fma_f32 v[10:11], v[30:31], v[34:35], v[10:11] op_sel_hi:[1,0,1]
	v_pk_fma_f32 v[20:21], v[26:27], v[28:29], v[20:21] op_sel_hi:[1,0,1]
	s_delay_alu instid0(VALU_DEP_2)
	v_pk_fma_f32 v[10:11], v[24:25], v[28:29], v[10:11] op_sel_hi:[1,0,1]
	s_and_not1_b32 exec_lo, exec_lo, s7
	s_cbranch_execnz .LBB112_21
; %bb.22:
	s_or_b32 exec_lo, exec_lo, s7
	v_dual_mov_b32 v19, v21 :: v_dual_mov_b32 v18, v20
.LBB112_23:
	s_or_b32 exec_lo, exec_lo, s6
.LBB112_24:
	s_delay_alu instid0(SALU_CYCLE_1)
	s_or_b32 exec_lo, exec_lo, s3
	s_cbranch_execz .LBB112_26
	s_branch .LBB112_37
.LBB112_25:
                                        ; implicit-def: $vgpr19
                                        ; implicit-def: $vgpr11
.LBB112_26:
	v_dual_mov_b32 v19, 0 :: v_dual_mov_b32 v18, 0
	v_dual_mov_b32 v11, 0 :: v_dual_mov_b32 v10, 0
	s_and_saveexec_b32 s3, s2
	s_cbranch_execz .LBB112_36
; %bb.27:
	v_dual_mov_b32 v11, v1 :: v_dual_bitop2_b32 v10, 16, v0 bitop3:0x54
	v_sub_nc_u64_e32 v[14:15], s[16:17], v[0:1]
	s_delay_alu instid0(VALU_DEP_2) | instskip(NEXT) | instid1(VALU_DEP_1)
	v_sub_nc_u64_e64 v[10:11], v[10:11], s[16:17]
	v_add_nc_u64_e32 v[10:11], v[10:11], v[12:13]
	v_not_b32_e32 v13, v13
	v_not_b32_e32 v12, v12
	s_delay_alu instid0(VALU_DEP_1) | instskip(NEXT) | instid1(VALU_DEP_4)
	v_add_nc_u64_e32 v[12:13], v[14:15], v[12:13]
	v_max_i64 v[10:11], v[10:11], v[6:7]
	s_delay_alu instid0(VALU_DEP_1) | instskip(SKIP_2) | instid1(VALU_DEP_2)
	v_add_nc_u64_e32 v[12:13], v[12:13], v[10:11]
	v_mov_b32_e32 v18, 0
	v_mov_b64_e32 v[10:11], 0
	v_dual_mov_b32 v15, v18 :: v_dual_bitop2_b32 v14, 48, v12 bitop3:0x40
	s_delay_alu instid0(VALU_DEP_1)
	v_cmp_ne_u64_e32 vcc_lo, 48, v[14:15]
	v_mov_b64_e32 v[14:15], 0
	s_and_saveexec_b32 s2, vcc_lo
	s_cbranch_execz .LBB112_31
; %bb.28:
	v_dual_lshrrev_b32 v1, 4, v12 :: v_dual_mov_b32 v11, v18
	v_lshl_add_u64 v[14:15], v[4:5], 2, s[8:9]
	s_mov_b32 s6, 0
	s_delay_alu instid0(VALU_DEP_2) | instskip(NEXT) | instid1(VALU_DEP_1)
	v_dual_mov_b32 v19, v18 :: v_dual_add_nc_u32 v1, 1, v1
	v_and_b32_e32 v10, 3, v1
	s_delay_alu instid0(VALU_DEP_1)
	v_sub_nc_u64_e32 v[16:17], 0, v[10:11]
	v_mov_b32_e32 v10, v18
.LBB112_29:                             ; =>This Inner Loop Header: Depth=1
	global_load_b32 v1, v[14:15], off
	global_load_b128 v[20:23], v[8:9], off
	v_add_nc_u64_e32 v[16:17], 1, v[16:17]
	v_add_nc_u64_e32 v[4:5], 16, v[4:5]
	s_wait_xcnt 0x1
	v_add_nc_u64_e32 v[14:15], 64, v[14:15]
	s_delay_alu instid0(VALU_DEP_3)
	v_cmp_eq_u64_e32 vcc_lo, 0, v[16:17]
	s_or_b32 s6, vcc_lo, s6
	s_wait_loadcnt 0x1
	v_subrev_nc_u32_e32 v1, s16, v1
	s_wait_loadcnt 0x0
	v_and_b32_e32 v33, 0xffff0000, v21
	v_and_b32_e32 v35, 0xffff0000, v23
	v_lshlrev_b32_e32 v32, 16, v21
	v_and_b32_e32 v21, 0xffff0000, v22
	v_dual_lshlrev_b32 v24, 2, v1 :: v_dual_lshlrev_b32 v34, 16, v23
	s_delay_alu instid0(VALU_DEP_1) | instskip(SKIP_1) | instid1(VALU_DEP_1)
	v_ashrrev_i32_e32 v25, 31, v24
	s_wait_kmcnt 0x0
	v_lshl_add_u64 v[28:29], v[24:25], 1, s[4:5]
	global_load_b64 v[30:31], v[28:29], off
	global_load_b128 v[24:27], v[8:9], off offset:16
	s_wait_xcnt 0x1
	v_and_b32_e32 v29, 0xffff0000, v20
	v_dual_lshlrev_b32 v28, 16, v20 :: v_dual_lshlrev_b32 v20, 16, v22
	s_wait_xcnt 0x0
	v_add_nc_u64_e32 v[8:9], 0x200, v[8:9]
	s_wait_loadcnt 0x0
	v_and_b32_e32 v23, 0xffff0000, v24
	v_dual_lshlrev_b32 v22, 16, v24 :: v_dual_lshlrev_b32 v24, 16, v30
	v_and_b32_e32 v30, 0xffff0000, v30
	v_and_b32_e32 v37, 0xffff0000, v25
	v_lshlrev_b32_e32 v36, 16, v25
	s_delay_alu instid0(VALU_DEP_4) | instskip(SKIP_3) | instid1(VALU_DEP_4)
	v_pk_fma_f32 v[10:11], v[28:29], v[24:25], v[10:11] op_sel_hi:[1,0,1]
	v_pk_fma_f32 v[18:19], v[32:33], v[24:25], v[18:19] op_sel_hi:[1,0,1]
	v_and_b32_e32 v25, 0xffff0000, v26
	v_dual_lshlrev_b32 v24, 16, v26 :: v_dual_lshlrev_b32 v26, 16, v31
	v_pk_fma_f32 v[10:11], v[20:21], v[30:31], v[10:11] op_sel_hi:[1,0,1]
	s_delay_alu instid0(VALU_DEP_4)
	v_pk_fma_f32 v[18:19], v[34:35], v[30:31], v[18:19] op_sel_hi:[1,0,1]
	v_and_b32_e32 v21, 0xffff0000, v27
	v_lshlrev_b32_e32 v20, 16, v27
	v_and_b32_e32 v28, 0xffff0000, v31
	v_pk_fma_f32 v[10:11], v[22:23], v[26:27], v[10:11] op_sel_hi:[1,0,1]
	v_pk_fma_f32 v[18:19], v[36:37], v[26:27], v[18:19] op_sel_hi:[1,0,1]
	s_delay_alu instid0(VALU_DEP_2) | instskip(NEXT) | instid1(VALU_DEP_2)
	v_pk_fma_f32 v[10:11], v[24:25], v[28:29], v[10:11] op_sel_hi:[1,0,1]
	v_pk_fma_f32 v[18:19], v[20:21], v[28:29], v[18:19] op_sel_hi:[1,0,1]
	s_and_not1_b32 exec_lo, exec_lo, s6
	s_cbranch_execnz .LBB112_29
; %bb.30:
	s_or_b32 exec_lo, exec_lo, s6
	s_delay_alu instid0(VALU_DEP_1)
	v_mov_b64_e32 v[14:15], v[18:19]
.LBB112_31:
	s_or_b32 exec_lo, exec_lo, s2
	s_delay_alu instid0(SALU_CYCLE_1)
	s_mov_b32 s2, exec_lo
	v_cmpx_lt_u64_e32 47, v[12:13]
	s_cbranch_execz .LBB112_35
; %bb.32:
	v_lshl_add_u64 v[12:13], v[4:5], 2, s[8:9]
	s_mov_b32 s6, 0
	s_delay_alu instid0(VALU_DEP_1)
	v_add_nc_u64_e32 v[12:13], 0x80, v[12:13]
.LBB112_33:                             ; =>This Inner Loop Header: Depth=1
	s_clause 0x3
	global_load_b32 v1, v[12:13], off offset:-128
	global_load_b32 v3, v[12:13], off offset:-64
	global_load_b32 v38, v[12:13], off
	global_load_b32 v52, v[12:13], off offset:64
	s_clause 0x4
	global_load_b128 v[16:19], v[8:9], off
	global_load_b128 v[20:23], v[8:9], off offset:16
	global_load_b128 v[24:27], v[8:9], off offset:512
	;; [unrolled: 1-line block ×4, first 2 shown]
	v_add_nc_u64_e32 v[4:5], 64, v[4:5]
	s_wait_xcnt 0x5
	v_add_nc_u64_e32 v[12:13], 0x100, v[12:13]
	s_delay_alu instid0(VALU_DEP_2)
	v_cmp_ge_i64_e32 vcc_lo, v[4:5], v[6:7]
	s_or_b32 s6, vcc_lo, s6
	s_wait_loadcnt 0x8
	v_subrev_nc_u32_e32 v1, s16, v1
	s_wait_loadcnt 0x4
	v_and_b32_e32 v59, 0xffff0000, v17
	s_delay_alu instid0(VALU_DEP_2)
	v_lshlrev_b32_e32 v36, 2, v1
	v_subrev_nc_u32_e32 v1, s16, v3
	v_subrev_nc_u32_e32 v3, s16, v38
	s_wait_loadcnt 0x1
	v_dual_lshlrev_b32 v66, 16, v26 :: v_dual_lshlrev_b32 v68, 16, v28
	v_and_b32_e32 v69, 0xffff0000, v28
	v_and_b32_e32 v71, 0xffff0000, v30
	v_dual_lshlrev_b32 v44, 2, v3 :: v_dual_ashrrev_i32 v37, 31, v36
	s_wait_loadcnt 0x0
	v_dual_lshlrev_b32 v70, 16, v30 :: v_dual_lshlrev_b32 v72, 16, v32
	s_delay_alu instid0(VALU_DEP_2)
	v_dual_lshlrev_b32 v58, 16, v17 :: v_dual_ashrrev_i32 v45, 31, v44
	s_wait_kmcnt 0x0
	v_lshl_add_u64 v[36:37], v[36:37], 1, s[4:5]
	v_and_b32_e32 v17, 0xffff0000, v18
	v_and_b32_e32 v61, 0xffff0000, v19
	v_and_b32_e32 v73, 0xffff0000, v32
	v_lshl_add_u64 v[44:45], v[44:45], 1, s[4:5]
	global_load_b64 v[48:49], v[36:37], off
	s_wait_xcnt 0x0
	v_lshlrev_b32_e32 v36, 2, v1
	v_subrev_nc_u32_e32 v1, s16, v52
	v_lshlrev_b32_e32 v28, 16, v31
	v_and_b32_e32 v63, 0xffff0000, v21
	v_and_b32_e32 v77, 0xffff0000, v34
	v_dual_ashrrev_i32 v37, 31, v36 :: v_dual_lshlrev_b32 v76, 16, v34
	v_and_b32_e32 v75, 0xffff0000, v23
	v_lshlrev_b32_e32 v74, 16, v23
	v_and_b32_e32 v65, 0xffff0000, v24
	s_delay_alu instid0(VALU_DEP_4)
	v_lshl_add_u64 v[46:47], v[36:37], 1, s[4:5]
	global_load_b64 v[50:51], v[46:47], off
	s_clause 0x1
	global_load_b128 v[36:39], v[8:9], off offset:1040
	global_load_b128 v[40:43], v[8:9], off offset:1536
	global_load_b64 v[52:53], v[44:45], off
	s_wait_xcnt 0x0
	v_lshlrev_b32_e32 v44, 2, v1
	v_and_b32_e32 v23, 0xffff0000, v25
	v_and_b32_e32 v67, 0xffff0000, v26
	v_lshlrev_b32_e32 v60, 16, v19
	v_and_b32_e32 v19, 0xffff0000, v20
	v_dual_ashrrev_i32 v45, 31, v44 :: v_dual_lshlrev_b32 v62, 16, v21
	v_and_b32_e32 v21, 0xffff0000, v22
	v_dual_lshlrev_b32 v64, 16, v24 :: v_dual_lshlrev_b32 v24, 16, v27
	v_lshlrev_b32_e32 v26, 16, v29
	s_delay_alu instid0(VALU_DEP_4)
	v_lshl_add_u64 v[54:55], v[44:45], 1, s[4:5]
	global_load_b64 v[56:57], v[54:55], off
	global_load_b128 v[44:47], v[8:9], off offset:1552
	s_wait_xcnt 0x1
	v_and_b32_e32 v55, 0xffff0000, v16
	v_dual_lshlrev_b32 v54, 16, v16 :: v_dual_lshlrev_b32 v16, 16, v18
	v_dual_lshlrev_b32 v18, 16, v20 :: v_dual_lshlrev_b32 v20, 16, v22
	v_lshlrev_b32_e32 v22, 16, v25
	v_and_b32_e32 v25, 0xffff0000, v27
	v_and_b32_e32 v27, 0xffff0000, v29
	;; [unrolled: 1-line block ×3, first 2 shown]
	s_wait_xcnt 0x0
	v_add_nc_u64_e32 v[8:9], 0x800, v[8:9]
	s_wait_loadcnt 0x6
	v_lshlrev_b32_e32 v30, 16, v48
	v_and_b32_e32 v32, 0xffff0000, v48
	v_lshlrev_b32_e32 v34, 16, v49
	s_delay_alu instid0(VALU_DEP_3) | instskip(SKIP_3) | instid1(VALU_DEP_4)
	v_pk_fma_f32 v[10:11], v[54:55], v[30:31], v[10:11] op_sel_hi:[1,0,1]
	v_pk_fma_f32 v[14:15], v[58:59], v[30:31], v[14:15] op_sel_hi:[1,0,1]
	v_and_b32_e32 v31, 0xffff0000, v33
	v_lshlrev_b32_e32 v30, 16, v33
	v_pk_fma_f32 v[10:11], v[16:17], v[32:33], v[10:11] op_sel_hi:[1,0,1]
	s_delay_alu instid0(VALU_DEP_4)
	v_pk_fma_f32 v[14:15], v[60:61], v[32:33], v[14:15] op_sel_hi:[1,0,1]
	v_lshlrev_b32_e32 v16, 16, v35
	v_and_b32_e32 v32, 0xffff0000, v49
	v_and_b32_e32 v17, 0xffff0000, v35
	v_pk_fma_f32 v[10:11], v[18:19], v[34:35], v[10:11] op_sel_hi:[1,0,1]
	v_pk_fma_f32 v[14:15], v[62:63], v[34:35], v[14:15] op_sel_hi:[1,0,1]
	s_wait_loadcnt 0x4
	v_dual_lshlrev_b32 v18, 16, v36 :: v_dual_lshlrev_b32 v34, 16, v50
	v_and_b32_e32 v19, 0xffff0000, v36
	v_pk_fma_f32 v[10:11], v[20:21], v[32:33], v[10:11] op_sel_hi:[1,0,1]
	v_pk_fma_f32 v[14:15], v[74:75], v[32:33], v[14:15] op_sel_hi:[1,0,1]
	v_and_b32_e32 v32, 0xffff0000, v50
	v_lshlrev_b32_e32 v20, 16, v38
	v_and_b32_e32 v21, 0xffff0000, v38
	v_pk_fma_f32 v[10:11], v[64:65], v[34:35], v[10:11] op_sel_hi:[1,0,1]
	v_pk_fma_f32 v[14:15], v[22:23], v[34:35], v[14:15] op_sel_hi:[1,0,1]
	v_lshlrev_b32_e32 v34, 16, v51
	v_and_b32_e32 v23, 0xffff0000, v37
	v_lshlrev_b32_e32 v22, 16, v37
	v_pk_fma_f32 v[10:11], v[66:67], v[32:33], v[10:11] op_sel_hi:[1,0,1]
	v_pk_fma_f32 v[14:15], v[24:25], v[32:33], v[14:15] op_sel_hi:[1,0,1]
	v_and_b32_e32 v32, 0xffff0000, v51
	v_lshlrev_b32_e32 v24, 16, v39
	v_and_b32_e32 v25, 0xffff0000, v39
	s_delay_alu instid0(VALU_DEP_4)
	v_pk_fma_f32 v[14:15], v[26:27], v[34:35], v[14:15] op_sel_hi:[1,0,1]
	s_wait_loadcnt 0x3
	v_lshlrev_b32_e32 v26, 16, v40
	v_pk_fma_f32 v[10:11], v[68:69], v[34:35], v[10:11] op_sel_hi:[1,0,1]
	s_wait_loadcnt 0x2
	v_lshlrev_b32_e32 v34, 16, v52
	v_and_b32_e32 v27, 0xffff0000, v40
	v_pk_fma_f32 v[14:15], v[28:29], v[32:33], v[14:15] op_sel_hi:[1,0,1]
	v_and_b32_e32 v29, 0xffff0000, v41
	v_pk_fma_f32 v[10:11], v[70:71], v[32:33], v[10:11] op_sel_hi:[1,0,1]
	v_and_b32_e32 v32, 0xffff0000, v52
	v_lshlrev_b32_e32 v28, 16, v41
	v_pk_fma_f32 v[14:15], v[30:31], v[34:35], v[14:15] op_sel_hi:[1,0,1]
	v_and_b32_e32 v31, 0xffff0000, v42
	v_pk_fma_f32 v[10:11], v[72:73], v[34:35], v[10:11] op_sel_hi:[1,0,1]
	v_dual_lshlrev_b32 v34, 16, v53 :: v_dual_lshlrev_b32 v30, 16, v42
	s_delay_alu instid0(VALU_DEP_4) | instskip(SKIP_1) | instid1(VALU_DEP_4)
	v_pk_fma_f32 v[14:15], v[16:17], v[32:33], v[14:15] op_sel_hi:[1,0,1]
	v_lshlrev_b32_e32 v16, 16, v43
	v_pk_fma_f32 v[10:11], v[76:77], v[32:33], v[10:11] op_sel_hi:[1,0,1]
	v_and_b32_e32 v32, 0xffff0000, v53
	v_and_b32_e32 v17, 0xffff0000, v43
	v_pk_fma_f32 v[14:15], v[22:23], v[34:35], v[14:15] op_sel_hi:[1,0,1]
	s_wait_loadcnt 0x1
	v_lshlrev_b32_e32 v22, 16, v56
	v_pk_fma_f32 v[10:11], v[18:19], v[34:35], v[10:11] op_sel_hi:[1,0,1]
	s_wait_loadcnt 0x0
	v_and_b32_e32 v19, 0xffff0000, v44
	v_lshlrev_b32_e32 v18, 16, v44
	v_pk_fma_f32 v[14:15], v[24:25], v[32:33], v[14:15] op_sel_hi:[1,0,1]
	v_and_b32_e32 v24, 0xffff0000, v56
	v_pk_fma_f32 v[10:11], v[20:21], v[32:33], v[10:11] op_sel_hi:[1,0,1]
	v_and_b32_e32 v21, 0xffff0000, v46
	v_lshlrev_b32_e32 v20, 16, v46
	s_delay_alu instid0(VALU_DEP_3)
	v_pk_fma_f32 v[10:11], v[26:27], v[22:23], v[10:11] op_sel_hi:[1,0,1]
	v_lshlrev_b32_e32 v26, 16, v57
	v_pk_fma_f32 v[14:15], v[28:29], v[22:23], v[14:15] op_sel_hi:[1,0,1]
	v_and_b32_e32 v23, 0xffff0000, v45
	v_lshlrev_b32_e32 v22, 16, v45
	v_pk_fma_f32 v[10:11], v[30:31], v[24:25], v[10:11] op_sel_hi:[1,0,1]
	s_delay_alu instid0(VALU_DEP_4)
	v_pk_fma_f32 v[14:15], v[16:17], v[24:25], v[14:15] op_sel_hi:[1,0,1]
	v_and_b32_e32 v17, 0xffff0000, v47
	v_lshlrev_b32_e32 v16, 16, v47
	v_and_b32_e32 v24, 0xffff0000, v57
	v_pk_fma_f32 v[10:11], v[18:19], v[26:27], v[10:11] op_sel_hi:[1,0,1]
	v_pk_fma_f32 v[14:15], v[22:23], v[26:27], v[14:15] op_sel_hi:[1,0,1]
	s_delay_alu instid0(VALU_DEP_2) | instskip(NEXT) | instid1(VALU_DEP_2)
	v_pk_fma_f32 v[10:11], v[20:21], v[24:25], v[10:11] op_sel_hi:[1,0,1]
	v_pk_fma_f32 v[14:15], v[16:17], v[24:25], v[14:15] op_sel_hi:[1,0,1]
	s_and_not1_b32 exec_lo, exec_lo, s6
	s_cbranch_execnz .LBB112_33
; %bb.34:
	s_or_b32 exec_lo, exec_lo, s6
	s_delay_alu instid0(VALU_DEP_1)
	v_dual_mov_b32 v19, v15 :: v_dual_mov_b32 v18, v14
.LBB112_35:
	s_or_b32 exec_lo, exec_lo, s2
.LBB112_36:
	s_delay_alu instid0(SALU_CYCLE_1)
	s_or_b32 exec_lo, exec_lo, s3
.LBB112_37:
	v_mbcnt_lo_u32_b32 v1, -1, 0
	s_mov_b32 s2, -1
	s_delay_alu instid0(VALU_DEP_1) | instskip(NEXT) | instid1(VALU_DEP_1)
	v_xor_b32_e32 v3, 8, v1
	v_cmp_gt_i32_e32 vcc_lo, 32, v3
	v_cndmask_b32_e32 v3, v1, v3, vcc_lo
	s_delay_alu instid0(VALU_DEP_1)
	v_lshlrev_b32_e32 v3, 2, v3
	ds_bpermute_b32 v4, v3, v10
	ds_bpermute_b32 v5, v3, v11
	;; [unrolled: 1-line block ×4, first 2 shown]
	v_xor_b32_e32 v3, 4, v1
	s_delay_alu instid0(VALU_DEP_1) | instskip(SKIP_1) | instid1(VALU_DEP_1)
	v_cmp_gt_i32_e32 vcc_lo, 32, v3
	v_cndmask_b32_e32 v3, v1, v3, vcc_lo
	v_lshlrev_b32_e32 v3, 2, v3
	s_wait_dscnt 0x2
	v_pk_add_f32 v[4:5], v[10:11], v[4:5]
	s_wait_dscnt 0x0
	v_pk_add_f32 v[6:7], v[18:19], v[6:7]
	ds_bpermute_b32 v8, v3, v4
	ds_bpermute_b32 v9, v3, v5
	;; [unrolled: 1-line block ×4, first 2 shown]
	v_xor_b32_e32 v3, 2, v1
	s_delay_alu instid0(VALU_DEP_1) | instskip(SKIP_1) | instid1(VALU_DEP_1)
	v_cmp_gt_i32_e32 vcc_lo, 32, v3
	v_cndmask_b32_e32 v3, v1, v3, vcc_lo
	v_lshlrev_b32_e32 v3, 2, v3
	s_wait_dscnt 0x2
	v_pk_add_f32 v[4:5], v[4:5], v[8:9]
	s_wait_dscnt 0x0
	v_pk_add_f32 v[6:7], v[6:7], v[10:11]
	ds_bpermute_b32 v8, v3, v4
	ds_bpermute_b32 v9, v3, v5
	;; [unrolled: 1-line block ×4, first 2 shown]
	v_xor_b32_e32 v3, 1, v1
	s_delay_alu instid0(VALU_DEP_1) | instskip(SKIP_2) | instid1(VALU_DEP_2)
	v_cmp_gt_i32_e32 vcc_lo, 32, v3
	v_cndmask_b32_e32 v1, v1, v3, vcc_lo
	v_cmp_eq_u32_e32 vcc_lo, 15, v0
	v_lshlrev_b32_e32 v1, 2, v1
	s_wait_dscnt 0x2
	v_pk_add_f32 v[4:5], v[4:5], v[8:9]
	s_wait_dscnt 0x0
	v_pk_add_f32 v[6:7], v[6:7], v[10:11]
	ds_bpermute_b32 v10, v1, v4
	ds_bpermute_b32 v11, v1, v5
	;; [unrolled: 1-line block ×4, first 2 shown]
	s_and_b32 exec_lo, exec_lo, vcc_lo
	s_cbranch_execz .LBB112_10
; %bb.38:
	s_load_b64 s[0:1], s[0:1], 0x50
	s_wait_dscnt 0x2
	v_pk_add_f32 v[4:5], v[4:5], v[10:11]
	s_wait_dscnt 0x0
	v_pk_add_f32 v[0:1], v[6:7], v[8:9]
	v_lshlrev_b32_e32 v2, 2, v2
	s_cmp_eq_f32 s14, 0
	s_cbranch_scc0 .LBB112_40
; %bb.39:
	s_delay_alu instid0(VALU_DEP_1)
	v_ashrrev_i32_e32 v3, 31, v2
	v_pk_mul_f32 v[6:7], s[12:13], v[4:5] op_sel_hi:[0,1]
	v_pk_mul_f32 v[8:9], s[12:13], v[0:1] op_sel_hi:[0,1]
	s_mov_b32 s2, 0
	s_wait_kmcnt 0x0
	v_lshl_add_u64 v[10:11], v[2:3], 2, s[0:1]
	global_store_b128 v[10:11], v[6:9], off
.LBB112_40:
	s_and_not1_b32 vcc_lo, exec_lo, s2
	s_cbranch_vccnz .LBB112_10
; %bb.41:
	v_ashrrev_i32_e32 v3, 31, v2
	s_wait_kmcnt 0x0
	s_delay_alu instid0(VALU_DEP_1)
	v_lshl_add_u64 v[10:11], v[2:3], 2, s[0:1]
	v_pk_mul_f32 v[2:3], s[12:13], v[4:5] op_sel_hi:[0,1]
	v_pk_mul_f32 v[4:5], s[12:13], v[0:1] op_sel_hi:[0,1]
	global_load_b128 v[6:9], v[10:11], off
	s_wait_loadcnt 0x0
	v_pk_fma_f32 v[0:1], s[14:15], v[6:7], v[2:3] op_sel_hi:[0,1,1]
	v_pk_fma_f32 v[2:3], s[14:15], v[8:9], v[4:5] op_sel_hi:[0,1,1]
	global_store_b128 v[10:11], v[0:3], off
	s_sendmsg sendmsg(MSG_DEALLOC_VGPRS)
	s_endpgm
	.section	.rodata,"a",@progbits
	.p2align	6, 0x0
	.amdhsa_kernel _ZN9rocsparseL18bsrxmvn_4x4_kernelILj128ELj16Efli18rocsparse_bfloat16S1_fEEvT3_20rocsparse_direction_NS_24const_host_device_scalarIT1_EES2_PKS2_PKT2_SB_S8_PKT4_PKT5_S6_PT6_21rocsparse_index_base_b
		.amdhsa_group_segment_fixed_size 0
		.amdhsa_private_segment_fixed_size 0
		.amdhsa_kernarg_size 96
		.amdhsa_user_sgpr_count 2
		.amdhsa_user_sgpr_dispatch_ptr 0
		.amdhsa_user_sgpr_queue_ptr 0
		.amdhsa_user_sgpr_kernarg_segment_ptr 1
		.amdhsa_user_sgpr_dispatch_id 0
		.amdhsa_user_sgpr_kernarg_preload_length 0
		.amdhsa_user_sgpr_kernarg_preload_offset 0
		.amdhsa_user_sgpr_private_segment_size 0
		.amdhsa_wavefront_size32 1
		.amdhsa_uses_dynamic_stack 0
		.amdhsa_enable_private_segment 0
		.amdhsa_system_sgpr_workgroup_id_x 1
		.amdhsa_system_sgpr_workgroup_id_y 0
		.amdhsa_system_sgpr_workgroup_id_z 0
		.amdhsa_system_sgpr_workgroup_info 0
		.amdhsa_system_vgpr_workitem_id 0
		.amdhsa_next_free_vgpr 84
		.amdhsa_next_free_sgpr 18
		.amdhsa_named_barrier_count 0
		.amdhsa_reserve_vcc 1
		.amdhsa_float_round_mode_32 0
		.amdhsa_float_round_mode_16_64 0
		.amdhsa_float_denorm_mode_32 3
		.amdhsa_float_denorm_mode_16_64 3
		.amdhsa_fp16_overflow 0
		.amdhsa_memory_ordered 1
		.amdhsa_forward_progress 1
		.amdhsa_inst_pref_size 37
		.amdhsa_round_robin_scheduling 0
		.amdhsa_exception_fp_ieee_invalid_op 0
		.amdhsa_exception_fp_denorm_src 0
		.amdhsa_exception_fp_ieee_div_zero 0
		.amdhsa_exception_fp_ieee_overflow 0
		.amdhsa_exception_fp_ieee_underflow 0
		.amdhsa_exception_fp_ieee_inexact 0
		.amdhsa_exception_int_div_zero 0
	.end_amdhsa_kernel
	.section	.text._ZN9rocsparseL18bsrxmvn_4x4_kernelILj128ELj16Efli18rocsparse_bfloat16S1_fEEvT3_20rocsparse_direction_NS_24const_host_device_scalarIT1_EES2_PKS2_PKT2_SB_S8_PKT4_PKT5_S6_PT6_21rocsparse_index_base_b,"axG",@progbits,_ZN9rocsparseL18bsrxmvn_4x4_kernelILj128ELj16Efli18rocsparse_bfloat16S1_fEEvT3_20rocsparse_direction_NS_24const_host_device_scalarIT1_EES2_PKS2_PKT2_SB_S8_PKT4_PKT5_S6_PT6_21rocsparse_index_base_b,comdat
.Lfunc_end112:
	.size	_ZN9rocsparseL18bsrxmvn_4x4_kernelILj128ELj16Efli18rocsparse_bfloat16S1_fEEvT3_20rocsparse_direction_NS_24const_host_device_scalarIT1_EES2_PKS2_PKT2_SB_S8_PKT4_PKT5_S6_PT6_21rocsparse_index_base_b, .Lfunc_end112-_ZN9rocsparseL18bsrxmvn_4x4_kernelILj128ELj16Efli18rocsparse_bfloat16S1_fEEvT3_20rocsparse_direction_NS_24const_host_device_scalarIT1_EES2_PKS2_PKT2_SB_S8_PKT4_PKT5_S6_PT6_21rocsparse_index_base_b
                                        ; -- End function
	.set _ZN9rocsparseL18bsrxmvn_4x4_kernelILj128ELj16Efli18rocsparse_bfloat16S1_fEEvT3_20rocsparse_direction_NS_24const_host_device_scalarIT1_EES2_PKS2_PKT2_SB_S8_PKT4_PKT5_S6_PT6_21rocsparse_index_base_b.num_vgpr, 84
	.set _ZN9rocsparseL18bsrxmvn_4x4_kernelILj128ELj16Efli18rocsparse_bfloat16S1_fEEvT3_20rocsparse_direction_NS_24const_host_device_scalarIT1_EES2_PKS2_PKT2_SB_S8_PKT4_PKT5_S6_PT6_21rocsparse_index_base_b.num_agpr, 0
	.set _ZN9rocsparseL18bsrxmvn_4x4_kernelILj128ELj16Efli18rocsparse_bfloat16S1_fEEvT3_20rocsparse_direction_NS_24const_host_device_scalarIT1_EES2_PKS2_PKT2_SB_S8_PKT4_PKT5_S6_PT6_21rocsparse_index_base_b.numbered_sgpr, 18
	.set _ZN9rocsparseL18bsrxmvn_4x4_kernelILj128ELj16Efli18rocsparse_bfloat16S1_fEEvT3_20rocsparse_direction_NS_24const_host_device_scalarIT1_EES2_PKS2_PKT2_SB_S8_PKT4_PKT5_S6_PT6_21rocsparse_index_base_b.num_named_barrier, 0
	.set _ZN9rocsparseL18bsrxmvn_4x4_kernelILj128ELj16Efli18rocsparse_bfloat16S1_fEEvT3_20rocsparse_direction_NS_24const_host_device_scalarIT1_EES2_PKS2_PKT2_SB_S8_PKT4_PKT5_S6_PT6_21rocsparse_index_base_b.private_seg_size, 0
	.set _ZN9rocsparseL18bsrxmvn_4x4_kernelILj128ELj16Efli18rocsparse_bfloat16S1_fEEvT3_20rocsparse_direction_NS_24const_host_device_scalarIT1_EES2_PKS2_PKT2_SB_S8_PKT4_PKT5_S6_PT6_21rocsparse_index_base_b.uses_vcc, 1
	.set _ZN9rocsparseL18bsrxmvn_4x4_kernelILj128ELj16Efli18rocsparse_bfloat16S1_fEEvT3_20rocsparse_direction_NS_24const_host_device_scalarIT1_EES2_PKS2_PKT2_SB_S8_PKT4_PKT5_S6_PT6_21rocsparse_index_base_b.uses_flat_scratch, 0
	.set _ZN9rocsparseL18bsrxmvn_4x4_kernelILj128ELj16Efli18rocsparse_bfloat16S1_fEEvT3_20rocsparse_direction_NS_24const_host_device_scalarIT1_EES2_PKS2_PKT2_SB_S8_PKT4_PKT5_S6_PT6_21rocsparse_index_base_b.has_dyn_sized_stack, 0
	.set _ZN9rocsparseL18bsrxmvn_4x4_kernelILj128ELj16Efli18rocsparse_bfloat16S1_fEEvT3_20rocsparse_direction_NS_24const_host_device_scalarIT1_EES2_PKS2_PKT2_SB_S8_PKT4_PKT5_S6_PT6_21rocsparse_index_base_b.has_recursion, 0
	.set _ZN9rocsparseL18bsrxmvn_4x4_kernelILj128ELj16Efli18rocsparse_bfloat16S1_fEEvT3_20rocsparse_direction_NS_24const_host_device_scalarIT1_EES2_PKS2_PKT2_SB_S8_PKT4_PKT5_S6_PT6_21rocsparse_index_base_b.has_indirect_call, 0
	.section	.AMDGPU.csdata,"",@progbits
; Kernel info:
; codeLenInByte = 4692
; TotalNumSgprs: 20
; NumVgprs: 84
; ScratchSize: 0
; MemoryBound: 0
; FloatMode: 240
; IeeeMode: 1
; LDSByteSize: 0 bytes/workgroup (compile time only)
; SGPRBlocks: 0
; VGPRBlocks: 5
; NumSGPRsForWavesPerEU: 20
; NumVGPRsForWavesPerEU: 84
; NamedBarCnt: 0
; Occupancy: 10
; WaveLimiterHint : 1
; COMPUTE_PGM_RSRC2:SCRATCH_EN: 0
; COMPUTE_PGM_RSRC2:USER_SGPR: 2
; COMPUTE_PGM_RSRC2:TRAP_HANDLER: 0
; COMPUTE_PGM_RSRC2:TGID_X_EN: 1
; COMPUTE_PGM_RSRC2:TGID_Y_EN: 0
; COMPUTE_PGM_RSRC2:TGID_Z_EN: 0
; COMPUTE_PGM_RSRC2:TIDIG_COMP_CNT: 0
	.section	.text._ZN9rocsparseL18bsrxmvn_4x4_kernelILj128ELj32Efli18rocsparse_bfloat16S1_fEEvT3_20rocsparse_direction_NS_24const_host_device_scalarIT1_EES2_PKS2_PKT2_SB_S8_PKT4_PKT5_S6_PT6_21rocsparse_index_base_b,"axG",@progbits,_ZN9rocsparseL18bsrxmvn_4x4_kernelILj128ELj32Efli18rocsparse_bfloat16S1_fEEvT3_20rocsparse_direction_NS_24const_host_device_scalarIT1_EES2_PKS2_PKT2_SB_S8_PKT4_PKT5_S6_PT6_21rocsparse_index_base_b,comdat
	.globl	_ZN9rocsparseL18bsrxmvn_4x4_kernelILj128ELj32Efli18rocsparse_bfloat16S1_fEEvT3_20rocsparse_direction_NS_24const_host_device_scalarIT1_EES2_PKS2_PKT2_SB_S8_PKT4_PKT5_S6_PT6_21rocsparse_index_base_b ; -- Begin function _ZN9rocsparseL18bsrxmvn_4x4_kernelILj128ELj32Efli18rocsparse_bfloat16S1_fEEvT3_20rocsparse_direction_NS_24const_host_device_scalarIT1_EES2_PKS2_PKT2_SB_S8_PKT4_PKT5_S6_PT6_21rocsparse_index_base_b
	.p2align	8
	.type	_ZN9rocsparseL18bsrxmvn_4x4_kernelILj128ELj32Efli18rocsparse_bfloat16S1_fEEvT3_20rocsparse_direction_NS_24const_host_device_scalarIT1_EES2_PKS2_PKT2_SB_S8_PKT4_PKT5_S6_PT6_21rocsparse_index_base_b,@function
_ZN9rocsparseL18bsrxmvn_4x4_kernelILj128ELj32Efli18rocsparse_bfloat16S1_fEEvT3_20rocsparse_direction_NS_24const_host_device_scalarIT1_EES2_PKS2_PKT2_SB_S8_PKT4_PKT5_S6_PT6_21rocsparse_index_base_b: ; @_ZN9rocsparseL18bsrxmvn_4x4_kernelILj128ELj32Efli18rocsparse_bfloat16S1_fEEvT3_20rocsparse_direction_NS_24const_host_device_scalarIT1_EES2_PKS2_PKT2_SB_S8_PKT4_PKT5_S6_PT6_21rocsparse_index_base_b
; %bb.0:
	s_clause 0x2
	s_load_b64 s[16:17], s[0:1], 0x58
	s_load_b64 s[12:13], s[0:1], 0x8
	;; [unrolled: 1-line block ×3, first 2 shown]
	s_wait_kmcnt 0x0
	s_bitcmp1_b32 s17, 0
	s_cselect_b32 s2, -1, 0
	s_delay_alu instid0(SALU_CYCLE_1)
	s_and_b32 vcc_lo, exec_lo, s2
	s_xor_b32 s2, s2, -1
	s_cbranch_vccnz .LBB113_2
; %bb.1:
	s_load_b32 s12, s[12:13], 0x0
.LBB113_2:
	s_and_not1_b32 vcc_lo, exec_lo, s2
	s_cbranch_vccnz .LBB113_4
; %bb.3:
	s_load_b32 s14, s[14:15], 0x0
.LBB113_4:
	s_wait_kmcnt 0x0
	s_cmp_neq_f32 s12, 0
	s_mov_b32 s6, 0
	s_cselect_b32 s2, -1, 0
	s_cmp_neq_f32 s14, 1.0
	s_cselect_b32 s3, -1, 0
	s_delay_alu instid0(SALU_CYCLE_1) | instskip(NEXT) | instid1(SALU_CYCLE_1)
	s_or_b32 s2, s2, s3
	s_and_not1_b32 vcc_lo, exec_lo, s2
	s_cbranch_vccnz .LBB113_10
; %bb.5:
	s_clause 0x1
	s_load_b64 s[4:5], s[0:1], 0x18
	s_load_b64 s[2:3], s[0:1], 0x0
	s_bfe_u32 s7, ttmp6, 0x4000c
	s_and_b32 s8, ttmp6, 15
	s_add_co_i32 s7, s7, 1
	s_getreg_b32 s9, hwreg(HW_REG_IB_STS2, 6, 4)
	s_mul_i32 s7, ttmp9, s7
	v_lshrrev_b32_e32 v1, 5, v0
	s_add_co_i32 s8, s8, s7
	s_cmp_eq_u32 s9, 0
	s_cselect_b32 s7, ttmp9, s8
	s_delay_alu instid0(VALU_DEP_1) | instid1(SALU_CYCLE_1)
	v_lshl_or_b32 v2, s7, 2, v1
	s_wait_kmcnt 0x0
	s_cmp_lg_u64 s[4:5], 0
	s_cbranch_scc0 .LBB113_11
; %bb.6:
	s_load_b32 s6, s[0:1], 0x10
	s_mov_b32 s7, 0
                                        ; implicit-def: $vgpr1
	s_wait_kmcnt 0x0
	v_cmp_gt_i32_e32 vcc_lo, s6, v2
	s_mov_b32 s6, 0
	s_and_saveexec_b32 s8, vcc_lo
	s_delay_alu instid0(SALU_CYCLE_1)
	s_xor_b32 s8, exec_lo, s8
	s_cbranch_execz .LBB113_8
; %bb.7:
	global_load_b32 v1, v2, s[4:5] scale_offset
	s_mov_b32 s6, exec_lo
	s_wait_loadcnt 0x0
	v_subrev_nc_u32_e32 v1, s16, v1
.LBB113_8:
	s_or_b32 exec_lo, exec_lo, s8
	s_delay_alu instid0(SALU_CYCLE_1)
	s_and_b32 vcc_lo, exec_lo, s7
	s_cbranch_vccz .LBB113_12
.LBB113_9:
	v_cmp_gt_i32_e32 vcc_lo, s2, v2
	s_and_not1_b32 s2, s6, exec_lo
	s_and_b32 s4, vcc_lo, exec_lo
	s_delay_alu instid0(SALU_CYCLE_1) | instskip(NEXT) | instid1(SALU_CYCLE_1)
	s_or_b32 s6, s2, s4
	s_and_saveexec_b32 s2, s6
	s_cbranch_execnz .LBB113_13
.LBB113_10:
	s_sendmsg sendmsg(MSG_DEALLOC_VGPRS)
	s_endpgm
.LBB113_11:
                                        ; implicit-def: $vgpr1
	s_cbranch_execnz .LBB113_9
.LBB113_12:
	s_delay_alu instid0(VALU_DEP_1)
	v_mov_b32_e32 v2, v1
	s_and_saveexec_b32 s2, s6
	s_cbranch_execz .LBB113_10
.LBB113_13:
	s_load_b256 s[4:11], s[0:1], 0x20
	s_mov_b32 s17, 0
	v_dual_mov_b32 v1, 0 :: v_dual_bitop2_b32 v0, 31, v0 bitop3:0x40
	s_wait_kmcnt 0x0
	s_cmp_eq_u64 s[6:7], 0
	global_load_b64 v[12:13], v2, s[4:5] scale_offset
	s_cselect_b32 vcc_lo, -1, 0
	v_ashrrev_i32_e32 v3, 31, v2
	s_cmp_eq_u32 s3, 1
	s_delay_alu instid0(VALU_DEP_1) | instskip(NEXT) | instid1(VALU_DEP_1)
	v_lshlrev_b64_e32 v[4:5], 3, v[2:3]
	v_add_nc_u64_e32 v[6:7], s[4:5], v[4:5]
	v_add_nc_u64_e32 v[4:5], s[6:7], v[4:5]
	s_wait_xcnt 0x0
	s_load_b64 s[4:5], s[0:1], 0x40
	s_delay_alu instid0(VALU_DEP_2) | instskip(NEXT) | instid1(VALU_DEP_1)
	v_add_nc_u64_e32 v[6:7], 8, v[6:7]
	v_dual_cndmask_b32 v5, v5, v7 :: v_dual_cndmask_b32 v4, v4, v6
	global_load_b64 v[6:7], v[4:5], off
	s_wait_loadcnt 0x1
	s_wait_xcnt 0x0
	v_sub_nc_u64_e64 v[4:5], v[12:13], s[16:17]
	s_delay_alu instid0(VALU_DEP_1) | instskip(NEXT) | instid1(VALU_DEP_1)
	v_add_nc_u64_e32 v[4:5], v[4:5], v[0:1]
	v_lshlrev_b64_e32 v[8:9], 5, v[4:5]
	s_delay_alu instid0(VALU_DEP_1) | instskip(SKIP_2) | instid1(VALU_DEP_1)
	v_add_nc_u64_e32 v[8:9], s[10:11], v[8:9]
	s_wait_loadcnt 0x0
	v_sub_nc_u64_e64 v[6:7], v[6:7], s[16:17]
	v_cmp_lt_i64_e64 s2, v[4:5], v[6:7]
	s_cbranch_scc1 .LBB113_25
; %bb.14:
	v_dual_mov_b32 v19, v1 :: v_dual_mov_b32 v18, v1
	v_dual_mov_b32 v11, v1 :: v_dual_mov_b32 v10, v1
	s_and_saveexec_b32 s3, s2
	s_cbranch_execz .LBB113_24
; %bb.15:
	v_dual_mov_b32 v11, v1 :: v_dual_bitop2_b32 v10, 32, v0 bitop3:0x54
	v_sub_nc_u64_e32 v[14:15], s[16:17], v[0:1]
	v_not_b32_e32 v17, v13
	v_not_b32_e32 v16, v12
	v_mov_b32_e32 v18, 0
	v_sub_nc_u64_e64 v[10:11], v[10:11], s[16:17]
	v_mov_b64_e32 v[20:21], 0
	s_delay_alu instid0(VALU_DEP_4) | instskip(SKIP_1) | instid1(VALU_DEP_4)
	v_add_nc_u64_e32 v[14:15], v[14:15], v[16:17]
	v_mov_b64_e32 v[16:17], v[8:9]
	v_add_nc_u64_e32 v[10:11], v[10:11], v[12:13]
	s_delay_alu instid0(VALU_DEP_1) | instskip(NEXT) | instid1(VALU_DEP_1)
	v_max_i64 v[10:11], v[10:11], v[6:7]
	v_add_nc_u64_e32 v[22:23], v[14:15], v[10:11]
	v_mov_b32_e32 v15, v18
	v_mov_b64_e32 v[10:11], 0
	s_delay_alu instid0(VALU_DEP_3) | instskip(NEXT) | instid1(VALU_DEP_1)
	v_and_b32_e32 v14, 0x60, v22
	v_cmp_ne_u64_e32 vcc_lo, 0x60, v[14:15]
	v_mov_b64_e32 v[14:15], v[4:5]
	s_and_saveexec_b32 s6, vcc_lo
	s_cbranch_execz .LBB113_19
; %bb.16:
	v_dual_lshrrev_b32 v3, 5, v22 :: v_dual_mov_b32 v11, v18
	v_mov_b64_e32 v[16:17], v[8:9]
	v_mov_b64_e32 v[14:15], v[4:5]
	v_lshl_add_u64 v[20:21], v[4:5], 2, s[8:9]
	s_delay_alu instid0(VALU_DEP_4) | instskip(SKIP_1) | instid1(VALU_DEP_1)
	v_dual_add_nc_u32 v3, 1, v3 :: v_dual_mov_b32 v19, v18
	s_mov_b32 s7, 0
	v_and_b32_e32 v10, 3, v3
	s_delay_alu instid0(VALU_DEP_1)
	v_sub_nc_u64_e32 v[24:25], 0, v[10:11]
	v_mov_b32_e32 v10, v18
.LBB113_17:                             ; =>This Inner Loop Header: Depth=1
	global_load_b32 v3, v[20:21], off
	v_add_nc_u64_e32 v[24:25], 1, v[24:25]
	v_add_nc_u64_e32 v[14:15], 32, v[14:15]
	s_wait_xcnt 0x0
	v_add_nc_u64_e32 v[20:21], 0x80, v[20:21]
	s_delay_alu instid0(VALU_DEP_3) | instskip(SKIP_3) | instid1(VALU_DEP_1)
	v_cmp_eq_u64_e32 vcc_lo, 0, v[24:25]
	s_or_b32 s7, vcc_lo, s7
	s_wait_loadcnt 0x0
	v_subrev_nc_u32_e32 v3, s16, v3
	v_lshlrev_b32_e32 v26, 2, v3
	s_delay_alu instid0(VALU_DEP_1) | instskip(SKIP_1) | instid1(VALU_DEP_1)
	v_ashrrev_i32_e32 v27, 31, v26
	s_wait_kmcnt 0x0
	v_lshl_add_u64 v[34:35], v[26:27], 1, s[4:5]
	s_clause 0x1
	global_load_b128 v[26:29], v[16:17], off
	global_load_b128 v[30:33], v[16:17], off offset:16
	global_load_b64 v[36:37], v[34:35], off
	s_wait_xcnt 0x1
	v_add_nc_u64_e32 v[16:17], 0x400, v[16:17]
	s_wait_loadcnt 0x2
	s_wait_xcnt 0x0
	v_and_b32_e32 v34, 0xffff0000, v27
	v_dual_lshlrev_b32 v39, 16, v28 :: v_dual_lshlrev_b32 v38, 16, v26
	v_and_b32_e32 v41, 0xffff0000, v28
	v_and_b32_e32 v40, 0xffff0000, v26
	v_dual_lshlrev_b32 v43, 16, v29 :: v_dual_lshlrev_b32 v42, 16, v27
	s_wait_loadcnt 0x1
	v_dual_lshlrev_b32 v27, 16, v32 :: v_dual_lshlrev_b32 v26, 16, v30
	s_wait_loadcnt 0x0
	v_lshlrev_b32_e32 v28, 16, v36
	v_and_b32_e32 v45, 0xffff0000, v32
	v_and_b32_e32 v44, 0xffff0000, v30
	;; [unrolled: 1-line block ×4, first 2 shown]
	v_pk_fma_f32 v[18:19], v[26:27], v[28:29], v[18:19] op_sel_hi:[1,0,1]
	v_lshlrev_b32_e32 v27, 16, v33
	v_pk_fma_f32 v[10:11], v[38:39], v[28:29], v[10:11] op_sel_hi:[1,0,1]
	v_dual_lshlrev_b32 v26, 16, v31 :: v_dual_lshlrev_b32 v28, 16, v37
	s_delay_alu instid0(VALU_DEP_4) | instskip(SKIP_1) | instid1(VALU_DEP_4)
	v_pk_fma_f32 v[18:19], v[44:45], v[30:31], v[18:19] op_sel_hi:[1,0,1]
	v_and_b32_e32 v32, 0xffff0000, v37
	v_pk_fma_f32 v[10:11], v[40:41], v[30:31], v[10:11] op_sel_hi:[1,0,1]
	v_and_b32_e32 v30, 0xffff0000, v31
	v_and_b32_e32 v31, 0xffff0000, v33
	v_pk_fma_f32 v[18:19], v[26:27], v[28:29], v[18:19] op_sel_hi:[1,0,1]
	s_delay_alu instid0(VALU_DEP_4) | instskip(NEXT) | instid1(VALU_DEP_2)
	v_pk_fma_f32 v[10:11], v[42:43], v[28:29], v[10:11] op_sel_hi:[1,0,1]
	v_pk_fma_f32 v[18:19], v[30:31], v[32:33], v[18:19] op_sel_hi:[1,0,1]
	s_delay_alu instid0(VALU_DEP_2)
	v_pk_fma_f32 v[10:11], v[34:35], v[32:33], v[10:11] op_sel_hi:[1,0,1]
	s_and_not1_b32 exec_lo, exec_lo, s7
	s_cbranch_execnz .LBB113_17
; %bb.18:
	s_or_b32 exec_lo, exec_lo, s7
	v_mov_b64_e32 v[20:21], v[18:19]
.LBB113_19:
	s_or_b32 exec_lo, exec_lo, s6
	s_delay_alu instid0(SALU_CYCLE_1)
	s_mov_b32 s6, exec_lo
	v_cmpx_lt_u64_e32 0x5f, v[22:23]
	s_cbranch_execz .LBB113_23
; %bb.20:
	v_lshl_add_u64 v[18:19], v[14:15], 2, s[8:9]
	s_mov_b32 s7, 0
	s_delay_alu instid0(VALU_DEP_1)
	v_add_nc_u64_e32 v[18:19], 0x100, v[18:19]
.LBB113_21:                             ; =>This Inner Loop Header: Depth=1
	s_clause 0x3
	global_load_b32 v3, v[18:19], off offset:-256
	global_load_b32 v46, v[18:19], off offset:-128
	global_load_b32 v47, v[18:19], off
	global_load_b32 v48, v[18:19], off offset:128
	s_clause 0x5
	global_load_b128 v[22:25], v[16:17], off
	global_load_b128 v[26:29], v[16:17], off offset:16
	global_load_b128 v[30:33], v[16:17], off offset:1024
	;; [unrolled: 1-line block ×5, first 2 shown]
	v_add_nc_u64_e32 v[14:15], 0x80, v[14:15]
	s_wait_xcnt 0x6
	v_add_nc_u64_e32 v[18:19], 0x200, v[18:19]
	s_delay_alu instid0(VALU_DEP_2)
	v_cmp_ge_i64_e32 vcc_lo, v[14:15], v[6:7]
	s_or_b32 s7, vcc_lo, s7
	s_wait_loadcnt 0x9
	v_subrev_nc_u32_e32 v3, s16, v3
	s_wait_loadcnt 0x8
	v_subrev_nc_u32_e32 v49, s16, v46
	;; [unrolled: 2-line block ×4, first 2 shown]
	s_wait_loadcnt 0x5
	v_dual_lshlrev_b32 v65, 16, v24 :: v_dual_lshlrev_b32 v64, 16, v22
	v_dual_lshlrev_b32 v46, 2, v3 :: v_dual_lshlrev_b32 v48, 2, v49
	v_lshlrev_b32_e32 v50, 2, v47
	v_lshlrev_b32_e32 v52, 2, v51
	v_and_b32_e32 v67, 0xffff0000, v24
	s_delay_alu instid0(VALU_DEP_4) | instskip(NEXT) | instid1(VALU_DEP_3)
	v_dual_ashrrev_i32 v47, 31, v46 :: v_dual_ashrrev_i32 v49, 31, v48
	v_dual_ashrrev_i32 v51, 31, v50 :: v_dual_ashrrev_i32 v53, 31, v52
	v_dual_lshlrev_b32 v69, 16, v25 :: v_dual_lshlrev_b32 v68, 16, v23
	s_wait_kmcnt 0x0
	s_delay_alu instid0(VALU_DEP_3)
	v_lshl_add_u64 v[54:55], v[46:47], 1, s[4:5]
	v_lshl_add_u64 v[56:57], v[48:49], 1, s[4:5]
	;; [unrolled: 1-line block ×3, first 2 shown]
	s_clause 0x2
	global_load_b64 v[58:59], v[54:55], off
	global_load_b64 v[60:61], v[56:57], off
	;; [unrolled: 1-line block ×3, first 2 shown]
	global_load_b128 v[46:49], v[16:17], off offset:3072
	s_wait_xcnt 0x3
	v_lshl_add_u64 v[54:55], v[52:53], 1, s[4:5]
	global_load_b128 v[50:53], v[16:17], off offset:3088
	global_load_b64 v[56:57], v[54:55], off
	s_wait_xcnt 0x0
	v_and_b32_e32 v55, 0xffff0000, v25
	s_wait_loadcnt 0xa
	v_dual_lshlrev_b32 v25, 16, v28 :: v_dual_lshlrev_b32 v24, 16, v26
	v_and_b32_e32 v54, 0xffff0000, v23
	v_and_b32_e32 v66, 0xffff0000, v22
	;; [unrolled: 1-line block ×5, first 2 shown]
	v_dual_lshlrev_b32 v73, 16, v29 :: v_dual_lshlrev_b32 v72, 16, v27
	v_and_b32_e32 v23, 0xffff0000, v29
	s_wait_loadcnt 0x9
	v_and_b32_e32 v75, 0xffff0000, v32
	v_lshlrev_b32_e32 v76, 16, v31
	s_wait_loadcnt 0x7
	v_and_b32_e32 v79, 0xffff0000, v40
	v_dual_lshlrev_b32 v80, 16, v39 :: v_dual_lshlrev_b32 v28, 16, v30
	v_lshlrev_b32_e32 v77, 16, v33
	v_and_b32_e32 v74, 0xffff0000, v30
	v_dual_lshlrev_b32 v30, 16, v38 :: v_dual_lshlrev_b32 v81, 16, v41
	v_and_b32_e32 v78, 0xffff0000, v38
	v_and_b32_e32 v33, 0xffff0000, v33
	;; [unrolled: 1-line block ×3, first 2 shown]
	v_add_nc_u64_e32 v[16:17], 0x1000, v[16:17]
	v_lshlrev_b32_e32 v29, 16, v32
	v_and_b32_e32 v32, 0xffff0000, v31
	v_lshlrev_b32_e32 v31, 16, v40
	v_and_b32_e32 v40, 0xffff0000, v39
	s_wait_loadcnt 0x2
	v_dual_lshlrev_b32 v82, 16, v58 :: v_dual_lshlrev_b32 v27, 16, v49
	v_and_b32_e32 v83, 0xffff0000, v48
	v_dual_lshlrev_b32 v26, 16, v47 :: v_dual_lshlrev_b32 v39, 16, v48
	v_and_b32_e32 v48, 0xffff0000, v58
	v_lshlrev_b32_e32 v38, 16, v46
	s_delay_alu instid0(VALU_DEP_4)
	v_pk_fma_f32 v[10:11], v[64:65], v[82:83], v[10:11] op_sel_hi:[1,0,1]
	v_pk_fma_f32 v[20:21], v[24:25], v[82:83], v[20:21] op_sel_hi:[1,0,1]
	v_lshlrev_b32_e32 v24, 16, v59
	v_and_b32_e32 v82, 0xffff0000, v46
	v_and_b32_e32 v46, 0xffff0000, v59
	v_pk_fma_f32 v[10:11], v[66:67], v[48:49], v[10:11] op_sel_hi:[1,0,1]
	v_pk_fma_f32 v[20:21], v[70:71], v[48:49], v[20:21] op_sel_hi:[1,0,1]
	v_lshlrev_b32_e32 v58, 16, v60
	v_and_b32_e32 v49, 0xffff0000, v49
	v_and_b32_e32 v48, 0xffff0000, v47
	v_pk_fma_f32 v[10:11], v[68:69], v[24:25], v[10:11] op_sel_hi:[1,0,1]
	v_pk_fma_f32 v[20:21], v[72:73], v[24:25], v[20:21] op_sel_hi:[1,0,1]
	v_dual_lshlrev_b32 v25, 16, v36 :: v_dual_lshlrev_b32 v24, 16, v34
	s_delay_alu instid0(VALU_DEP_3) | instskip(NEXT) | instid1(VALU_DEP_3)
	v_pk_fma_f32 v[10:11], v[54:55], v[46:47], v[10:11] op_sel_hi:[1,0,1]
	v_pk_fma_f32 v[20:21], v[22:23], v[46:47], v[20:21] op_sel_hi:[1,0,1]
	v_and_b32_e32 v23, 0xffff0000, v36
	v_and_b32_e32 v22, 0xffff0000, v34
	;; [unrolled: 1-line block ×3, first 2 shown]
	s_delay_alu instid0(VALU_DEP_4) | instskip(SKIP_3) | instid1(VALU_DEP_4)
	v_pk_fma_f32 v[20:21], v[24:25], v[58:59], v[20:21] op_sel_hi:[1,0,1]
	v_lshlrev_b32_e32 v25, 16, v37
	v_pk_fma_f32 v[10:11], v[28:29], v[58:59], v[10:11] op_sel_hi:[1,0,1]
	v_dual_lshlrev_b32 v24, 16, v35 :: v_dual_lshlrev_b32 v28, 16, v61
	v_pk_fma_f32 v[20:21], v[22:23], v[34:35], v[20:21] op_sel_hi:[1,0,1]
	v_and_b32_e32 v23, 0xffff0000, v37
	s_delay_alu instid0(VALU_DEP_4)
	v_pk_fma_f32 v[10:11], v[74:75], v[34:35], v[10:11] op_sel_hi:[1,0,1]
	v_and_b32_e32 v22, 0xffff0000, v35
	v_and_b32_e32 v34, 0xffff0000, v61
	v_pk_fma_f32 v[20:21], v[24:25], v[28:29], v[20:21] op_sel_hi:[1,0,1]
	v_dual_lshlrev_b32 v25, 16, v44 :: v_dual_lshlrev_b32 v24, 16, v42
	v_pk_fma_f32 v[10:11], v[76:77], v[28:29], v[10:11] op_sel_hi:[1,0,1]
	v_lshlrev_b32_e32 v28, 16, v62
	s_delay_alu instid0(VALU_DEP_4)
	v_pk_fma_f32 v[20:21], v[22:23], v[34:35], v[20:21] op_sel_hi:[1,0,1]
	v_and_b32_e32 v23, 0xffff0000, v44
	v_and_b32_e32 v22, 0xffff0000, v42
	v_pk_fma_f32 v[10:11], v[32:33], v[34:35], v[10:11] op_sel_hi:[1,0,1]
	v_and_b32_e32 v32, 0xffff0000, v62
	v_pk_fma_f32 v[20:21], v[24:25], v[28:29], v[20:21] op_sel_hi:[1,0,1]
	v_dual_lshlrev_b32 v25, 16, v45 :: v_dual_lshlrev_b32 v24, 16, v43
	s_delay_alu instid0(VALU_DEP_4) | instskip(SKIP_1) | instid1(VALU_DEP_4)
	v_pk_fma_f32 v[10:11], v[30:31], v[28:29], v[10:11] op_sel_hi:[1,0,1]
	v_lshlrev_b32_e32 v28, 16, v63
	v_pk_fma_f32 v[20:21], v[22:23], v[32:33], v[20:21] op_sel_hi:[1,0,1]
	v_and_b32_e32 v23, 0xffff0000, v45
	v_and_b32_e32 v22, 0xffff0000, v43
	v_pk_fma_f32 v[10:11], v[78:79], v[32:33], v[10:11] op_sel_hi:[1,0,1]
	v_and_b32_e32 v30, 0xffff0000, v63
	v_pk_fma_f32 v[20:21], v[24:25], v[28:29], v[20:21] op_sel_hi:[1,0,1]
	s_wait_loadcnt 0x1
	v_dual_lshlrev_b32 v24, 16, v50 :: v_dual_lshlrev_b32 v25, 16, v52
	v_pk_fma_f32 v[10:11], v[80:81], v[28:29], v[10:11] op_sel_hi:[1,0,1]
	s_wait_loadcnt 0x0
	v_lshlrev_b32_e32 v28, 16, v56
	v_pk_fma_f32 v[20:21], v[22:23], v[30:31], v[20:21] op_sel_hi:[1,0,1]
	v_and_b32_e32 v23, 0xffff0000, v52
	v_and_b32_e32 v22, 0xffff0000, v50
	v_pk_fma_f32 v[10:11], v[40:41], v[30:31], v[10:11] op_sel_hi:[1,0,1]
	v_and_b32_e32 v30, 0xffff0000, v56
	v_pk_fma_f32 v[20:21], v[24:25], v[28:29], v[20:21] op_sel_hi:[1,0,1]
	v_dual_lshlrev_b32 v24, 16, v51 :: v_dual_lshlrev_b32 v25, 16, v53
	s_delay_alu instid0(VALU_DEP_4) | instskip(SKIP_1) | instid1(VALU_DEP_4)
	v_pk_fma_f32 v[10:11], v[38:39], v[28:29], v[10:11] op_sel_hi:[1,0,1]
	v_lshlrev_b32_e32 v28, 16, v57
	v_pk_fma_f32 v[20:21], v[22:23], v[30:31], v[20:21] op_sel_hi:[1,0,1]
	v_and_b32_e32 v23, 0xffff0000, v53
	v_and_b32_e32 v22, 0xffff0000, v51
	v_pk_fma_f32 v[10:11], v[82:83], v[30:31], v[10:11] op_sel_hi:[1,0,1]
	v_and_b32_e32 v30, 0xffff0000, v57
	v_pk_fma_f32 v[20:21], v[24:25], v[28:29], v[20:21] op_sel_hi:[1,0,1]
	s_delay_alu instid0(VALU_DEP_3) | instskip(NEXT) | instid1(VALU_DEP_2)
	v_pk_fma_f32 v[10:11], v[26:27], v[28:29], v[10:11] op_sel_hi:[1,0,1]
	v_pk_fma_f32 v[20:21], v[22:23], v[30:31], v[20:21] op_sel_hi:[1,0,1]
	s_delay_alu instid0(VALU_DEP_2)
	v_pk_fma_f32 v[10:11], v[48:49], v[30:31], v[10:11] op_sel_hi:[1,0,1]
	s_and_not1_b32 exec_lo, exec_lo, s7
	s_cbranch_execnz .LBB113_21
; %bb.22:
	s_or_b32 exec_lo, exec_lo, s7
	v_dual_mov_b32 v19, v21 :: v_dual_mov_b32 v18, v20
.LBB113_23:
	s_or_b32 exec_lo, exec_lo, s6
.LBB113_24:
	s_delay_alu instid0(SALU_CYCLE_1)
	s_or_b32 exec_lo, exec_lo, s3
	s_cbranch_execz .LBB113_26
	s_branch .LBB113_37
.LBB113_25:
                                        ; implicit-def: $vgpr19
                                        ; implicit-def: $vgpr11
.LBB113_26:
	v_dual_mov_b32 v19, 0 :: v_dual_mov_b32 v18, 0
	v_dual_mov_b32 v11, 0 :: v_dual_mov_b32 v10, 0
	s_and_saveexec_b32 s3, s2
	s_cbranch_execz .LBB113_36
; %bb.27:
	v_dual_mov_b32 v11, v1 :: v_dual_bitop2_b32 v10, 32, v0 bitop3:0x54
	v_sub_nc_u64_e32 v[14:15], s[16:17], v[0:1]
	v_mov_b32_e32 v18, 0
	s_delay_alu instid0(VALU_DEP_3) | instskip(NEXT) | instid1(VALU_DEP_1)
	v_sub_nc_u64_e64 v[10:11], v[10:11], s[16:17]
	v_add_nc_u64_e32 v[10:11], v[10:11], v[12:13]
	v_not_b32_e32 v13, v13
	v_not_b32_e32 v12, v12
	s_delay_alu instid0(VALU_DEP_1) | instskip(NEXT) | instid1(VALU_DEP_4)
	v_add_nc_u64_e32 v[12:13], v[14:15], v[12:13]
	v_max_i64 v[10:11], v[10:11], v[6:7]
	v_mov_b32_e32 v15, v18
	s_delay_alu instid0(VALU_DEP_2) | instskip(SKIP_1) | instid1(VALU_DEP_2)
	v_add_nc_u64_e32 v[12:13], v[12:13], v[10:11]
	v_mov_b64_e32 v[10:11], 0
	v_and_b32_e32 v14, 0x60, v12
	s_delay_alu instid0(VALU_DEP_1)
	v_cmp_ne_u64_e32 vcc_lo, 0x60, v[14:15]
	v_mov_b64_e32 v[14:15], 0
	s_and_saveexec_b32 s2, vcc_lo
	s_cbranch_execz .LBB113_31
; %bb.28:
	v_dual_lshrrev_b32 v1, 5, v12 :: v_dual_mov_b32 v11, v18
	v_lshl_add_u64 v[14:15], v[4:5], 2, s[8:9]
	s_mov_b32 s6, 0
	s_delay_alu instid0(VALU_DEP_2) | instskip(NEXT) | instid1(VALU_DEP_1)
	v_dual_mov_b32 v19, v18 :: v_dual_add_nc_u32 v1, 1, v1
	v_and_b32_e32 v10, 3, v1
	s_delay_alu instid0(VALU_DEP_1)
	v_sub_nc_u64_e32 v[16:17], 0, v[10:11]
	v_mov_b32_e32 v10, v18
.LBB113_29:                             ; =>This Inner Loop Header: Depth=1
	global_load_b32 v1, v[14:15], off
	global_load_b128 v[20:23], v[8:9], off
	v_add_nc_u64_e32 v[16:17], 1, v[16:17]
	v_add_nc_u64_e32 v[4:5], 32, v[4:5]
	s_wait_xcnt 0x1
	v_add_nc_u64_e32 v[14:15], 0x80, v[14:15]
	s_delay_alu instid0(VALU_DEP_3)
	v_cmp_eq_u64_e32 vcc_lo, 0, v[16:17]
	s_or_b32 s6, vcc_lo, s6
	s_wait_loadcnt 0x1
	v_subrev_nc_u32_e32 v1, s16, v1
	s_wait_loadcnt 0x0
	v_and_b32_e32 v33, 0xffff0000, v22
	v_and_b32_e32 v35, 0xffff0000, v21
	v_lshlrev_b32_e32 v34, 16, v21
	v_and_b32_e32 v21, 0xffff0000, v23
	v_dual_lshlrev_b32 v24, 2, v1 :: v_dual_lshlrev_b32 v32, 16, v22
	s_delay_alu instid0(VALU_DEP_1) | instskip(SKIP_1) | instid1(VALU_DEP_1)
	v_ashrrev_i32_e32 v25, 31, v24
	s_wait_kmcnt 0x0
	v_lshl_add_u64 v[28:29], v[24:25], 1, s[4:5]
	global_load_b64 v[30:31], v[28:29], off
	global_load_b128 v[24:27], v[8:9], off offset:16
	s_wait_xcnt 0x1
	v_and_b32_e32 v29, 0xffff0000, v20
	v_dual_lshlrev_b32 v28, 16, v20 :: v_dual_lshlrev_b32 v20, 16, v23
	s_wait_xcnt 0x0
	v_add_nc_u64_e32 v[8:9], 0x400, v[8:9]
	s_wait_loadcnt 0x0
	v_and_b32_e32 v23, 0xffff0000, v24
	v_dual_lshlrev_b32 v22, 16, v24 :: v_dual_lshlrev_b32 v24, 16, v30
	v_and_b32_e32 v30, 0xffff0000, v30
	v_and_b32_e32 v37, 0xffff0000, v25
	v_lshlrev_b32_e32 v36, 16, v25
	s_delay_alu instid0(VALU_DEP_4) | instskip(SKIP_3) | instid1(VALU_DEP_4)
	v_pk_fma_f32 v[10:11], v[28:29], v[24:25], v[10:11] op_sel_hi:[1,0,1]
	v_pk_fma_f32 v[18:19], v[34:35], v[24:25], v[18:19] op_sel_hi:[1,0,1]
	v_and_b32_e32 v25, 0xffff0000, v26
	v_dual_lshlrev_b32 v24, 16, v26 :: v_dual_lshlrev_b32 v26, 16, v31
	v_pk_fma_f32 v[10:11], v[32:33], v[30:31], v[10:11] op_sel_hi:[1,0,1]
	s_delay_alu instid0(VALU_DEP_4)
	v_pk_fma_f32 v[18:19], v[20:21], v[30:31], v[18:19] op_sel_hi:[1,0,1]
	v_and_b32_e32 v21, 0xffff0000, v27
	v_lshlrev_b32_e32 v20, 16, v27
	v_and_b32_e32 v28, 0xffff0000, v31
	v_pk_fma_f32 v[10:11], v[22:23], v[26:27], v[10:11] op_sel_hi:[1,0,1]
	v_pk_fma_f32 v[18:19], v[36:37], v[26:27], v[18:19] op_sel_hi:[1,0,1]
	s_delay_alu instid0(VALU_DEP_2) | instskip(NEXT) | instid1(VALU_DEP_2)
	v_pk_fma_f32 v[10:11], v[24:25], v[28:29], v[10:11] op_sel_hi:[1,0,1]
	v_pk_fma_f32 v[18:19], v[20:21], v[28:29], v[18:19] op_sel_hi:[1,0,1]
	s_and_not1_b32 exec_lo, exec_lo, s6
	s_cbranch_execnz .LBB113_29
; %bb.30:
	s_or_b32 exec_lo, exec_lo, s6
	s_delay_alu instid0(VALU_DEP_1)
	v_mov_b64_e32 v[14:15], v[18:19]
.LBB113_31:
	s_or_b32 exec_lo, exec_lo, s2
	s_delay_alu instid0(SALU_CYCLE_1)
	s_mov_b32 s2, exec_lo
	v_cmpx_lt_u64_e32 0x5f, v[12:13]
	s_cbranch_execz .LBB113_35
; %bb.32:
	v_lshl_add_u64 v[12:13], v[4:5], 2, s[8:9]
	s_mov_b32 s6, 0
	s_delay_alu instid0(VALU_DEP_1)
	v_add_nc_u64_e32 v[12:13], 0x100, v[12:13]
.LBB113_33:                             ; =>This Inner Loop Header: Depth=1
	s_clause 0x3
	global_load_b32 v1, v[12:13], off offset:-256
	global_load_b32 v3, v[12:13], off offset:-128
	global_load_b32 v44, v[12:13], off
	global_load_b32 v46, v[12:13], off offset:128
	s_clause 0x3
	global_load_b128 v[16:19], v[8:9], off
	global_load_b128 v[20:23], v[8:9], off offset:16
	global_load_b128 v[24:27], v[8:9], off offset:1024
	;; [unrolled: 1-line block ×3, first 2 shown]
	v_add_nc_u64_e32 v[4:5], 0x80, v[4:5]
	s_wait_xcnt 0x4
	v_add_nc_u64_e32 v[12:13], 0x200, v[12:13]
	s_delay_alu instid0(VALU_DEP_2)
	v_cmp_ge_i64_e32 vcc_lo, v[4:5], v[6:7]
	s_or_b32 s6, vcc_lo, s6
	s_wait_loadcnt 0x7
	v_subrev_nc_u32_e32 v1, s16, v1
	s_wait_loadcnt 0x6
	v_subrev_nc_u32_e32 v3, s16, v3
	s_wait_loadcnt 0x3
	v_and_b32_e32 v61, 0xffff0000, v17
	s_delay_alu instid0(VALU_DEP_2) | instskip(SKIP_4) | instid1(VALU_DEP_3)
	v_dual_lshlrev_b32 v32, 2, v1 :: v_dual_lshlrev_b32 v40, 2, v3
	v_subrev_nc_u32_e32 v1, s16, v44
	s_wait_loadcnt 0x0
	v_and_b32_e32 v69, 0xffff0000, v28
	v_dual_lshlrev_b32 v68, 16, v28 :: v_dual_lshlrev_b32 v70, 16, v30
	v_dual_ashrrev_i32 v33, 31, v32 :: v_dual_lshlrev_b32 v44, 2, v1
	v_subrev_nc_u32_e32 v1, s16, v46
	v_dual_ashrrev_i32 v41, 31, v40 :: v_dual_lshlrev_b32 v58, 16, v18
	s_wait_kmcnt 0x0
	s_delay_alu instid0(VALU_DEP_3)
	v_lshl_add_u64 v[42:43], v[32:33], 1, s[4:5]
	v_ashrrev_i32_e32 v45, 31, v44
	v_and_b32_e32 v71, 0xffff0000, v30
	v_lshl_add_u64 v[40:41], v[40:41], 1, s[4:5]
	global_load_b64 v[48:49], v[42:43], off
	s_clause 0x1
	global_load_b128 v[32:35], v[8:9], off offset:2048
	global_load_b128 v[36:39], v[8:9], off offset:2064
	v_lshl_add_u64 v[44:45], v[44:45], 1, s[4:5]
	v_lshlrev_b32_e32 v28, 16, v31
	global_load_b64 v[50:51], v[40:41], off
	v_and_b32_e32 v59, 0xffff0000, v18
	v_dual_lshlrev_b32 v18, 16, v20 :: v_dual_lshlrev_b32 v62, 16, v21
	global_load_b64 v[52:53], v[44:45], off
	s_wait_xcnt 0x0
	v_lshlrev_b32_e32 v44, 2, v1
	global_load_b128 v[40:43], v[8:9], off offset:3072
	v_lshlrev_b32_e32 v60, 16, v17
	v_and_b32_e32 v17, 0xffff0000, v19
	v_and_b32_e32 v63, 0xffff0000, v21
	v_ashrrev_i32_e32 v45, 31, v44
	v_and_b32_e32 v21, 0xffff0000, v22
	v_and_b32_e32 v65, 0xffff0000, v23
	v_and_b32_e32 v75, 0xffff0000, v25
	v_and_b32_e32 v67, 0xffff0000, v26
	v_lshl_add_u64 v[54:55], v[44:45], 1, s[4:5]
	global_load_b64 v[56:57], v[54:55], off
	global_load_b128 v[44:47], v[8:9], off offset:3088
	s_wait_xcnt 0x1
	v_and_b32_e32 v55, 0xffff0000, v16
	v_dual_lshlrev_b32 v54, 16, v16 :: v_dual_lshlrev_b32 v16, 16, v19
	v_and_b32_e32 v19, 0xffff0000, v20
	v_dual_lshlrev_b32 v20, 16, v22 :: v_dual_lshlrev_b32 v64, 16, v23
	;; [unrolled: 2-line block ×3, first 2 shown]
	v_dual_lshlrev_b32 v24, 16, v27 :: v_dual_lshlrev_b32 v26, 16, v29
	s_wait_xcnt 0x0
	v_add_nc_u64_e32 v[8:9], 0x1000, v[8:9]
	v_lshlrev_b32_e32 v74, 16, v25
	v_and_b32_e32 v25, 0xffff0000, v27
	v_and_b32_e32 v27, 0xffff0000, v29
	;; [unrolled: 1-line block ×3, first 2 shown]
	s_wait_loadcnt 0x7
	v_lshlrev_b32_e32 v30, 16, v48
	s_wait_loadcnt 0x6
	v_and_b32_e32 v73, 0xffff0000, v32
	v_lshlrev_b32_e32 v72, 16, v32
	v_and_b32_e32 v32, 0xffff0000, v48
	v_and_b32_e32 v77, 0xffff0000, v34
	v_pk_fma_f32 v[10:11], v[54:55], v[30:31], v[10:11] op_sel_hi:[1,0,1]
	v_pk_fma_f32 v[14:15], v[60:61], v[30:31], v[14:15] op_sel_hi:[1,0,1]
	v_dual_lshlrev_b32 v76, 16, v34 :: v_dual_lshlrev_b32 v30, 16, v33
	v_lshlrev_b32_e32 v34, 16, v49
	s_delay_alu instid0(VALU_DEP_4) | instskip(NEXT) | instid1(VALU_DEP_4)
	v_pk_fma_f32 v[10:11], v[58:59], v[32:33], v[10:11] op_sel_hi:[1,0,1]
	v_pk_fma_f32 v[14:15], v[16:17], v[32:33], v[14:15] op_sel_hi:[1,0,1]
	v_lshlrev_b32_e32 v16, 16, v35
	v_and_b32_e32 v32, 0xffff0000, v49
	v_and_b32_e32 v31, 0xffff0000, v33
	v_pk_fma_f32 v[10:11], v[18:19], v[34:35], v[10:11] op_sel_hi:[1,0,1]
	v_pk_fma_f32 v[14:15], v[62:63], v[34:35], v[14:15] op_sel_hi:[1,0,1]
	s_wait_loadcnt 0x4
	v_dual_lshlrev_b32 v18, 16, v36 :: v_dual_lshlrev_b32 v34, 16, v50
	v_and_b32_e32 v17, 0xffff0000, v35
	v_pk_fma_f32 v[10:11], v[20:21], v[32:33], v[10:11] op_sel_hi:[1,0,1]
	v_pk_fma_f32 v[14:15], v[64:65], v[32:33], v[14:15] op_sel_hi:[1,0,1]
	v_and_b32_e32 v32, 0xffff0000, v50
	v_and_b32_e32 v19, 0xffff0000, v36
	;; [unrolled: 1-line block ×3, first 2 shown]
	v_pk_fma_f32 v[10:11], v[22:23], v[34:35], v[10:11] op_sel_hi:[1,0,1]
	v_pk_fma_f32 v[14:15], v[74:75], v[34:35], v[14:15] op_sel_hi:[1,0,1]
	v_dual_lshlrev_b32 v34, 16, v51 :: v_dual_lshlrev_b32 v20, 16, v38
	s_wait_loadcnt 0x2
	v_lshlrev_b32_e32 v22, 16, v40
	v_pk_fma_f32 v[10:11], v[66:67], v[32:33], v[10:11] op_sel_hi:[1,0,1]
	v_pk_fma_f32 v[14:15], v[24:25], v[32:33], v[14:15] op_sel_hi:[1,0,1]
	v_lshlrev_b32_e32 v24, 16, v37
	v_and_b32_e32 v32, 0xffff0000, v51
	v_and_b32_e32 v25, 0xffff0000, v37
	v_pk_fma_f32 v[10:11], v[68:69], v[34:35], v[10:11] op_sel_hi:[1,0,1]
	v_pk_fma_f32 v[14:15], v[26:27], v[34:35], v[14:15] op_sel_hi:[1,0,1]
	v_dual_lshlrev_b32 v26, 16, v39 :: v_dual_lshlrev_b32 v34, 16, v52
	v_and_b32_e32 v27, 0xffff0000, v39
	s_delay_alu instid0(VALU_DEP_4) | instskip(NEXT) | instid1(VALU_DEP_4)
	v_pk_fma_f32 v[10:11], v[70:71], v[32:33], v[10:11] op_sel_hi:[1,0,1]
	v_pk_fma_f32 v[14:15], v[28:29], v[32:33], v[14:15] op_sel_hi:[1,0,1]
	v_and_b32_e32 v32, 0xffff0000, v52
	v_and_b32_e32 v23, 0xffff0000, v40
	v_and_b32_e32 v29, 0xffff0000, v41
	v_pk_fma_f32 v[10:11], v[72:73], v[34:35], v[10:11] op_sel_hi:[1,0,1]
	v_pk_fma_f32 v[14:15], v[30:31], v[34:35], v[14:15] op_sel_hi:[1,0,1]
	v_lshlrev_b32_e32 v34, 16, v53
	v_dual_lshlrev_b32 v28, 16, v41 :: v_dual_lshlrev_b32 v30, 16, v42
	s_delay_alu instid0(VALU_DEP_4) | instskip(NEXT) | instid1(VALU_DEP_4)
	v_pk_fma_f32 v[10:11], v[76:77], v[32:33], v[10:11] op_sel_hi:[1,0,1]
	v_pk_fma_f32 v[14:15], v[16:17], v[32:33], v[14:15] op_sel_hi:[1,0,1]
	v_lshlrev_b32_e32 v16, 16, v43
	v_and_b32_e32 v32, 0xffff0000, v53
	v_and_b32_e32 v31, 0xffff0000, v42
	v_pk_fma_f32 v[10:11], v[18:19], v[34:35], v[10:11] op_sel_hi:[1,0,1]
	v_pk_fma_f32 v[14:15], v[24:25], v[34:35], v[14:15] op_sel_hi:[1,0,1]
	s_wait_loadcnt 0x1
	v_lshlrev_b32_e32 v24, 16, v56
	v_and_b32_e32 v17, 0xffff0000, v43
	s_wait_loadcnt 0x0
	v_and_b32_e32 v19, 0xffff0000, v44
	v_pk_fma_f32 v[10:11], v[20:21], v[32:33], v[10:11] op_sel_hi:[1,0,1]
	v_pk_fma_f32 v[14:15], v[26:27], v[32:33], v[14:15] op_sel_hi:[1,0,1]
	v_and_b32_e32 v26, 0xffff0000, v56
	v_dual_lshlrev_b32 v18, 16, v44 :: v_dual_lshlrev_b32 v20, 16, v45
	s_delay_alu instid0(VALU_DEP_4)
	v_pk_fma_f32 v[10:11], v[22:23], v[24:25], v[10:11] op_sel_hi:[1,0,1]
	v_lshlrev_b32_e32 v22, 16, v46
	v_pk_fma_f32 v[14:15], v[28:29], v[24:25], v[14:15] op_sel_hi:[1,0,1]
	v_and_b32_e32 v21, 0xffff0000, v45
	v_lshlrev_b32_e32 v24, 16, v57
	v_pk_fma_f32 v[10:11], v[30:31], v[26:27], v[10:11] op_sel_hi:[1,0,1]
	v_and_b32_e32 v23, 0xffff0000, v46
	v_pk_fma_f32 v[14:15], v[16:17], v[26:27], v[14:15] op_sel_hi:[1,0,1]
	v_and_b32_e32 v17, 0xffff0000, v47
	v_lshlrev_b32_e32 v16, 16, v47
	v_and_b32_e32 v26, 0xffff0000, v57
	v_pk_fma_f32 v[10:11], v[18:19], v[24:25], v[10:11] op_sel_hi:[1,0,1]
	v_pk_fma_f32 v[14:15], v[20:21], v[24:25], v[14:15] op_sel_hi:[1,0,1]
	s_delay_alu instid0(VALU_DEP_2) | instskip(NEXT) | instid1(VALU_DEP_2)
	v_pk_fma_f32 v[10:11], v[22:23], v[26:27], v[10:11] op_sel_hi:[1,0,1]
	v_pk_fma_f32 v[14:15], v[16:17], v[26:27], v[14:15] op_sel_hi:[1,0,1]
	s_and_not1_b32 exec_lo, exec_lo, s6
	s_cbranch_execnz .LBB113_33
; %bb.34:
	s_or_b32 exec_lo, exec_lo, s6
	s_delay_alu instid0(VALU_DEP_1)
	v_dual_mov_b32 v19, v15 :: v_dual_mov_b32 v18, v14
.LBB113_35:
	s_or_b32 exec_lo, exec_lo, s2
.LBB113_36:
	s_delay_alu instid0(SALU_CYCLE_1)
	s_or_b32 exec_lo, exec_lo, s3
.LBB113_37:
	v_mbcnt_lo_u32_b32 v1, -1, 0
	s_mov_b32 s2, -1
	s_delay_alu instid0(VALU_DEP_1) | instskip(NEXT) | instid1(VALU_DEP_1)
	v_xor_b32_e32 v3, 16, v1
	v_cmp_gt_i32_e32 vcc_lo, 32, v3
	v_cndmask_b32_e32 v3, v1, v3, vcc_lo
	s_delay_alu instid0(VALU_DEP_1)
	v_lshlrev_b32_e32 v3, 2, v3
	ds_bpermute_b32 v4, v3, v10
	ds_bpermute_b32 v5, v3, v11
	ds_bpermute_b32 v6, v3, v18
	ds_bpermute_b32 v7, v3, v19
	v_xor_b32_e32 v3, 8, v1
	s_delay_alu instid0(VALU_DEP_1) | instskip(SKIP_1) | instid1(VALU_DEP_1)
	v_cmp_gt_i32_e32 vcc_lo, 32, v3
	v_cndmask_b32_e32 v3, v1, v3, vcc_lo
	v_lshlrev_b32_e32 v3, 2, v3
	s_wait_dscnt 0x2
	v_pk_add_f32 v[4:5], v[10:11], v[4:5]
	s_wait_dscnt 0x0
	v_pk_add_f32 v[6:7], v[18:19], v[6:7]
	ds_bpermute_b32 v8, v3, v4
	ds_bpermute_b32 v9, v3, v5
	ds_bpermute_b32 v10, v3, v6
	ds_bpermute_b32 v11, v3, v7
	v_xor_b32_e32 v3, 4, v1
	s_delay_alu instid0(VALU_DEP_1) | instskip(SKIP_1) | instid1(VALU_DEP_1)
	v_cmp_gt_i32_e32 vcc_lo, 32, v3
	v_cndmask_b32_e32 v3, v1, v3, vcc_lo
	v_lshlrev_b32_e32 v3, 2, v3
	s_wait_dscnt 0x2
	v_pk_add_f32 v[4:5], v[4:5], v[8:9]
	s_wait_dscnt 0x0
	v_pk_add_f32 v[6:7], v[6:7], v[10:11]
	;; [unrolled: 13-line block ×3, first 2 shown]
	ds_bpermute_b32 v8, v3, v4
	ds_bpermute_b32 v9, v3, v5
	ds_bpermute_b32 v10, v3, v6
	ds_bpermute_b32 v11, v3, v7
	v_xor_b32_e32 v3, 1, v1
	s_delay_alu instid0(VALU_DEP_1) | instskip(SKIP_2) | instid1(VALU_DEP_2)
	v_cmp_gt_i32_e32 vcc_lo, 32, v3
	v_cndmask_b32_e32 v1, v1, v3, vcc_lo
	v_cmp_eq_u32_e32 vcc_lo, 31, v0
	v_lshlrev_b32_e32 v1, 2, v1
	s_wait_dscnt 0x2
	v_pk_add_f32 v[4:5], v[4:5], v[8:9]
	s_wait_dscnt 0x0
	v_pk_add_f32 v[6:7], v[6:7], v[10:11]
	ds_bpermute_b32 v10, v1, v4
	ds_bpermute_b32 v11, v1, v5
	;; [unrolled: 1-line block ×4, first 2 shown]
	s_and_b32 exec_lo, exec_lo, vcc_lo
	s_cbranch_execz .LBB113_10
; %bb.38:
	s_load_b64 s[0:1], s[0:1], 0x50
	s_wait_dscnt 0x2
	v_pk_add_f32 v[4:5], v[4:5], v[10:11]
	s_wait_dscnt 0x0
	v_pk_add_f32 v[0:1], v[6:7], v[8:9]
	v_lshlrev_b32_e32 v2, 2, v2
	s_cmp_eq_f32 s14, 0
	s_cbranch_scc0 .LBB113_40
; %bb.39:
	s_delay_alu instid0(VALU_DEP_1)
	v_ashrrev_i32_e32 v3, 31, v2
	v_pk_mul_f32 v[6:7], s[12:13], v[4:5] op_sel_hi:[0,1]
	v_pk_mul_f32 v[8:9], s[12:13], v[0:1] op_sel_hi:[0,1]
	s_mov_b32 s2, 0
	s_wait_kmcnt 0x0
	v_lshl_add_u64 v[10:11], v[2:3], 2, s[0:1]
	global_store_b128 v[10:11], v[6:9], off
.LBB113_40:
	s_and_not1_b32 vcc_lo, exec_lo, s2
	s_cbranch_vccnz .LBB113_10
; %bb.41:
	v_ashrrev_i32_e32 v3, 31, v2
	s_wait_kmcnt 0x0
	s_delay_alu instid0(VALU_DEP_1)
	v_lshl_add_u64 v[10:11], v[2:3], 2, s[0:1]
	v_pk_mul_f32 v[2:3], s[12:13], v[4:5] op_sel_hi:[0,1]
	v_pk_mul_f32 v[4:5], s[12:13], v[0:1] op_sel_hi:[0,1]
	global_load_b128 v[6:9], v[10:11], off
	s_wait_loadcnt 0x0
	v_pk_fma_f32 v[0:1], s[14:15], v[6:7], v[2:3] op_sel_hi:[0,1,1]
	v_pk_fma_f32 v[2:3], s[14:15], v[8:9], v[4:5] op_sel_hi:[0,1,1]
	global_store_b128 v[10:11], v[0:3], off
	s_sendmsg sendmsg(MSG_DEALLOC_VGPRS)
	s_endpgm
	.section	.rodata,"a",@progbits
	.p2align	6, 0x0
	.amdhsa_kernel _ZN9rocsparseL18bsrxmvn_4x4_kernelILj128ELj32Efli18rocsparse_bfloat16S1_fEEvT3_20rocsparse_direction_NS_24const_host_device_scalarIT1_EES2_PKS2_PKT2_SB_S8_PKT4_PKT5_S6_PT6_21rocsparse_index_base_b
		.amdhsa_group_segment_fixed_size 0
		.amdhsa_private_segment_fixed_size 0
		.amdhsa_kernarg_size 96
		.amdhsa_user_sgpr_count 2
		.amdhsa_user_sgpr_dispatch_ptr 0
		.amdhsa_user_sgpr_queue_ptr 0
		.amdhsa_user_sgpr_kernarg_segment_ptr 1
		.amdhsa_user_sgpr_dispatch_id 0
		.amdhsa_user_sgpr_kernarg_preload_length 0
		.amdhsa_user_sgpr_kernarg_preload_offset 0
		.amdhsa_user_sgpr_private_segment_size 0
		.amdhsa_wavefront_size32 1
		.amdhsa_uses_dynamic_stack 0
		.amdhsa_enable_private_segment 0
		.amdhsa_system_sgpr_workgroup_id_x 1
		.amdhsa_system_sgpr_workgroup_id_y 0
		.amdhsa_system_sgpr_workgroup_id_z 0
		.amdhsa_system_sgpr_workgroup_info 0
		.amdhsa_system_vgpr_workitem_id 0
		.amdhsa_next_free_vgpr 84
		.amdhsa_next_free_sgpr 18
		.amdhsa_named_barrier_count 0
		.amdhsa_reserve_vcc 1
		.amdhsa_float_round_mode_32 0
		.amdhsa_float_round_mode_16_64 0
		.amdhsa_float_denorm_mode_32 3
		.amdhsa_float_denorm_mode_16_64 3
		.amdhsa_fp16_overflow 0
		.amdhsa_memory_ordered 1
		.amdhsa_forward_progress 1
		.amdhsa_inst_pref_size 38
		.amdhsa_round_robin_scheduling 0
		.amdhsa_exception_fp_ieee_invalid_op 0
		.amdhsa_exception_fp_denorm_src 0
		.amdhsa_exception_fp_ieee_div_zero 0
		.amdhsa_exception_fp_ieee_overflow 0
		.amdhsa_exception_fp_ieee_underflow 0
		.amdhsa_exception_fp_ieee_inexact 0
		.amdhsa_exception_int_div_zero 0
	.end_amdhsa_kernel
	.section	.text._ZN9rocsparseL18bsrxmvn_4x4_kernelILj128ELj32Efli18rocsparse_bfloat16S1_fEEvT3_20rocsparse_direction_NS_24const_host_device_scalarIT1_EES2_PKS2_PKT2_SB_S8_PKT4_PKT5_S6_PT6_21rocsparse_index_base_b,"axG",@progbits,_ZN9rocsparseL18bsrxmvn_4x4_kernelILj128ELj32Efli18rocsparse_bfloat16S1_fEEvT3_20rocsparse_direction_NS_24const_host_device_scalarIT1_EES2_PKS2_PKT2_SB_S8_PKT4_PKT5_S6_PT6_21rocsparse_index_base_b,comdat
.Lfunc_end113:
	.size	_ZN9rocsparseL18bsrxmvn_4x4_kernelILj128ELj32Efli18rocsparse_bfloat16S1_fEEvT3_20rocsparse_direction_NS_24const_host_device_scalarIT1_EES2_PKS2_PKT2_SB_S8_PKT4_PKT5_S6_PT6_21rocsparse_index_base_b, .Lfunc_end113-_ZN9rocsparseL18bsrxmvn_4x4_kernelILj128ELj32Efli18rocsparse_bfloat16S1_fEEvT3_20rocsparse_direction_NS_24const_host_device_scalarIT1_EES2_PKS2_PKT2_SB_S8_PKT4_PKT5_S6_PT6_21rocsparse_index_base_b
                                        ; -- End function
	.set _ZN9rocsparseL18bsrxmvn_4x4_kernelILj128ELj32Efli18rocsparse_bfloat16S1_fEEvT3_20rocsparse_direction_NS_24const_host_device_scalarIT1_EES2_PKS2_PKT2_SB_S8_PKT4_PKT5_S6_PT6_21rocsparse_index_base_b.num_vgpr, 84
	.set _ZN9rocsparseL18bsrxmvn_4x4_kernelILj128ELj32Efli18rocsparse_bfloat16S1_fEEvT3_20rocsparse_direction_NS_24const_host_device_scalarIT1_EES2_PKS2_PKT2_SB_S8_PKT4_PKT5_S6_PT6_21rocsparse_index_base_b.num_agpr, 0
	.set _ZN9rocsparseL18bsrxmvn_4x4_kernelILj128ELj32Efli18rocsparse_bfloat16S1_fEEvT3_20rocsparse_direction_NS_24const_host_device_scalarIT1_EES2_PKS2_PKT2_SB_S8_PKT4_PKT5_S6_PT6_21rocsparse_index_base_b.numbered_sgpr, 18
	.set _ZN9rocsparseL18bsrxmvn_4x4_kernelILj128ELj32Efli18rocsparse_bfloat16S1_fEEvT3_20rocsparse_direction_NS_24const_host_device_scalarIT1_EES2_PKS2_PKT2_SB_S8_PKT4_PKT5_S6_PT6_21rocsparse_index_base_b.num_named_barrier, 0
	.set _ZN9rocsparseL18bsrxmvn_4x4_kernelILj128ELj32Efli18rocsparse_bfloat16S1_fEEvT3_20rocsparse_direction_NS_24const_host_device_scalarIT1_EES2_PKS2_PKT2_SB_S8_PKT4_PKT5_S6_PT6_21rocsparse_index_base_b.private_seg_size, 0
	.set _ZN9rocsparseL18bsrxmvn_4x4_kernelILj128ELj32Efli18rocsparse_bfloat16S1_fEEvT3_20rocsparse_direction_NS_24const_host_device_scalarIT1_EES2_PKS2_PKT2_SB_S8_PKT4_PKT5_S6_PT6_21rocsparse_index_base_b.uses_vcc, 1
	.set _ZN9rocsparseL18bsrxmvn_4x4_kernelILj128ELj32Efli18rocsparse_bfloat16S1_fEEvT3_20rocsparse_direction_NS_24const_host_device_scalarIT1_EES2_PKS2_PKT2_SB_S8_PKT4_PKT5_S6_PT6_21rocsparse_index_base_b.uses_flat_scratch, 0
	.set _ZN9rocsparseL18bsrxmvn_4x4_kernelILj128ELj32Efli18rocsparse_bfloat16S1_fEEvT3_20rocsparse_direction_NS_24const_host_device_scalarIT1_EES2_PKS2_PKT2_SB_S8_PKT4_PKT5_S6_PT6_21rocsparse_index_base_b.has_dyn_sized_stack, 0
	.set _ZN9rocsparseL18bsrxmvn_4x4_kernelILj128ELj32Efli18rocsparse_bfloat16S1_fEEvT3_20rocsparse_direction_NS_24const_host_device_scalarIT1_EES2_PKS2_PKT2_SB_S8_PKT4_PKT5_S6_PT6_21rocsparse_index_base_b.has_recursion, 0
	.set _ZN9rocsparseL18bsrxmvn_4x4_kernelILj128ELj32Efli18rocsparse_bfloat16S1_fEEvT3_20rocsparse_direction_NS_24const_host_device_scalarIT1_EES2_PKS2_PKT2_SB_S8_PKT4_PKT5_S6_PT6_21rocsparse_index_base_b.has_indirect_call, 0
	.section	.AMDGPU.csdata,"",@progbits
; Kernel info:
; codeLenInByte = 4820
; TotalNumSgprs: 20
; NumVgprs: 84
; ScratchSize: 0
; MemoryBound: 0
; FloatMode: 240
; IeeeMode: 1
; LDSByteSize: 0 bytes/workgroup (compile time only)
; SGPRBlocks: 0
; VGPRBlocks: 5
; NumSGPRsForWavesPerEU: 20
; NumVGPRsForWavesPerEU: 84
; NamedBarCnt: 0
; Occupancy: 10
; WaveLimiterHint : 1
; COMPUTE_PGM_RSRC2:SCRATCH_EN: 0
; COMPUTE_PGM_RSRC2:USER_SGPR: 2
; COMPUTE_PGM_RSRC2:TRAP_HANDLER: 0
; COMPUTE_PGM_RSRC2:TGID_X_EN: 1
; COMPUTE_PGM_RSRC2:TGID_Y_EN: 0
; COMPUTE_PGM_RSRC2:TGID_Z_EN: 0
; COMPUTE_PGM_RSRC2:TIDIG_COMP_CNT: 0
	.section	.text._ZN9rocsparseL18bsrxmvn_4x4_kernelILj128ELj64Efli18rocsparse_bfloat16S1_fEEvT3_20rocsparse_direction_NS_24const_host_device_scalarIT1_EES2_PKS2_PKT2_SB_S8_PKT4_PKT5_S6_PT6_21rocsparse_index_base_b,"axG",@progbits,_ZN9rocsparseL18bsrxmvn_4x4_kernelILj128ELj64Efli18rocsparse_bfloat16S1_fEEvT3_20rocsparse_direction_NS_24const_host_device_scalarIT1_EES2_PKS2_PKT2_SB_S8_PKT4_PKT5_S6_PT6_21rocsparse_index_base_b,comdat
	.globl	_ZN9rocsparseL18bsrxmvn_4x4_kernelILj128ELj64Efli18rocsparse_bfloat16S1_fEEvT3_20rocsparse_direction_NS_24const_host_device_scalarIT1_EES2_PKS2_PKT2_SB_S8_PKT4_PKT5_S6_PT6_21rocsparse_index_base_b ; -- Begin function _ZN9rocsparseL18bsrxmvn_4x4_kernelILj128ELj64Efli18rocsparse_bfloat16S1_fEEvT3_20rocsparse_direction_NS_24const_host_device_scalarIT1_EES2_PKS2_PKT2_SB_S8_PKT4_PKT5_S6_PT6_21rocsparse_index_base_b
	.p2align	8
	.type	_ZN9rocsparseL18bsrxmvn_4x4_kernelILj128ELj64Efli18rocsparse_bfloat16S1_fEEvT3_20rocsparse_direction_NS_24const_host_device_scalarIT1_EES2_PKS2_PKT2_SB_S8_PKT4_PKT5_S6_PT6_21rocsparse_index_base_b,@function
_ZN9rocsparseL18bsrxmvn_4x4_kernelILj128ELj64Efli18rocsparse_bfloat16S1_fEEvT3_20rocsparse_direction_NS_24const_host_device_scalarIT1_EES2_PKS2_PKT2_SB_S8_PKT4_PKT5_S6_PT6_21rocsparse_index_base_b: ; @_ZN9rocsparseL18bsrxmvn_4x4_kernelILj128ELj64Efli18rocsparse_bfloat16S1_fEEvT3_20rocsparse_direction_NS_24const_host_device_scalarIT1_EES2_PKS2_PKT2_SB_S8_PKT4_PKT5_S6_PT6_21rocsparse_index_base_b
; %bb.0:
	s_clause 0x2
	s_load_b64 s[16:17], s[0:1], 0x58
	s_load_b64 s[12:13], s[0:1], 0x8
	;; [unrolled: 1-line block ×3, first 2 shown]
	s_wait_kmcnt 0x0
	s_bitcmp1_b32 s17, 0
	s_cselect_b32 s2, -1, 0
	s_delay_alu instid0(SALU_CYCLE_1)
	s_and_b32 vcc_lo, exec_lo, s2
	s_xor_b32 s2, s2, -1
	s_cbranch_vccnz .LBB114_2
; %bb.1:
	s_load_b32 s12, s[12:13], 0x0
.LBB114_2:
	s_and_not1_b32 vcc_lo, exec_lo, s2
	s_cbranch_vccnz .LBB114_4
; %bb.3:
	s_load_b32 s14, s[14:15], 0x0
.LBB114_4:
	s_wait_kmcnt 0x0
	s_cmp_neq_f32 s12, 0
	s_mov_b32 s6, 0
	s_cselect_b32 s2, -1, 0
	s_cmp_neq_f32 s14, 1.0
	s_cselect_b32 s3, -1, 0
	s_delay_alu instid0(SALU_CYCLE_1) | instskip(NEXT) | instid1(SALU_CYCLE_1)
	s_or_b32 s2, s2, s3
	s_and_not1_b32 vcc_lo, exec_lo, s2
	s_cbranch_vccnz .LBB114_10
; %bb.5:
	s_clause 0x1
	s_load_b64 s[4:5], s[0:1], 0x18
	s_load_b64 s[2:3], s[0:1], 0x0
	s_bfe_u32 s7, ttmp6, 0x4000c
	s_and_b32 s8, ttmp6, 15
	s_add_co_i32 s7, s7, 1
	s_getreg_b32 s9, hwreg(HW_REG_IB_STS2, 6, 4)
	s_mul_i32 s7, ttmp9, s7
	v_lshrrev_b32_e32 v1, 6, v0
	s_add_co_i32 s8, s8, s7
	s_cmp_eq_u32 s9, 0
	s_cselect_b32 s7, ttmp9, s8
	s_delay_alu instid0(VALU_DEP_1) | instid1(SALU_CYCLE_1)
	v_lshl_or_b32 v2, s7, 1, v1
	s_wait_kmcnt 0x0
	s_cmp_lg_u64 s[4:5], 0
	s_cbranch_scc0 .LBB114_11
; %bb.6:
	s_load_b32 s6, s[0:1], 0x10
	s_mov_b32 s7, 0
                                        ; implicit-def: $vgpr1
	s_wait_kmcnt 0x0
	v_cmp_gt_i32_e32 vcc_lo, s6, v2
	s_mov_b32 s6, 0
	s_and_saveexec_b32 s8, vcc_lo
	s_delay_alu instid0(SALU_CYCLE_1)
	s_xor_b32 s8, exec_lo, s8
	s_cbranch_execz .LBB114_8
; %bb.7:
	global_load_b32 v1, v2, s[4:5] scale_offset
	s_mov_b32 s6, exec_lo
	s_wait_loadcnt 0x0
	v_subrev_nc_u32_e32 v1, s16, v1
.LBB114_8:
	s_or_b32 exec_lo, exec_lo, s8
	s_delay_alu instid0(SALU_CYCLE_1)
	s_and_b32 vcc_lo, exec_lo, s7
	s_cbranch_vccz .LBB114_12
.LBB114_9:
	v_cmp_gt_i32_e32 vcc_lo, s2, v2
	s_and_not1_b32 s2, s6, exec_lo
	s_and_b32 s4, vcc_lo, exec_lo
	s_delay_alu instid0(SALU_CYCLE_1) | instskip(NEXT) | instid1(SALU_CYCLE_1)
	s_or_b32 s6, s2, s4
	s_and_saveexec_b32 s2, s6
	s_cbranch_execnz .LBB114_13
.LBB114_10:
	s_sendmsg sendmsg(MSG_DEALLOC_VGPRS)
	s_endpgm
.LBB114_11:
                                        ; implicit-def: $vgpr1
	s_cbranch_execnz .LBB114_9
.LBB114_12:
	s_delay_alu instid0(VALU_DEP_1)
	v_mov_b32_e32 v2, v1
	s_and_saveexec_b32 s2, s6
	s_cbranch_execz .LBB114_10
.LBB114_13:
	s_load_b256 s[4:11], s[0:1], 0x20
	s_mov_b32 s17, 0
	v_dual_mov_b32 v1, 0 :: v_dual_bitop2_b32 v0, 63, v0 bitop3:0x40
	s_wait_kmcnt 0x0
	s_cmp_eq_u64 s[6:7], 0
	global_load_b64 v[12:13], v2, s[4:5] scale_offset
	s_cselect_b32 vcc_lo, -1, 0
	v_ashrrev_i32_e32 v3, 31, v2
	s_cmp_eq_u32 s3, 1
	s_delay_alu instid0(VALU_DEP_1) | instskip(NEXT) | instid1(VALU_DEP_1)
	v_lshlrev_b64_e32 v[4:5], 3, v[2:3]
	v_add_nc_u64_e32 v[6:7], s[4:5], v[4:5]
	v_add_nc_u64_e32 v[4:5], s[6:7], v[4:5]
	s_wait_xcnt 0x0
	s_load_b64 s[4:5], s[0:1], 0x40
	s_delay_alu instid0(VALU_DEP_2) | instskip(NEXT) | instid1(VALU_DEP_1)
	v_add_nc_u64_e32 v[6:7], 8, v[6:7]
	v_dual_cndmask_b32 v5, v5, v7 :: v_dual_cndmask_b32 v4, v4, v6
	global_load_b64 v[6:7], v[4:5], off
	s_wait_loadcnt 0x1
	s_wait_xcnt 0x0
	v_sub_nc_u64_e64 v[4:5], v[12:13], s[16:17]
	s_delay_alu instid0(VALU_DEP_1) | instskip(NEXT) | instid1(VALU_DEP_1)
	v_add_nc_u64_e32 v[4:5], v[4:5], v[0:1]
	v_lshlrev_b64_e32 v[8:9], 5, v[4:5]
	s_delay_alu instid0(VALU_DEP_1) | instskip(SKIP_2) | instid1(VALU_DEP_1)
	v_add_nc_u64_e32 v[8:9], s[10:11], v[8:9]
	s_wait_loadcnt 0x0
	v_sub_nc_u64_e64 v[6:7], v[6:7], s[16:17]
	v_cmp_lt_i64_e64 s2, v[4:5], v[6:7]
	s_cbranch_scc1 .LBB114_25
; %bb.14:
	v_dual_mov_b32 v19, v1 :: v_dual_mov_b32 v18, v1
	v_dual_mov_b32 v11, v1 :: v_dual_mov_b32 v10, v1
	s_and_saveexec_b32 s3, s2
	s_cbranch_execz .LBB114_24
; %bb.15:
	v_dual_mov_b32 v11, v1 :: v_dual_bitop2_b32 v10, 64, v0 bitop3:0x54
	v_sub_nc_u64_e32 v[14:15], s[16:17], v[0:1]
	v_not_b32_e32 v17, v13
	v_not_b32_e32 v16, v12
	v_mov_b32_e32 v18, 0
	v_sub_nc_u64_e64 v[10:11], v[10:11], s[16:17]
	v_mov_b64_e32 v[20:21], 0
	s_delay_alu instid0(VALU_DEP_4) | instskip(SKIP_1) | instid1(VALU_DEP_4)
	v_add_nc_u64_e32 v[14:15], v[14:15], v[16:17]
	v_mov_b64_e32 v[16:17], v[8:9]
	v_add_nc_u64_e32 v[10:11], v[10:11], v[12:13]
	s_delay_alu instid0(VALU_DEP_1) | instskip(NEXT) | instid1(VALU_DEP_1)
	v_max_i64 v[10:11], v[10:11], v[6:7]
	v_add_nc_u64_e32 v[22:23], v[14:15], v[10:11]
	v_mov_b32_e32 v15, v18
	v_mov_b64_e32 v[10:11], 0
	s_delay_alu instid0(VALU_DEP_3) | instskip(NEXT) | instid1(VALU_DEP_1)
	v_and_b32_e32 v14, 0xc0, v22
	v_cmp_ne_u64_e32 vcc_lo, 0xc0, v[14:15]
	v_mov_b64_e32 v[14:15], v[4:5]
	s_and_saveexec_b32 s6, vcc_lo
	s_cbranch_execz .LBB114_19
; %bb.16:
	v_dual_lshrrev_b32 v3, 6, v22 :: v_dual_mov_b32 v11, v18
	v_mov_b64_e32 v[16:17], v[8:9]
	v_mov_b64_e32 v[14:15], v[4:5]
	v_lshl_add_u64 v[20:21], v[4:5], 2, s[8:9]
	s_delay_alu instid0(VALU_DEP_4) | instskip(SKIP_1) | instid1(VALU_DEP_1)
	v_dual_add_nc_u32 v3, 1, v3 :: v_dual_mov_b32 v19, v18
	s_mov_b32 s7, 0
	v_and_b32_e32 v10, 3, v3
	s_delay_alu instid0(VALU_DEP_1)
	v_sub_nc_u64_e32 v[24:25], 0, v[10:11]
	v_mov_b32_e32 v10, v18
.LBB114_17:                             ; =>This Inner Loop Header: Depth=1
	global_load_b32 v3, v[20:21], off
	v_add_nc_u64_e32 v[24:25], 1, v[24:25]
	v_add_nc_u64_e32 v[14:15], 64, v[14:15]
	s_wait_xcnt 0x0
	v_add_nc_u64_e32 v[20:21], 0x100, v[20:21]
	s_delay_alu instid0(VALU_DEP_3) | instskip(SKIP_3) | instid1(VALU_DEP_1)
	v_cmp_eq_u64_e32 vcc_lo, 0, v[24:25]
	s_or_b32 s7, vcc_lo, s7
	s_wait_loadcnt 0x0
	v_subrev_nc_u32_e32 v3, s16, v3
	v_lshlrev_b32_e32 v26, 2, v3
	s_delay_alu instid0(VALU_DEP_1) | instskip(SKIP_1) | instid1(VALU_DEP_1)
	v_ashrrev_i32_e32 v27, 31, v26
	s_wait_kmcnt 0x0
	v_lshl_add_u64 v[34:35], v[26:27], 1, s[4:5]
	s_clause 0x1
	global_load_b128 v[26:29], v[16:17], off
	global_load_b128 v[30:33], v[16:17], off offset:16
	global_load_b64 v[36:37], v[34:35], off
	s_wait_xcnt 0x1
	v_add_nc_u64_e32 v[16:17], 0x800, v[16:17]
	s_wait_loadcnt 0x2
	s_wait_xcnt 0x0
	v_dual_lshlrev_b32 v35, 16, v28 :: v_dual_lshlrev_b32 v34, 16, v26
	v_and_b32_e32 v39, 0xffff0000, v28
	v_and_b32_e32 v38, 0xffff0000, v26
	v_dual_lshlrev_b32 v41, 16, v29 :: v_dual_lshlrev_b32 v40, 16, v27
	v_and_b32_e32 v28, 0xffff0000, v27
	s_wait_loadcnt 0x1
	v_dual_lshlrev_b32 v27, 16, v32 :: v_dual_lshlrev_b32 v26, 16, v30
	s_wait_loadcnt 0x0
	v_lshlrev_b32_e32 v42, 16, v36
	v_and_b32_e32 v45, 0xffff0000, v32
	v_and_b32_e32 v44, 0xffff0000, v30
	;; [unrolled: 1-line block ×3, first 2 shown]
	v_lshlrev_b32_e32 v32, 16, v37
	v_pk_fma_f32 v[18:19], v[26:27], v[42:43], v[18:19] op_sel_hi:[1,0,1]
	v_lshlrev_b32_e32 v27, 16, v33
	v_pk_fma_f32 v[10:11], v[34:35], v[42:43], v[10:11] op_sel_hi:[1,0,1]
	v_lshlrev_b32_e32 v26, 16, v31
	v_and_b32_e32 v29, 0xffff0000, v29
	v_pk_fma_f32 v[18:19], v[44:45], v[30:31], v[18:19] op_sel_hi:[1,0,1]
	v_and_b32_e32 v35, 0xffff0000, v33
	v_pk_fma_f32 v[10:11], v[38:39], v[30:31], v[10:11] op_sel_hi:[1,0,1]
	v_and_b32_e32 v34, 0xffff0000, v31
	v_and_b32_e32 v30, 0xffff0000, v37
	v_pk_fma_f32 v[18:19], v[26:27], v[32:33], v[18:19] op_sel_hi:[1,0,1]
	s_delay_alu instid0(VALU_DEP_4) | instskip(NEXT) | instid1(VALU_DEP_2)
	v_pk_fma_f32 v[10:11], v[40:41], v[32:33], v[10:11] op_sel_hi:[1,0,1]
	v_pk_fma_f32 v[18:19], v[34:35], v[30:31], v[18:19] op_sel_hi:[1,0,1]
	s_delay_alu instid0(VALU_DEP_2)
	v_pk_fma_f32 v[10:11], v[28:29], v[30:31], v[10:11] op_sel_hi:[1,0,1]
	s_and_not1_b32 exec_lo, exec_lo, s7
	s_cbranch_execnz .LBB114_17
; %bb.18:
	s_or_b32 exec_lo, exec_lo, s7
	v_mov_b64_e32 v[20:21], v[18:19]
.LBB114_19:
	s_or_b32 exec_lo, exec_lo, s6
	s_delay_alu instid0(SALU_CYCLE_1)
	s_mov_b32 s6, exec_lo
	v_cmpx_lt_u64_e32 0xbf, v[22:23]
	s_cbranch_execz .LBB114_23
; %bb.20:
	v_lshl_add_u64 v[18:19], v[14:15], 2, s[8:9]
	s_mov_b32 s7, 0
	s_delay_alu instid0(VALU_DEP_1)
	v_add_nc_u64_e32 v[18:19], 0x200, v[18:19]
.LBB114_21:                             ; =>This Inner Loop Header: Depth=1
	s_clause 0x3
	global_load_b32 v3, v[18:19], off offset:-512
	global_load_b32 v46, v[18:19], off offset:-256
	global_load_b32 v47, v[18:19], off
	global_load_b32 v48, v[18:19], off offset:256
	s_clause 0x5
	global_load_b128 v[22:25], v[16:17], off
	global_load_b128 v[26:29], v[16:17], off offset:16
	global_load_b128 v[30:33], v[16:17], off offset:2048
	;; [unrolled: 1-line block ×5, first 2 shown]
	v_add_nc_u64_e32 v[14:15], 0x100, v[14:15]
	s_wait_xcnt 0x6
	v_add_nc_u64_e32 v[18:19], 0x400, v[18:19]
	s_delay_alu instid0(VALU_DEP_2)
	v_cmp_ge_i64_e32 vcc_lo, v[14:15], v[6:7]
	s_or_b32 s7, vcc_lo, s7
	s_wait_loadcnt 0x9
	v_subrev_nc_u32_e32 v3, s16, v3
	s_wait_loadcnt 0x8
	v_subrev_nc_u32_e32 v49, s16, v46
	;; [unrolled: 2-line block ×4, first 2 shown]
	s_wait_loadcnt 0x5
	v_and_b32_e32 v65, 0xffff0000, v24
	v_dual_lshlrev_b32 v46, 2, v3 :: v_dual_lshlrev_b32 v48, 2, v49
	v_lshlrev_b32_e32 v50, 2, v47
	v_lshlrev_b32_e32 v52, 2, v51
	v_and_b32_e32 v64, 0xffff0000, v22
	s_delay_alu instid0(VALU_DEP_4) | instskip(NEXT) | instid1(VALU_DEP_3)
	v_dual_ashrrev_i32 v47, 31, v46 :: v_dual_ashrrev_i32 v49, 31, v48
	v_dual_ashrrev_i32 v51, 31, v50 :: v_dual_ashrrev_i32 v53, 31, v52
	v_dual_lshlrev_b32 v67, 16, v25 :: v_dual_lshlrev_b32 v66, 16, v23
	s_wait_kmcnt 0x0
	s_delay_alu instid0(VALU_DEP_3)
	v_lshl_add_u64 v[54:55], v[46:47], 1, s[4:5]
	v_lshl_add_u64 v[56:57], v[48:49], 1, s[4:5]
	;; [unrolled: 1-line block ×3, first 2 shown]
	s_wait_loadcnt 0x4
	v_and_b32_e32 v69, 0xffff0000, v28
	s_clause 0x2
	global_load_b64 v[58:59], v[54:55], off
	global_load_b64 v[60:61], v[56:57], off
	;; [unrolled: 1-line block ×3, first 2 shown]
	global_load_b128 v[46:49], v[16:17], off offset:6144
	s_wait_xcnt 0x3
	v_lshl_add_u64 v[54:55], v[52:53], 1, s[4:5]
	v_and_b32_e32 v68, 0xffff0000, v26
	global_load_b128 v[50:53], v[16:17], off offset:6160
	global_load_b64 v[56:57], v[54:55], off
	s_wait_xcnt 0x0
	v_dual_lshlrev_b32 v55, 16, v24 :: v_dual_lshlrev_b32 v54, 16, v22
	v_and_b32_e32 v24, 0xffff0000, v23
	v_dual_lshlrev_b32 v23, 16, v28 :: v_dual_lshlrev_b32 v22, 16, v26
	v_dual_lshlrev_b32 v71, 16, v29 :: v_dual_lshlrev_b32 v70, 16, v27
	v_and_b32_e32 v28, 0xffff0000, v27
	s_wait_loadcnt 0x9
	v_dual_lshlrev_b32 v26, 16, v30 :: v_dual_lshlrev_b32 v27, 16, v32
	v_and_b32_e32 v73, 0xffff0000, v32
	v_and_b32_e32 v72, 0xffff0000, v30
	v_dual_lshlrev_b32 v75, 16, v33 :: v_dual_lshlrev_b32 v74, 16, v31
	v_and_b32_e32 v32, 0xffff0000, v31
	s_wait_loadcnt 0x7
	v_dual_lshlrev_b32 v31, 16, v40 :: v_dual_lshlrev_b32 v30, 16, v38
	v_and_b32_e32 v77, 0xffff0000, v40
	v_and_b32_e32 v76, 0xffff0000, v38
	v_dual_lshlrev_b32 v79, 16, v41 :: v_dual_lshlrev_b32 v78, 16, v39
	v_and_b32_e32 v40, 0xffff0000, v39
	v_and_b32_e32 v25, 0xffff0000, v25
	;; [unrolled: 1-line block ×5, first 2 shown]
	v_add_nc_u64_e32 v[16:17], 0x2000, v[16:17]
	s_wait_loadcnt 0x2
	v_dual_lshlrev_b32 v80, 16, v58 :: v_dual_lshlrev_b32 v39, 16, v48
	v_lshlrev_b32_e32 v38, 16, v46
	v_and_b32_e32 v82, 0xffff0000, v46
	v_and_b32_e32 v46, 0xffff0000, v58
	s_delay_alu instid0(VALU_DEP_4)
	v_pk_fma_f32 v[20:21], v[22:23], v[80:81], v[20:21] op_sel_hi:[1,0,1]
	v_lshlrev_b32_e32 v23, 16, v49
	v_pk_fma_f32 v[10:11], v[54:55], v[80:81], v[10:11] op_sel_hi:[1,0,1]
	v_and_b32_e32 v83, 0xffff0000, v48
	v_lshlrev_b32_e32 v48, 16, v59
	v_pk_fma_f32 v[20:21], v[68:69], v[46:47], v[20:21] op_sel_hi:[1,0,1]
	v_and_b32_e32 v54, 0xffff0000, v59
	v_pk_fma_f32 v[10:11], v[64:65], v[46:47], v[10:11] op_sel_hi:[1,0,1]
	v_lshlrev_b32_e32 v22, 16, v47
	v_and_b32_e32 v46, 0xffff0000, v47
	v_pk_fma_f32 v[20:21], v[70:71], v[48:49], v[20:21] op_sel_hi:[1,0,1]
	v_and_b32_e32 v47, 0xffff0000, v49
	v_pk_fma_f32 v[10:11], v[66:67], v[48:49], v[10:11] op_sel_hi:[1,0,1]
	v_dual_lshlrev_b32 v48, 16, v34 :: v_dual_lshlrev_b32 v49, 16, v36
	v_lshlrev_b32_e32 v58, 16, v60
	v_pk_fma_f32 v[20:21], v[28:29], v[54:55], v[20:21] op_sel_hi:[1,0,1]
	s_delay_alu instid0(VALU_DEP_4)
	v_pk_fma_f32 v[10:11], v[24:25], v[54:55], v[10:11] op_sel_hi:[1,0,1]
	v_and_b32_e32 v25, 0xffff0000, v36
	v_and_b32_e32 v24, 0xffff0000, v34
	;; [unrolled: 1-line block ×3, first 2 shown]
	v_lshlrev_b32_e32 v34, 16, v61
	v_pk_fma_f32 v[10:11], v[26:27], v[58:59], v[10:11] op_sel_hi:[1,0,1]
	v_lshlrev_b32_e32 v27, 16, v37
	v_pk_fma_f32 v[20:21], v[48:49], v[58:59], v[20:21] op_sel_hi:[1,0,1]
	v_lshlrev_b32_e32 v26, 16, v35
	s_delay_alu instid0(VALU_DEP_4) | instskip(NEXT) | instid1(VALU_DEP_3)
	v_pk_fma_f32 v[10:11], v[72:73], v[28:29], v[10:11] op_sel_hi:[1,0,1]
	v_pk_fma_f32 v[20:21], v[24:25], v[28:29], v[20:21] op_sel_hi:[1,0,1]
	v_and_b32_e32 v25, 0xffff0000, v37
	v_and_b32_e32 v24, 0xffff0000, v35
	v_and_b32_e32 v28, 0xffff0000, v61
	v_pk_fma_f32 v[10:11], v[74:75], v[34:35], v[10:11] op_sel_hi:[1,0,1]
	v_pk_fma_f32 v[20:21], v[26:27], v[34:35], v[20:21] op_sel_hi:[1,0,1]
	v_dual_lshlrev_b32 v27, 16, v44 :: v_dual_lshlrev_b32 v26, 16, v42
	v_lshlrev_b32_e32 v34, 16, v62
	s_delay_alu instid0(VALU_DEP_4) | instskip(NEXT) | instid1(VALU_DEP_4)
	v_pk_fma_f32 v[10:11], v[32:33], v[28:29], v[10:11] op_sel_hi:[1,0,1]
	v_pk_fma_f32 v[20:21], v[24:25], v[28:29], v[20:21] op_sel_hi:[1,0,1]
	v_and_b32_e32 v25, 0xffff0000, v44
	v_and_b32_e32 v24, 0xffff0000, v42
	;; [unrolled: 1-line block ×3, first 2 shown]
	s_delay_alu instid0(VALU_DEP_4)
	v_pk_fma_f32 v[20:21], v[26:27], v[34:35], v[20:21] op_sel_hi:[1,0,1]
	v_lshlrev_b32_e32 v27, 16, v45
	v_pk_fma_f32 v[10:11], v[30:31], v[34:35], v[10:11] op_sel_hi:[1,0,1]
	v_lshlrev_b32_e32 v26, 16, v43
	v_lshlrev_b32_e32 v30, 16, v63
	v_pk_fma_f32 v[20:21], v[24:25], v[28:29], v[20:21] op_sel_hi:[1,0,1]
	v_and_b32_e32 v25, 0xffff0000, v45
	v_pk_fma_f32 v[10:11], v[76:77], v[28:29], v[10:11] op_sel_hi:[1,0,1]
	v_and_b32_e32 v24, 0xffff0000, v43
	v_and_b32_e32 v28, 0xffff0000, v63
	v_pk_fma_f32 v[20:21], v[26:27], v[30:31], v[20:21] op_sel_hi:[1,0,1]
	s_wait_loadcnt 0x1
	v_lshlrev_b32_e32 v26, 16, v50
	v_pk_fma_f32 v[10:11], v[78:79], v[30:31], v[10:11] op_sel_hi:[1,0,1]
	v_lshlrev_b32_e32 v27, 16, v52
	s_wait_loadcnt 0x0
	v_lshlrev_b32_e32 v30, 16, v56
	v_pk_fma_f32 v[20:21], v[24:25], v[28:29], v[20:21] op_sel_hi:[1,0,1]
	v_and_b32_e32 v25, 0xffff0000, v52
	v_pk_fma_f32 v[10:11], v[40:41], v[28:29], v[10:11] op_sel_hi:[1,0,1]
	v_and_b32_e32 v24, 0xffff0000, v50
	v_and_b32_e32 v28, 0xffff0000, v56
	v_pk_fma_f32 v[20:21], v[26:27], v[30:31], v[20:21] op_sel_hi:[1,0,1]
	v_lshlrev_b32_e32 v27, 16, v53
	v_pk_fma_f32 v[10:11], v[38:39], v[30:31], v[10:11] op_sel_hi:[1,0,1]
	v_dual_lshlrev_b32 v26, 16, v51 :: v_dual_lshlrev_b32 v30, 16, v57
	s_delay_alu instid0(VALU_DEP_4) | instskip(SKIP_1) | instid1(VALU_DEP_4)
	v_pk_fma_f32 v[20:21], v[24:25], v[28:29], v[20:21] op_sel_hi:[1,0,1]
	v_and_b32_e32 v24, 0xffff0000, v51
	v_pk_fma_f32 v[10:11], v[82:83], v[28:29], v[10:11] op_sel_hi:[1,0,1]
	v_and_b32_e32 v25, 0xffff0000, v53
	v_and_b32_e32 v28, 0xffff0000, v57
	v_pk_fma_f32 v[20:21], v[26:27], v[30:31], v[20:21] op_sel_hi:[1,0,1]
	s_delay_alu instid0(VALU_DEP_4) | instskip(NEXT) | instid1(VALU_DEP_2)
	v_pk_fma_f32 v[10:11], v[22:23], v[30:31], v[10:11] op_sel_hi:[1,0,1]
	v_pk_fma_f32 v[20:21], v[24:25], v[28:29], v[20:21] op_sel_hi:[1,0,1]
	s_delay_alu instid0(VALU_DEP_2)
	v_pk_fma_f32 v[10:11], v[46:47], v[28:29], v[10:11] op_sel_hi:[1,0,1]
	s_and_not1_b32 exec_lo, exec_lo, s7
	s_cbranch_execnz .LBB114_21
; %bb.22:
	s_or_b32 exec_lo, exec_lo, s7
	v_dual_mov_b32 v19, v21 :: v_dual_mov_b32 v18, v20
.LBB114_23:
	s_or_b32 exec_lo, exec_lo, s6
.LBB114_24:
	s_delay_alu instid0(SALU_CYCLE_1)
	s_or_b32 exec_lo, exec_lo, s3
	s_cbranch_execz .LBB114_26
	s_branch .LBB114_37
.LBB114_25:
                                        ; implicit-def: $vgpr19
                                        ; implicit-def: $vgpr11
.LBB114_26:
	v_dual_mov_b32 v19, 0 :: v_dual_mov_b32 v18, 0
	v_dual_mov_b32 v11, 0 :: v_dual_mov_b32 v10, 0
	s_and_saveexec_b32 s3, s2
	s_cbranch_execz .LBB114_36
; %bb.27:
	v_dual_mov_b32 v11, v1 :: v_dual_bitop2_b32 v10, 64, v0 bitop3:0x54
	v_sub_nc_u64_e32 v[14:15], s[16:17], v[0:1]
	v_mov_b32_e32 v18, 0
	s_delay_alu instid0(VALU_DEP_3) | instskip(NEXT) | instid1(VALU_DEP_1)
	v_sub_nc_u64_e64 v[10:11], v[10:11], s[16:17]
	v_add_nc_u64_e32 v[10:11], v[10:11], v[12:13]
	v_not_b32_e32 v13, v13
	v_not_b32_e32 v12, v12
	s_delay_alu instid0(VALU_DEP_1) | instskip(NEXT) | instid1(VALU_DEP_4)
	v_add_nc_u64_e32 v[12:13], v[14:15], v[12:13]
	v_max_i64 v[10:11], v[10:11], v[6:7]
	v_mov_b32_e32 v15, v18
	s_delay_alu instid0(VALU_DEP_2) | instskip(SKIP_1) | instid1(VALU_DEP_2)
	v_add_nc_u64_e32 v[12:13], v[12:13], v[10:11]
	v_mov_b64_e32 v[10:11], 0
	v_and_b32_e32 v14, 0xc0, v12
	s_delay_alu instid0(VALU_DEP_1)
	v_cmp_ne_u64_e32 vcc_lo, 0xc0, v[14:15]
	v_mov_b64_e32 v[14:15], 0
	s_and_saveexec_b32 s2, vcc_lo
	s_cbranch_execz .LBB114_31
; %bb.28:
	v_dual_lshrrev_b32 v1, 6, v12 :: v_dual_mov_b32 v11, v18
	v_lshl_add_u64 v[14:15], v[4:5], 2, s[8:9]
	s_mov_b32 s6, 0
	s_delay_alu instid0(VALU_DEP_2) | instskip(NEXT) | instid1(VALU_DEP_1)
	v_dual_mov_b32 v19, v18 :: v_dual_add_nc_u32 v1, 1, v1
	v_and_b32_e32 v10, 3, v1
	s_delay_alu instid0(VALU_DEP_1)
	v_sub_nc_u64_e32 v[16:17], 0, v[10:11]
	v_mov_b32_e32 v10, v18
.LBB114_29:                             ; =>This Inner Loop Header: Depth=1
	global_load_b32 v1, v[14:15], off
	global_load_b128 v[20:23], v[8:9], off
	v_add_nc_u64_e32 v[16:17], 1, v[16:17]
	v_add_nc_u64_e32 v[4:5], 64, v[4:5]
	s_wait_xcnt 0x1
	v_add_nc_u64_e32 v[14:15], 0x100, v[14:15]
	s_delay_alu instid0(VALU_DEP_3)
	v_cmp_eq_u64_e32 vcc_lo, 0, v[16:17]
	s_or_b32 s6, vcc_lo, s6
	s_wait_loadcnt 0x1
	v_subrev_nc_u32_e32 v1, s16, v1
	s_wait_loadcnt 0x0
	v_and_b32_e32 v33, 0xffff0000, v22
	v_and_b32_e32 v37, 0xffff0000, v21
	v_dual_lshlrev_b32 v32, 16, v22 :: v_dual_lshlrev_b32 v36, 16, v21
	v_lshlrev_b32_e32 v24, 2, v1
	v_and_b32_e32 v21, 0xffff0000, v23
	s_delay_alu instid0(VALU_DEP_2) | instskip(SKIP_1) | instid1(VALU_DEP_1)
	v_ashrrev_i32_e32 v25, 31, v24
	s_wait_kmcnt 0x0
	v_lshl_add_u64 v[28:29], v[24:25], 1, s[4:5]
	global_load_b64 v[30:31], v[28:29], off
	global_load_b128 v[24:27], v[8:9], off offset:16
	s_wait_xcnt 0x1
	v_and_b32_e32 v29, 0xffff0000, v20
	v_dual_lshlrev_b32 v28, 16, v20 :: v_dual_lshlrev_b32 v20, 16, v23
	s_wait_xcnt 0x0
	v_add_nc_u64_e32 v[8:9], 0x800, v[8:9]
	s_wait_loadcnt 0x0
	v_dual_lshlrev_b32 v22, 16, v30 :: v_dual_lshlrev_b32 v34, 16, v24
	v_and_b32_e32 v35, 0xffff0000, v24
	v_and_b32_e32 v24, 0xffff0000, v30
	;; [unrolled: 1-line block ×3, first 2 shown]
	s_delay_alu instid0(VALU_DEP_4)
	v_pk_fma_f32 v[10:11], v[28:29], v[22:23], v[10:11] op_sel_hi:[1,0,1]
	v_pk_fma_f32 v[18:19], v[36:37], v[22:23], v[18:19] op_sel_hi:[1,0,1]
	v_dual_lshlrev_b32 v38, 16, v25 :: v_dual_lshlrev_b32 v22, 16, v26
	v_and_b32_e32 v23, 0xffff0000, v26
	v_lshlrev_b32_e32 v26, 16, v31
	v_pk_fma_f32 v[10:11], v[32:33], v[24:25], v[10:11] op_sel_hi:[1,0,1]
	v_pk_fma_f32 v[18:19], v[20:21], v[24:25], v[18:19] op_sel_hi:[1,0,1]
	v_and_b32_e32 v21, 0xffff0000, v27
	v_lshlrev_b32_e32 v20, 16, v27
	v_and_b32_e32 v24, 0xffff0000, v31
	v_pk_fma_f32 v[10:11], v[34:35], v[26:27], v[10:11] op_sel_hi:[1,0,1]
	v_pk_fma_f32 v[18:19], v[38:39], v[26:27], v[18:19] op_sel_hi:[1,0,1]
	s_delay_alu instid0(VALU_DEP_2) | instskip(NEXT) | instid1(VALU_DEP_2)
	v_pk_fma_f32 v[10:11], v[22:23], v[24:25], v[10:11] op_sel_hi:[1,0,1]
	v_pk_fma_f32 v[18:19], v[20:21], v[24:25], v[18:19] op_sel_hi:[1,0,1]
	s_and_not1_b32 exec_lo, exec_lo, s6
	s_cbranch_execnz .LBB114_29
; %bb.30:
	s_or_b32 exec_lo, exec_lo, s6
	s_delay_alu instid0(VALU_DEP_1)
	v_mov_b64_e32 v[14:15], v[18:19]
.LBB114_31:
	s_or_b32 exec_lo, exec_lo, s2
	s_delay_alu instid0(SALU_CYCLE_1)
	s_mov_b32 s2, exec_lo
	v_cmpx_lt_u64_e32 0xbf, v[12:13]
	s_cbranch_execz .LBB114_35
; %bb.32:
	v_lshl_add_u64 v[12:13], v[4:5], 2, s[8:9]
	s_mov_b32 s6, 0
	s_delay_alu instid0(VALU_DEP_1)
	v_add_nc_u64_e32 v[12:13], 0x200, v[12:13]
.LBB114_33:                             ; =>This Inner Loop Header: Depth=1
	s_clause 0x3
	global_load_b32 v1, v[12:13], off offset:-512
	global_load_b32 v3, v[12:13], off offset:-256
	global_load_b32 v42, v[12:13], off
	global_load_b32 v52, v[12:13], off offset:256
	s_clause 0x5
	global_load_b128 v[16:19], v[8:9], off
	global_load_b128 v[20:23], v[8:9], off offset:16
	global_load_b128 v[24:27], v[8:9], off offset:2048
	;; [unrolled: 1-line block ×5, first 2 shown]
	v_add_nc_u64_e32 v[4:5], 0x100, v[4:5]
	s_wait_xcnt 0x6
	v_add_nc_u64_e32 v[12:13], 0x400, v[12:13]
	s_delay_alu instid0(VALU_DEP_2)
	v_cmp_ge_i64_e32 vcc_lo, v[4:5], v[6:7]
	s_or_b32 s6, vcc_lo, s6
	s_wait_loadcnt 0x9
	v_subrev_nc_u32_e32 v1, s16, v1
	s_wait_loadcnt 0x5
	v_and_b32_e32 v59, 0xffff0000, v18
	s_delay_alu instid0(VALU_DEP_2)
	v_lshlrev_b32_e32 v40, 2, v1
	v_subrev_nc_u32_e32 v1, s16, v3
	v_subrev_nc_u32_e32 v3, s16, v42
	s_wait_loadcnt 0x4
	v_and_b32_e32 v61, 0xffff0000, v20
	v_lshlrev_b32_e32 v60, 16, v20
	v_and_b32_e32 v63, 0xffff0000, v17
	v_dual_lshlrev_b32 v20, 16, v22 :: v_dual_lshlrev_b32 v64, 16, v23
	v_dual_lshlrev_b32 v44, 2, v3 :: v_dual_ashrrev_i32 v41, 31, v40
	v_dual_lshlrev_b32 v58, 16, v18 :: v_dual_lshlrev_b32 v18, 16, v21
	v_and_b32_e32 v65, 0xffff0000, v23
	s_delay_alu instid0(VALU_DEP_3)
	v_ashrrev_i32_e32 v45, 31, v44
	s_wait_kmcnt 0x0
	v_lshl_add_u64 v[40:41], v[40:41], 1, s[4:5]
	s_wait_loadcnt 0x3
	v_and_b32_e32 v23, 0xffff0000, v24
	v_and_b32_e32 v67, 0xffff0000, v25
	s_wait_loadcnt 0x2
	v_and_b32_e32 v69, 0xffff0000, v28
	v_lshl_add_u64 v[44:45], v[44:45], 1, s[4:5]
	global_load_b64 v[48:49], v[40:41], off
	s_wait_xcnt 0x0
	v_lshlrev_b32_e32 v40, 2, v1
	v_subrev_nc_u32_e32 v1, s16, v52
	v_and_b32_e32 v71, 0xffff0000, v30
	v_dual_lshlrev_b32 v70, 16, v30 :: v_dual_lshlrev_b32 v72, 16, v27
	s_delay_alu instid0(VALU_DEP_4)
	v_ashrrev_i32_e32 v41, 31, v40
	v_and_b32_e32 v73, 0xffff0000, v27
	v_and_b32_e32 v27, 0xffff0000, v29
	s_wait_loadcnt 0x2
	v_dual_lshlrev_b32 v30, 16, v32 :: v_dual_lshlrev_b32 v74, 16, v34
	v_lshl_add_u64 v[46:47], v[40:41], 1, s[4:5]
	global_load_b64 v[50:51], v[46:47], off
	global_load_b128 v[40:43], v[8:9], off offset:6144
	global_load_b64 v[52:53], v[44:45], off
	s_wait_xcnt 0x0
	v_lshlrev_b32_e32 v44, 2, v1
	v_lshlrev_b32_e32 v62, 16, v17
	v_and_b32_e32 v17, 0xffff0000, v19
	v_and_b32_e32 v75, 0xffff0000, v34
	s_delay_alu instid0(VALU_DEP_4) | instskip(SKIP_2) | instid1(VALU_DEP_3)
	v_dual_lshlrev_b32 v66, 16, v25 :: v_dual_ashrrev_i32 v45, 31, v44
	v_and_b32_e32 v25, 0xffff0000, v26
	v_dual_lshlrev_b32 v68, 16, v28 :: v_dual_lshlrev_b32 v28, 16, v31
	v_lshl_add_u64 v[54:55], v[44:45], 1, s[4:5]
	global_load_b64 v[56:57], v[54:55], off
	global_load_b128 v[44:47], v[8:9], off offset:6160
	s_wait_xcnt 0x1
	v_and_b32_e32 v55, 0xffff0000, v16
	v_dual_lshlrev_b32 v54, 16, v16 :: v_dual_lshlrev_b32 v16, 16, v19
	v_and_b32_e32 v19, 0xffff0000, v21
	v_and_b32_e32 v21, 0xffff0000, v22
	v_dual_lshlrev_b32 v22, 16, v24 :: v_dual_lshlrev_b32 v24, 16, v26
	v_lshlrev_b32_e32 v26, 16, v29
	v_and_b32_e32 v29, 0xffff0000, v31
	v_and_b32_e32 v31, 0xffff0000, v32
	s_wait_xcnt 0x0
	v_add_nc_u64_e32 v[8:9], 0x2000, v[8:9]
	s_wait_loadcnt 0x5
	v_lshlrev_b32_e32 v32, 16, v48
	v_and_b32_e32 v34, 0xffff0000, v48
	s_delay_alu instid0(VALU_DEP_2) | instskip(NEXT) | instid1(VALU_DEP_1)
	v_pk_fma_f32 v[14:15], v[62:63], v[32:33], v[14:15] op_sel_hi:[1,0,1]
	v_pk_fma_f32 v[14:15], v[16:17], v[34:35], v[14:15] op_sel_hi:[1,0,1]
	v_lshlrev_b32_e32 v16, 16, v38
	v_pk_fma_f32 v[10:11], v[54:55], v[32:33], v[10:11] op_sel_hi:[1,0,1]
	v_dual_lshlrev_b32 v54, 16, v36 :: v_dual_lshlrev_b32 v32, 16, v49
	v_and_b32_e32 v55, 0xffff0000, v36
	v_and_b32_e32 v17, 0xffff0000, v38
	s_delay_alu instid0(VALU_DEP_4)
	v_pk_fma_f32 v[10:11], v[58:59], v[34:35], v[10:11] op_sel_hi:[1,0,1]
	v_and_b32_e32 v34, 0xffff0000, v49
	v_pk_fma_f32 v[14:15], v[18:19], v[32:33], v[14:15] op_sel_hi:[1,0,1]
	s_wait_loadcnt 0x3
	v_lshlrev_b32_e32 v18, 16, v40
	v_and_b32_e32 v19, 0xffff0000, v40
	v_pk_fma_f32 v[10:11], v[60:61], v[32:33], v[10:11] op_sel_hi:[1,0,1]
	v_lshlrev_b32_e32 v32, 16, v50
	v_pk_fma_f32 v[14:15], v[64:65], v[34:35], v[14:15] op_sel_hi:[1,0,1]
	s_delay_alu instid0(VALU_DEP_3) | instskip(SKIP_1) | instid1(VALU_DEP_3)
	v_pk_fma_f32 v[10:11], v[20:21], v[34:35], v[10:11] op_sel_hi:[1,0,1]
	v_and_b32_e32 v34, 0xffff0000, v50
	v_pk_fma_f32 v[14:15], v[66:67], v[32:33], v[14:15] op_sel_hi:[1,0,1]
	v_lshlrev_b32_e32 v20, 16, v42
	v_and_b32_e32 v21, 0xffff0000, v42
	v_pk_fma_f32 v[10:11], v[22:23], v[32:33], v[10:11] op_sel_hi:[1,0,1]
	v_lshlrev_b32_e32 v32, 16, v51
	v_pk_fma_f32 v[14:15], v[72:73], v[34:35], v[14:15] op_sel_hi:[1,0,1]
	v_and_b32_e32 v23, 0xffff0000, v33
	v_lshlrev_b32_e32 v22, 16, v33
	v_pk_fma_f32 v[10:11], v[24:25], v[34:35], v[10:11] op_sel_hi:[1,0,1]
	v_and_b32_e32 v34, 0xffff0000, v51
	v_pk_fma_f32 v[14:15], v[26:27], v[32:33], v[14:15] op_sel_hi:[1,0,1]
	v_dual_lshlrev_b32 v26, 16, v37 :: v_dual_lshlrev_b32 v24, 16, v35
	s_delay_alu instid0(VALU_DEP_4)
	v_pk_fma_f32 v[10:11], v[68:69], v[32:33], v[10:11] op_sel_hi:[1,0,1]
	s_wait_loadcnt 0x2
	v_lshlrev_b32_e32 v32, 16, v52
	v_pk_fma_f32 v[14:15], v[28:29], v[34:35], v[14:15] op_sel_hi:[1,0,1]
	v_and_b32_e32 v25, 0xffff0000, v35
	v_and_b32_e32 v27, 0xffff0000, v37
	v_pk_fma_f32 v[10:11], v[70:71], v[34:35], v[10:11] op_sel_hi:[1,0,1]
	v_and_b32_e32 v34, 0xffff0000, v52
	v_pk_fma_f32 v[14:15], v[22:23], v[32:33], v[14:15] op_sel_hi:[1,0,1]
	v_and_b32_e32 v29, 0xffff0000, v39
	v_dual_lshlrev_b32 v28, 16, v39 :: v_dual_lshlrev_b32 v22, 16, v41
	v_pk_fma_f32 v[10:11], v[30:31], v[32:33], v[10:11] op_sel_hi:[1,0,1]
	v_lshlrev_b32_e32 v30, 16, v53
	v_pk_fma_f32 v[14:15], v[24:25], v[34:35], v[14:15] op_sel_hi:[1,0,1]
	v_lshlrev_b32_e32 v24, 16, v43
	v_and_b32_e32 v32, 0xffff0000, v53
	v_pk_fma_f32 v[10:11], v[74:75], v[34:35], v[10:11] op_sel_hi:[1,0,1]
	v_and_b32_e32 v23, 0xffff0000, v41
	v_pk_fma_f32 v[14:15], v[26:27], v[30:31], v[14:15] op_sel_hi:[1,0,1]
	v_and_b32_e32 v25, 0xffff0000, v43
	s_wait_loadcnt 0x0
	v_and_b32_e32 v27, 0xffff0000, v44
	v_pk_fma_f32 v[10:11], v[54:55], v[30:31], v[10:11] op_sel_hi:[1,0,1]
	v_lshlrev_b32_e32 v30, 16, v56
	v_pk_fma_f32 v[14:15], v[28:29], v[32:33], v[14:15] op_sel_hi:[1,0,1]
	v_and_b32_e32 v28, 0xffff0000, v56
	v_lshlrev_b32_e32 v26, 16, v44
	v_pk_fma_f32 v[10:11], v[16:17], v[32:33], v[10:11] op_sel_hi:[1,0,1]
	v_and_b32_e32 v17, 0xffff0000, v45
	v_lshlrev_b32_e32 v16, 16, v45
	s_delay_alu instid0(VALU_DEP_3)
	v_pk_fma_f32 v[10:11], v[18:19], v[30:31], v[10:11] op_sel_hi:[1,0,1]
	v_lshlrev_b32_e32 v18, 16, v46
	v_pk_fma_f32 v[14:15], v[22:23], v[30:31], v[14:15] op_sel_hi:[1,0,1]
	v_lshlrev_b32_e32 v22, 16, v57
	v_and_b32_e32 v19, 0xffff0000, v46
	v_pk_fma_f32 v[10:11], v[20:21], v[28:29], v[10:11] op_sel_hi:[1,0,1]
	v_and_b32_e32 v21, 0xffff0000, v47
	v_pk_fma_f32 v[14:15], v[24:25], v[28:29], v[14:15] op_sel_hi:[1,0,1]
	v_lshlrev_b32_e32 v20, 16, v47
	v_and_b32_e32 v24, 0xffff0000, v57
	v_pk_fma_f32 v[10:11], v[26:27], v[22:23], v[10:11] op_sel_hi:[1,0,1]
	s_delay_alu instid0(VALU_DEP_4) | instskip(NEXT) | instid1(VALU_DEP_2)
	v_pk_fma_f32 v[14:15], v[16:17], v[22:23], v[14:15] op_sel_hi:[1,0,1]
	v_pk_fma_f32 v[10:11], v[18:19], v[24:25], v[10:11] op_sel_hi:[1,0,1]
	s_delay_alu instid0(VALU_DEP_2)
	v_pk_fma_f32 v[14:15], v[20:21], v[24:25], v[14:15] op_sel_hi:[1,0,1]
	s_and_not1_b32 exec_lo, exec_lo, s6
	s_cbranch_execnz .LBB114_33
; %bb.34:
	s_or_b32 exec_lo, exec_lo, s6
	s_delay_alu instid0(VALU_DEP_1)
	v_dual_mov_b32 v19, v15 :: v_dual_mov_b32 v18, v14
.LBB114_35:
	s_or_b32 exec_lo, exec_lo, s2
.LBB114_36:
	s_delay_alu instid0(SALU_CYCLE_1)
	s_or_b32 exec_lo, exec_lo, s3
.LBB114_37:
	v_mbcnt_lo_u32_b32 v1, -1, 0
	s_mov_b32 s2, -1
	s_delay_alu instid0(VALU_DEP_1) | instskip(NEXT) | instid1(VALU_DEP_1)
	v_or_b32_e32 v3, 32, v1
	v_cmp_gt_i32_e32 vcc_lo, 32, v3
	v_cndmask_b32_e32 v3, v1, v3, vcc_lo
	s_delay_alu instid0(VALU_DEP_1)
	v_lshlrev_b32_e32 v3, 2, v3
	ds_bpermute_b32 v4, v3, v10
	ds_bpermute_b32 v5, v3, v11
	ds_bpermute_b32 v6, v3, v18
	ds_bpermute_b32 v7, v3, v19
	v_xor_b32_e32 v3, 16, v1
	s_delay_alu instid0(VALU_DEP_1) | instskip(SKIP_1) | instid1(VALU_DEP_1)
	v_cmp_gt_i32_e32 vcc_lo, 32, v3
	v_cndmask_b32_e32 v3, v1, v3, vcc_lo
	v_lshlrev_b32_e32 v3, 2, v3
	s_wait_dscnt 0x2
	v_pk_add_f32 v[4:5], v[10:11], v[4:5]
	s_wait_dscnt 0x0
	v_pk_add_f32 v[6:7], v[18:19], v[6:7]
	ds_bpermute_b32 v8, v3, v4
	ds_bpermute_b32 v9, v3, v5
	ds_bpermute_b32 v10, v3, v6
	ds_bpermute_b32 v11, v3, v7
	v_xor_b32_e32 v3, 8, v1
	s_delay_alu instid0(VALU_DEP_1) | instskip(SKIP_1) | instid1(VALU_DEP_1)
	v_cmp_gt_i32_e32 vcc_lo, 32, v3
	v_cndmask_b32_e32 v3, v1, v3, vcc_lo
	v_lshlrev_b32_e32 v3, 2, v3
	s_wait_dscnt 0x2
	v_pk_add_f32 v[4:5], v[4:5], v[8:9]
	s_wait_dscnt 0x0
	v_pk_add_f32 v[6:7], v[6:7], v[10:11]
	;; [unrolled: 13-line block ×4, first 2 shown]
	ds_bpermute_b32 v8, v3, v4
	ds_bpermute_b32 v9, v3, v5
	;; [unrolled: 1-line block ×4, first 2 shown]
	v_xor_b32_e32 v3, 1, v1
	s_delay_alu instid0(VALU_DEP_1) | instskip(SKIP_2) | instid1(VALU_DEP_2)
	v_cmp_gt_i32_e32 vcc_lo, 32, v3
	v_cndmask_b32_e32 v1, v1, v3, vcc_lo
	v_cmp_eq_u32_e32 vcc_lo, 63, v0
	v_lshlrev_b32_e32 v1, 2, v1
	s_wait_dscnt 0x2
	v_pk_add_f32 v[4:5], v[4:5], v[8:9]
	s_wait_dscnt 0x0
	v_pk_add_f32 v[6:7], v[6:7], v[10:11]
	ds_bpermute_b32 v10, v1, v4
	ds_bpermute_b32 v11, v1, v5
	;; [unrolled: 1-line block ×4, first 2 shown]
	s_and_b32 exec_lo, exec_lo, vcc_lo
	s_cbranch_execz .LBB114_10
; %bb.38:
	s_load_b64 s[0:1], s[0:1], 0x50
	s_wait_dscnt 0x2
	v_pk_add_f32 v[4:5], v[4:5], v[10:11]
	s_wait_dscnt 0x0
	v_pk_add_f32 v[0:1], v[6:7], v[8:9]
	v_lshlrev_b32_e32 v2, 2, v2
	s_cmp_eq_f32 s14, 0
	s_cbranch_scc0 .LBB114_40
; %bb.39:
	s_delay_alu instid0(VALU_DEP_1)
	v_ashrrev_i32_e32 v3, 31, v2
	v_pk_mul_f32 v[6:7], s[12:13], v[4:5] op_sel_hi:[0,1]
	v_pk_mul_f32 v[8:9], s[12:13], v[0:1] op_sel_hi:[0,1]
	s_mov_b32 s2, 0
	s_wait_kmcnt 0x0
	v_lshl_add_u64 v[10:11], v[2:3], 2, s[0:1]
	global_store_b128 v[10:11], v[6:9], off
.LBB114_40:
	s_and_not1_b32 vcc_lo, exec_lo, s2
	s_cbranch_vccnz .LBB114_10
; %bb.41:
	v_ashrrev_i32_e32 v3, 31, v2
	s_wait_kmcnt 0x0
	s_delay_alu instid0(VALU_DEP_1)
	v_lshl_add_u64 v[10:11], v[2:3], 2, s[0:1]
	v_pk_mul_f32 v[2:3], s[12:13], v[4:5] op_sel_hi:[0,1]
	v_pk_mul_f32 v[4:5], s[12:13], v[0:1] op_sel_hi:[0,1]
	global_load_b128 v[6:9], v[10:11], off
	s_wait_loadcnt 0x0
	v_pk_fma_f32 v[0:1], s[14:15], v[6:7], v[2:3] op_sel_hi:[0,1,1]
	v_pk_fma_f32 v[2:3], s[14:15], v[8:9], v[4:5] op_sel_hi:[0,1,1]
	global_store_b128 v[10:11], v[0:3], off
	s_sendmsg sendmsg(MSG_DEALLOC_VGPRS)
	s_endpgm
	.section	.rodata,"a",@progbits
	.p2align	6, 0x0
	.amdhsa_kernel _ZN9rocsparseL18bsrxmvn_4x4_kernelILj128ELj64Efli18rocsparse_bfloat16S1_fEEvT3_20rocsparse_direction_NS_24const_host_device_scalarIT1_EES2_PKS2_PKT2_SB_S8_PKT4_PKT5_S6_PT6_21rocsparse_index_base_b
		.amdhsa_group_segment_fixed_size 0
		.amdhsa_private_segment_fixed_size 0
		.amdhsa_kernarg_size 96
		.amdhsa_user_sgpr_count 2
		.amdhsa_user_sgpr_dispatch_ptr 0
		.amdhsa_user_sgpr_queue_ptr 0
		.amdhsa_user_sgpr_kernarg_segment_ptr 1
		.amdhsa_user_sgpr_dispatch_id 0
		.amdhsa_user_sgpr_kernarg_preload_length 0
		.amdhsa_user_sgpr_kernarg_preload_offset 0
		.amdhsa_user_sgpr_private_segment_size 0
		.amdhsa_wavefront_size32 1
		.amdhsa_uses_dynamic_stack 0
		.amdhsa_enable_private_segment 0
		.amdhsa_system_sgpr_workgroup_id_x 1
		.amdhsa_system_sgpr_workgroup_id_y 0
		.amdhsa_system_sgpr_workgroup_id_z 0
		.amdhsa_system_sgpr_workgroup_info 0
		.amdhsa_system_vgpr_workitem_id 0
		.amdhsa_next_free_vgpr 84
		.amdhsa_next_free_sgpr 18
		.amdhsa_named_barrier_count 0
		.amdhsa_reserve_vcc 1
		.amdhsa_float_round_mode_32 0
		.amdhsa_float_round_mode_16_64 0
		.amdhsa_float_denorm_mode_32 3
		.amdhsa_float_denorm_mode_16_64 3
		.amdhsa_fp16_overflow 0
		.amdhsa_memory_ordered 1
		.amdhsa_forward_progress 1
		.amdhsa_inst_pref_size 39
		.amdhsa_round_robin_scheduling 0
		.amdhsa_exception_fp_ieee_invalid_op 0
		.amdhsa_exception_fp_denorm_src 0
		.amdhsa_exception_fp_ieee_div_zero 0
		.amdhsa_exception_fp_ieee_overflow 0
		.amdhsa_exception_fp_ieee_underflow 0
		.amdhsa_exception_fp_ieee_inexact 0
		.amdhsa_exception_int_div_zero 0
	.end_amdhsa_kernel
	.section	.text._ZN9rocsparseL18bsrxmvn_4x4_kernelILj128ELj64Efli18rocsparse_bfloat16S1_fEEvT3_20rocsparse_direction_NS_24const_host_device_scalarIT1_EES2_PKS2_PKT2_SB_S8_PKT4_PKT5_S6_PT6_21rocsparse_index_base_b,"axG",@progbits,_ZN9rocsparseL18bsrxmvn_4x4_kernelILj128ELj64Efli18rocsparse_bfloat16S1_fEEvT3_20rocsparse_direction_NS_24const_host_device_scalarIT1_EES2_PKS2_PKT2_SB_S8_PKT4_PKT5_S6_PT6_21rocsparse_index_base_b,comdat
.Lfunc_end114:
	.size	_ZN9rocsparseL18bsrxmvn_4x4_kernelILj128ELj64Efli18rocsparse_bfloat16S1_fEEvT3_20rocsparse_direction_NS_24const_host_device_scalarIT1_EES2_PKS2_PKT2_SB_S8_PKT4_PKT5_S6_PT6_21rocsparse_index_base_b, .Lfunc_end114-_ZN9rocsparseL18bsrxmvn_4x4_kernelILj128ELj64Efli18rocsparse_bfloat16S1_fEEvT3_20rocsparse_direction_NS_24const_host_device_scalarIT1_EES2_PKS2_PKT2_SB_S8_PKT4_PKT5_S6_PT6_21rocsparse_index_base_b
                                        ; -- End function
	.set _ZN9rocsparseL18bsrxmvn_4x4_kernelILj128ELj64Efli18rocsparse_bfloat16S1_fEEvT3_20rocsparse_direction_NS_24const_host_device_scalarIT1_EES2_PKS2_PKT2_SB_S8_PKT4_PKT5_S6_PT6_21rocsparse_index_base_b.num_vgpr, 84
	.set _ZN9rocsparseL18bsrxmvn_4x4_kernelILj128ELj64Efli18rocsparse_bfloat16S1_fEEvT3_20rocsparse_direction_NS_24const_host_device_scalarIT1_EES2_PKS2_PKT2_SB_S8_PKT4_PKT5_S6_PT6_21rocsparse_index_base_b.num_agpr, 0
	.set _ZN9rocsparseL18bsrxmvn_4x4_kernelILj128ELj64Efli18rocsparse_bfloat16S1_fEEvT3_20rocsparse_direction_NS_24const_host_device_scalarIT1_EES2_PKS2_PKT2_SB_S8_PKT4_PKT5_S6_PT6_21rocsparse_index_base_b.numbered_sgpr, 18
	.set _ZN9rocsparseL18bsrxmvn_4x4_kernelILj128ELj64Efli18rocsparse_bfloat16S1_fEEvT3_20rocsparse_direction_NS_24const_host_device_scalarIT1_EES2_PKS2_PKT2_SB_S8_PKT4_PKT5_S6_PT6_21rocsparse_index_base_b.num_named_barrier, 0
	.set _ZN9rocsparseL18bsrxmvn_4x4_kernelILj128ELj64Efli18rocsparse_bfloat16S1_fEEvT3_20rocsparse_direction_NS_24const_host_device_scalarIT1_EES2_PKS2_PKT2_SB_S8_PKT4_PKT5_S6_PT6_21rocsparse_index_base_b.private_seg_size, 0
	.set _ZN9rocsparseL18bsrxmvn_4x4_kernelILj128ELj64Efli18rocsparse_bfloat16S1_fEEvT3_20rocsparse_direction_NS_24const_host_device_scalarIT1_EES2_PKS2_PKT2_SB_S8_PKT4_PKT5_S6_PT6_21rocsparse_index_base_b.uses_vcc, 1
	.set _ZN9rocsparseL18bsrxmvn_4x4_kernelILj128ELj64Efli18rocsparse_bfloat16S1_fEEvT3_20rocsparse_direction_NS_24const_host_device_scalarIT1_EES2_PKS2_PKT2_SB_S8_PKT4_PKT5_S6_PT6_21rocsparse_index_base_b.uses_flat_scratch, 0
	.set _ZN9rocsparseL18bsrxmvn_4x4_kernelILj128ELj64Efli18rocsparse_bfloat16S1_fEEvT3_20rocsparse_direction_NS_24const_host_device_scalarIT1_EES2_PKS2_PKT2_SB_S8_PKT4_PKT5_S6_PT6_21rocsparse_index_base_b.has_dyn_sized_stack, 0
	.set _ZN9rocsparseL18bsrxmvn_4x4_kernelILj128ELj64Efli18rocsparse_bfloat16S1_fEEvT3_20rocsparse_direction_NS_24const_host_device_scalarIT1_EES2_PKS2_PKT2_SB_S8_PKT4_PKT5_S6_PT6_21rocsparse_index_base_b.has_recursion, 0
	.set _ZN9rocsparseL18bsrxmvn_4x4_kernelILj128ELj64Efli18rocsparse_bfloat16S1_fEEvT3_20rocsparse_direction_NS_24const_host_device_scalarIT1_EES2_PKS2_PKT2_SB_S8_PKT4_PKT5_S6_PT6_21rocsparse_index_base_b.has_indirect_call, 0
	.section	.AMDGPU.csdata,"",@progbits
; Kernel info:
; codeLenInByte = 4876
; TotalNumSgprs: 20
; NumVgprs: 84
; ScratchSize: 0
; MemoryBound: 0
; FloatMode: 240
; IeeeMode: 1
; LDSByteSize: 0 bytes/workgroup (compile time only)
; SGPRBlocks: 0
; VGPRBlocks: 5
; NumSGPRsForWavesPerEU: 20
; NumVGPRsForWavesPerEU: 84
; NamedBarCnt: 0
; Occupancy: 10
; WaveLimiterHint : 1
; COMPUTE_PGM_RSRC2:SCRATCH_EN: 0
; COMPUTE_PGM_RSRC2:USER_SGPR: 2
; COMPUTE_PGM_RSRC2:TRAP_HANDLER: 0
; COMPUTE_PGM_RSRC2:TGID_X_EN: 1
; COMPUTE_PGM_RSRC2:TGID_Y_EN: 0
; COMPUTE_PGM_RSRC2:TGID_Z_EN: 0
; COMPUTE_PGM_RSRC2:TIDIG_COMP_CNT: 0
	.section	.text._ZN9rocsparseL18bsrxmvn_4x4_kernelILj128ELj4Efll18rocsparse_bfloat16S1_fEEvT3_20rocsparse_direction_NS_24const_host_device_scalarIT1_EES2_PKS2_PKT2_SB_S8_PKT4_PKT5_S6_PT6_21rocsparse_index_base_b,"axG",@progbits,_ZN9rocsparseL18bsrxmvn_4x4_kernelILj128ELj4Efll18rocsparse_bfloat16S1_fEEvT3_20rocsparse_direction_NS_24const_host_device_scalarIT1_EES2_PKS2_PKT2_SB_S8_PKT4_PKT5_S6_PT6_21rocsparse_index_base_b,comdat
	.globl	_ZN9rocsparseL18bsrxmvn_4x4_kernelILj128ELj4Efll18rocsparse_bfloat16S1_fEEvT3_20rocsparse_direction_NS_24const_host_device_scalarIT1_EES2_PKS2_PKT2_SB_S8_PKT4_PKT5_S6_PT6_21rocsparse_index_base_b ; -- Begin function _ZN9rocsparseL18bsrxmvn_4x4_kernelILj128ELj4Efll18rocsparse_bfloat16S1_fEEvT3_20rocsparse_direction_NS_24const_host_device_scalarIT1_EES2_PKS2_PKT2_SB_S8_PKT4_PKT5_S6_PT6_21rocsparse_index_base_b
	.p2align	8
	.type	_ZN9rocsparseL18bsrxmvn_4x4_kernelILj128ELj4Efll18rocsparse_bfloat16S1_fEEvT3_20rocsparse_direction_NS_24const_host_device_scalarIT1_EES2_PKS2_PKT2_SB_S8_PKT4_PKT5_S6_PT6_21rocsparse_index_base_b,@function
_ZN9rocsparseL18bsrxmvn_4x4_kernelILj128ELj4Efll18rocsparse_bfloat16S1_fEEvT3_20rocsparse_direction_NS_24const_host_device_scalarIT1_EES2_PKS2_PKT2_SB_S8_PKT4_PKT5_S6_PT6_21rocsparse_index_base_b: ; @_ZN9rocsparseL18bsrxmvn_4x4_kernelILj128ELj4Efll18rocsparse_bfloat16S1_fEEvT3_20rocsparse_direction_NS_24const_host_device_scalarIT1_EES2_PKS2_PKT2_SB_S8_PKT4_PKT5_S6_PT6_21rocsparse_index_base_b
; %bb.0:
	s_clause 0x2
	s_load_b64 s[2:3], s[0:1], 0x60
	s_load_b128 s[12:15], s[0:1], 0x10
	s_load_b64 s[16:17], s[0:1], 0x50
	s_wait_kmcnt 0x0
	s_bitcmp1_b32 s3, 0
	s_cselect_b32 s3, -1, 0
	s_delay_alu instid0(SALU_CYCLE_1)
	s_and_b32 vcc_lo, exec_lo, s3
	s_xor_b32 s3, s3, -1
	s_cbranch_vccnz .LBB115_2
; %bb.1:
	s_load_b32 s12, s[12:13], 0x0
.LBB115_2:
	s_and_not1_b32 vcc_lo, exec_lo, s3
	s_cbranch_vccnz .LBB115_4
; %bb.3:
	s_load_b32 s16, s[16:17], 0x0
.LBB115_4:
	s_wait_kmcnt 0x0
	s_cmp_neq_f32 s12, 0
	s_mov_b32 s6, 0
	s_cselect_b32 s3, -1, 0
	s_cmp_neq_f32 s16, 1.0
	s_cselect_b32 s4, -1, 0
	s_delay_alu instid0(SALU_CYCLE_1) | instskip(NEXT) | instid1(SALU_CYCLE_1)
	s_or_b32 s3, s3, s4
	s_and_not1_b32 vcc_lo, exec_lo, s3
	s_cbranch_vccnz .LBB115_10
; %bb.5:
	s_load_b64 s[4:5], s[0:1], 0x20
	s_bfe_u32 s3, ttmp6, 0x4000c
	s_and_b32 s7, ttmp6, 15
	s_add_co_i32 s3, s3, 1
	s_getreg_b32 s8, hwreg(HW_REG_IB_STS2, 6, 4)
	s_mul_i32 s3, ttmp9, s3
	v_dual_lshrrev_b32 v1, 2, v0 :: v_dual_mov_b32 v7, 0
	s_add_co_i32 s7, s7, s3
	s_cmp_eq_u32 s8, 0
	s_cselect_b32 s3, ttmp9, s7
	s_delay_alu instid0(VALU_DEP_1) | instid1(SALU_CYCLE_1)
	v_lshl_or_b32 v6, s3, 5, v1
	s_wait_kmcnt 0x0
	s_cmp_lg_u64 s[4:5], 0
	s_cbranch_scc0 .LBB115_11
; %bb.6:
	s_mov_b32 s7, 0
                                        ; implicit-def: $vgpr2_vgpr3
                                        ; implicit-def: $vgpr4_vgpr5
	s_mov_b32 s3, exec_lo
	v_cmpx_gt_i64_e64 s[14:15], v[6:7]
	s_xor_b32 s8, exec_lo, s3
	s_cbranch_execz .LBB115_8
; %bb.7:
	v_lshl_add_u64 v[2:3], v[6:7], 3, s[4:5]
	s_mov_b32 s3, 0
	s_mov_b32 s6, exec_lo
	v_mov_b64_e32 v[4:5], s[2:3]
	global_load_b64 v[2:3], v[2:3], off
	s_wait_loadcnt 0x0
	v_sub_nc_u64_e64 v[2:3], v[2:3], s[2:3]
.LBB115_8:
	s_or_b32 exec_lo, exec_lo, s8
	s_delay_alu instid0(SALU_CYCLE_1)
	s_and_b32 vcc_lo, exec_lo, s7
	s_cbranch_vccnz .LBB115_12
.LBB115_9:
	s_and_saveexec_b32 s2, s6
	s_cbranch_execnz .LBB115_15
.LBB115_10:
	s_sendmsg sendmsg(MSG_DEALLOC_VGPRS)
	s_endpgm
.LBB115_11:
                                        ; implicit-def: $vgpr2_vgpr3
                                        ; implicit-def: $vgpr4_vgpr5
	s_cbranch_execz .LBB115_9
.LBB115_12:
	s_load_b64 s[4:5], s[0:1], 0x0
	s_wait_kmcnt 0x0
	v_cmp_gt_i64_e32 vcc_lo, s[4:5], v[6:7]
	s_and_saveexec_b32 s4, vcc_lo
; %bb.13:
	s_mov_b32 s3, 0
	s_or_b32 s6, s6, exec_lo
; %bb.14:
	s_or_b32 exec_lo, exec_lo, s4
	v_mov_b64_e32 v[4:5], s[2:3]
	v_mov_b64_e32 v[2:3], v[6:7]
	s_and_saveexec_b32 s2, s6
	s_cbranch_execz .LBB115_10
.LBB115_15:
	s_load_b256 s[4:11], s[0:1], 0x28
	s_delay_alu instid0(VALU_DEP_1) | instskip(SKIP_3) | instid1(VALU_DEP_2)
	v_lshlrev_b64_e32 v[6:7], 3, v[2:3]
	v_dual_mov_b32 v1, 0 :: v_dual_bitop2_b32 v0, 3, v0 bitop3:0x40
	s_load_b32 s3, s[0:1], 0x8
	s_wait_kmcnt 0x0
	v_add_nc_u64_e32 v[8:9], s[4:5], v[6:7]
	v_add_nc_u64_e32 v[6:7], s[6:7], v[6:7]
	s_cmp_eq_u64 s[6:7], 0
	s_load_b64 s[4:5], s[0:1], 0x48
	s_cselect_b32 vcc_lo, -1, 0
	s_cmp_eq_u32 s3, 1
	global_load_b64 v[16:17], v[8:9], off
	s_wait_xcnt 0x0
	v_add_nc_u64_e32 v[8:9], 8, v[8:9]
	s_delay_alu instid0(VALU_DEP_1) | instskip(SKIP_4) | instid1(VALU_DEP_1)
	v_dual_cndmask_b32 v7, v7, v9 :: v_dual_cndmask_b32 v6, v6, v8
	global_load_b64 v[8:9], v[6:7], off
	s_wait_loadcnt 0x1
	s_wait_xcnt 0x0
	v_sub_nc_u64_e32 v[6:7], v[16:17], v[4:5]
	v_add_nc_u64_e32 v[6:7], v[6:7], v[0:1]
	s_wait_loadcnt 0x0
	v_sub_nc_u64_e32 v[8:9], v[8:9], v[4:5]
	s_delay_alu instid0(VALU_DEP_2) | instskip(NEXT) | instid1(VALU_DEP_2)
	v_lshlrev_b64_e32 v[10:11], 5, v[6:7]
	v_cmp_lt_i64_e64 s2, v[6:7], v[8:9]
	s_delay_alu instid0(VALU_DEP_2)
	v_add_nc_u64_e32 v[10:11], s[10:11], v[10:11]
	s_cbranch_scc1 .LBB115_27
; %bb.16:
	v_dual_mov_b32 v15, v1 :: v_dual_mov_b32 v14, v1
	v_dual_mov_b32 v13, v1 :: v_dual_mov_b32 v12, v1
	s_and_saveexec_b32 s3, s2
	s_cbranch_execz .LBB115_26
; %bb.17:
	v_dual_mov_b32 v13, v1 :: v_dual_bitop2_b32 v12, 4, v0 bitop3:0x54
	v_sub_nc_u64_e32 v[14:15], v[4:5], v[0:1]
	v_not_b32_e32 v19, v17
	v_not_b32_e32 v18, v16
	v_mov_b64_e32 v[20:21], v[10:11]
	v_sub_nc_u64_e32 v[12:13], v[12:13], v[4:5]
	s_delay_alu instid0(VALU_DEP_3) | instskip(SKIP_1) | instid1(VALU_DEP_3)
	v_add_nc_u64_e32 v[14:15], v[14:15], v[18:19]
	v_mov_b64_e32 v[18:19], v[6:7]
	v_add_nc_u64_e32 v[12:13], v[12:13], v[16:17]
	s_delay_alu instid0(VALU_DEP_1) | instskip(NEXT) | instid1(VALU_DEP_1)
	v_max_i64 v[12:13], v[12:13], v[8:9]
	v_add_nc_u64_e32 v[22:23], v[14:15], v[12:13]
	s_delay_alu instid0(VALU_DEP_1) | instskip(NEXT) | instid1(VALU_DEP_1)
	v_dual_mov_b32 v13, 0 :: v_dual_bitop2_b32 v12, 12, v22 bitop3:0x40
	v_dual_mov_b32 v14, v13 :: v_dual_mov_b32 v15, v13
	s_delay_alu instid0(VALU_DEP_2)
	v_cmp_ne_u64_e32 vcc_lo, 12, v[12:13]
	v_mov_b32_e32 v12, v13
	s_and_saveexec_b32 s6, vcc_lo
	s_cbranch_execz .LBB115_21
; %bb.18:
	v_dual_mov_b32 v13, 0 :: v_dual_lshrrev_b32 v12, 2, v22
	v_mov_b64_e32 v[20:21], v[10:11]
	v_mov_b64_e32 v[18:19], v[6:7]
	v_lshl_add_u64 v[24:25], v[6:7], 3, s[8:9]
	s_delay_alu instid0(VALU_DEP_4) | instskip(SKIP_1) | instid1(VALU_DEP_1)
	v_dual_add_nc_u32 v12, 1, v12 :: v_dual_mov_b32 v14, v13
	s_mov_b32 s7, 0
	v_dual_mov_b32 v15, v13 :: v_dual_bitop2_b32 v12, 3, v12 bitop3:0x40
	s_delay_alu instid0(VALU_DEP_1)
	v_sub_nc_u64_e32 v[26:27], 0, v[12:13]
	v_mov_b32_e32 v12, v13
.LBB115_19:                             ; =>This Inner Loop Header: Depth=1
	global_load_b64 v[28:29], v[24:25], off
	v_add_nc_u64_e32 v[26:27], 1, v[26:27]
	v_add_nc_u64_e32 v[18:19], 4, v[18:19]
	s_wait_xcnt 0x0
	v_add_nc_u64_e32 v[24:25], 32, v[24:25]
	s_delay_alu instid0(VALU_DEP_3) | instskip(SKIP_4) | instid1(VALU_DEP_1)
	v_cmp_eq_u64_e32 vcc_lo, 0, v[26:27]
	s_or_b32 s7, vcc_lo, s7
	s_wait_loadcnt 0x0
	v_sub_nc_u64_e32 v[28:29], v[28:29], v[4:5]
	s_wait_kmcnt 0x0
	v_lshl_add_u64 v[36:37], v[28:29], 3, s[4:5]
	s_clause 0x1
	global_load_b128 v[28:31], v[20:21], off
	global_load_b128 v[32:35], v[20:21], off offset:16
	global_load_b64 v[38:39], v[36:37], off
	s_wait_xcnt 0x1
	v_add_nc_u64_e32 v[20:21], 0x80, v[20:21]
	s_wait_loadcnt 0x2
	s_wait_xcnt 0x0
	v_dual_lshlrev_b32 v36, 16, v28 :: v_dual_lshlrev_b32 v37, 16, v30
	v_and_b32_e32 v41, 0xffff0000, v30
	v_and_b32_e32 v40, 0xffff0000, v28
	v_dual_lshlrev_b32 v43, 16, v31 :: v_dual_lshlrev_b32 v42, 16, v29
	v_and_b32_e32 v30, 0xffff0000, v29
	s_wait_loadcnt 0x1
	v_dual_lshlrev_b32 v28, 16, v32 :: v_dual_lshlrev_b32 v29, 16, v34
	s_wait_loadcnt 0x0
	v_lshlrev_b32_e32 v44, 16, v38
	v_and_b32_e32 v47, 0xffff0000, v34
	v_and_b32_e32 v46, 0xffff0000, v32
	;; [unrolled: 1-line block ×3, first 2 shown]
	v_lshlrev_b32_e32 v34, 16, v39
	v_pk_fma_f32 v[14:15], v[28:29], v[44:45], v[14:15] op_sel_hi:[1,0,1]
	v_lshlrev_b32_e32 v29, 16, v35
	v_pk_fma_f32 v[12:13], v[36:37], v[44:45], v[12:13] op_sel_hi:[1,0,1]
	v_lshlrev_b32_e32 v28, 16, v33
	v_and_b32_e32 v31, 0xffff0000, v31
	v_pk_fma_f32 v[14:15], v[46:47], v[32:33], v[14:15] op_sel_hi:[1,0,1]
	v_and_b32_e32 v37, 0xffff0000, v35
	v_pk_fma_f32 v[12:13], v[40:41], v[32:33], v[12:13] op_sel_hi:[1,0,1]
	v_and_b32_e32 v36, 0xffff0000, v33
	v_and_b32_e32 v32, 0xffff0000, v39
	v_pk_fma_f32 v[14:15], v[28:29], v[34:35], v[14:15] op_sel_hi:[1,0,1]
	s_delay_alu instid0(VALU_DEP_4) | instskip(NEXT) | instid1(VALU_DEP_2)
	v_pk_fma_f32 v[12:13], v[42:43], v[34:35], v[12:13] op_sel_hi:[1,0,1]
	v_pk_fma_f32 v[14:15], v[36:37], v[32:33], v[14:15] op_sel_hi:[1,0,1]
	s_delay_alu instid0(VALU_DEP_2)
	v_pk_fma_f32 v[12:13], v[30:31], v[32:33], v[12:13] op_sel_hi:[1,0,1]
	s_and_not1_b32 exec_lo, exec_lo, s7
	s_cbranch_execnz .LBB115_19
; %bb.20:
	s_or_b32 exec_lo, exec_lo, s7
.LBB115_21:
	s_delay_alu instid0(SALU_CYCLE_1) | instskip(NEXT) | instid1(SALU_CYCLE_1)
	s_or_b32 exec_lo, exec_lo, s6
	s_mov_b32 s6, exec_lo
	v_cmpx_lt_u64_e32 11, v[22:23]
	s_cbranch_execz .LBB115_25
; %bb.22:
	v_lshl_add_u64 v[22:23], v[18:19], 3, s[8:9]
	s_mov_b32 s7, 0
	s_delay_alu instid0(VALU_DEP_1)
	v_add_nc_u64_e32 v[22:23], 64, v[22:23]
.LBB115_23:                             ; =>This Inner Loop Header: Depth=1
	s_clause 0x3
	global_load_b64 v[44:45], v[22:23], off offset:-64
	global_load_b64 v[46:47], v[22:23], off offset:-32
	global_load_b64 v[48:49], v[22:23], off
	global_load_b64 v[50:51], v[22:23], off offset:32
	s_clause 0x4
	global_load_b128 v[24:27], v[20:21], off
	global_load_b128 v[28:31], v[20:21], off offset:16
	global_load_b128 v[32:35], v[20:21], off offset:256
	;; [unrolled: 1-line block ×4, first 2 shown]
	v_add_nc_u64_e32 v[18:19], 16, v[18:19]
	s_wait_xcnt 0x5
	v_add_nc_u64_e32 v[22:23], 0x80, v[22:23]
	s_delay_alu instid0(VALU_DEP_2)
	v_cmp_ge_i64_e32 vcc_lo, v[18:19], v[8:9]
	s_or_b32 s7, vcc_lo, s7
	s_wait_loadcnt 0x8
	v_sub_nc_u64_e32 v[44:45], v[44:45], v[4:5]
	s_wait_loadcnt 0x7
	v_sub_nc_u64_e32 v[46:47], v[46:47], v[4:5]
	;; [unrolled: 2-line block ×3, first 2 shown]
	s_wait_loadcnt 0x4
	v_and_b32_e32 v71, 0xffff0000, v26
	s_wait_loadcnt 0x3
	v_dual_lshlrev_b32 v66, 16, v28 :: v_dual_lshlrev_b32 v67, 16, v30
	s_wait_kmcnt 0x0
	v_lshl_add_u64 v[52:53], v[44:45], 3, s[4:5]
	v_lshl_add_u64 v[54:55], v[46:47], 3, s[4:5]
	s_wait_loadcnt 0x2
	v_and_b32_e32 v68, 0xffff0000, v33
	v_and_b32_e32 v70, 0xffff0000, v24
	v_dual_lshlrev_b32 v73, 16, v27 :: v_dual_lshlrev_b32 v72, 16, v25
	s_clause 0x1
	global_load_b64 v[56:57], v[52:53], off
	global_load_b64 v[58:59], v[54:55], off
	global_load_b128 v[44:47], v[20:21], off offset:272
	s_wait_xcnt 0x1
	v_lshl_add_u64 v[54:55], v[48:49], 3, s[4:5]
	v_sub_nc_u64_e32 v[52:53], v[50:51], v[4:5]
	s_wait_loadcnt 0x4
	v_and_b32_e32 v75, 0xffff0000, v38
	global_load_b64 v[60:61], v[54:55], off
	global_load_b128 v[48:51], v[20:21], off offset:384
	v_and_b32_e32 v74, 0xffff0000, v36
	v_dual_lshlrev_b32 v77, 16, v39 :: v_dual_lshlrev_b32 v76, 16, v37
	v_lshl_add_u64 v[62:63], v[52:53], 3, s[4:5]
	global_load_b128 v[52:55], v[20:21], off offset:400
	global_load_b64 v[64:65], v[62:63], off
	s_wait_xcnt 0x0
	v_dual_lshlrev_b32 v62, 16, v24 :: v_dual_lshlrev_b32 v63, 16, v26
	v_and_b32_e32 v26, 0xffff0000, v25
	v_dual_lshlrev_b32 v25, 16, v38 :: v_dual_lshlrev_b32 v24, 16, v36
	v_and_b32_e32 v38, 0xffff0000, v37
	v_dual_lshlrev_b32 v37, 16, v34 :: v_dual_lshlrev_b32 v36, 16, v32
	v_and_b32_e32 v78, 0xffff0000, v32
	v_dual_lshlrev_b32 v81, 16, v35 :: v_dual_lshlrev_b32 v80, 16, v33
	v_and_b32_e32 v33, 0xffff0000, v30
	v_and_b32_e32 v32, 0xffff0000, v28
	s_wait_loadcnt 0x7
	v_dual_lshlrev_b32 v83, 16, v42 :: v_dual_lshlrev_b32 v82, 16, v40
	v_and_b32_e32 v79, 0xffff0000, v34
	v_and_b32_e32 v69, 0xffff0000, v35
	v_dual_lshlrev_b32 v35, 16, v31 :: v_dual_lshlrev_b32 v34, 16, v29
	v_and_b32_e32 v27, 0xffff0000, v27
	v_and_b32_e32 v31, 0xffff0000, v31
	v_and_b32_e32 v30, 0xffff0000, v29
	v_and_b32_e32 v39, 0xffff0000, v39
	v_add_nc_u64_e32 v[20:21], 0x200, v[20:21]
	s_wait_loadcnt 0x6
	v_lshlrev_b32_e32 v84, 16, v56
	s_wait_loadcnt 0x4
	v_and_b32_e32 v28, 0xffff0000, v45
	v_and_b32_e32 v29, 0xffff0000, v47
	s_delay_alu instid0(VALU_DEP_3)
	v_pk_fma_f32 v[14:15], v[66:67], v[84:85], v[14:15] op_sel_hi:[1,0,1]
	v_lshlrev_b32_e32 v67, 16, v43
	v_pk_fma_f32 v[12:13], v[62:63], v[84:85], v[12:13] op_sel_hi:[1,0,1]
	v_and_b32_e32 v63, 0xffff0000, v42
	v_and_b32_e32 v42, 0xffff0000, v56
	;; [unrolled: 1-line block ×3, first 2 shown]
	v_lshlrev_b32_e32 v40, 16, v57
	v_lshlrev_b32_e32 v66, 16, v41
	s_delay_alu instid0(VALU_DEP_4) | instskip(SKIP_4) | instid1(VALU_DEP_4)
	v_pk_fma_f32 v[12:13], v[70:71], v[42:43], v[12:13] op_sel_hi:[1,0,1]
	v_pk_fma_f32 v[14:15], v[32:33], v[42:43], v[14:15] op_sel_hi:[1,0,1]
	v_and_b32_e32 v42, 0xffff0000, v57
	v_and_b32_e32 v33, 0xffff0000, v43
	;; [unrolled: 1-line block ×3, first 2 shown]
	v_pk_fma_f32 v[14:15], v[34:35], v[40:41], v[14:15] op_sel_hi:[1,0,1]
	v_lshlrev_b32_e32 v35, 16, v46
	v_pk_fma_f32 v[12:13], v[72:73], v[40:41], v[12:13] op_sel_hi:[1,0,1]
	v_dual_lshlrev_b32 v40, 16, v58 :: v_dual_lshlrev_b32 v34, 16, v44
	s_delay_alu instid0(VALU_DEP_4) | instskip(SKIP_1) | instid1(VALU_DEP_4)
	v_pk_fma_f32 v[14:15], v[30:31], v[42:43], v[14:15] op_sel_hi:[1,0,1]
	v_and_b32_e32 v30, 0xffff0000, v58
	v_pk_fma_f32 v[12:13], v[26:27], v[42:43], v[12:13] op_sel_hi:[1,0,1]
	s_wait_loadcnt 0x3
	v_lshlrev_b32_e32 v42, 16, v60
	v_and_b32_e32 v27, 0xffff0000, v46
	v_pk_fma_f32 v[14:15], v[82:83], v[40:41], v[14:15] op_sel_hi:[1,0,1]
	v_and_b32_e32 v26, 0xffff0000, v44
	v_pk_fma_f32 v[12:13], v[24:25], v[40:41], v[12:13] op_sel_hi:[1,0,1]
	v_dual_lshlrev_b32 v40, 16, v59 :: v_dual_lshlrev_b32 v24, 16, v45
	s_delay_alu instid0(VALU_DEP_4) | instskip(SKIP_1) | instid1(VALU_DEP_4)
	v_pk_fma_f32 v[14:15], v[62:63], v[30:31], v[14:15] op_sel_hi:[1,0,1]
	v_lshlrev_b32_e32 v25, 16, v47
	v_pk_fma_f32 v[12:13], v[74:75], v[30:31], v[12:13] op_sel_hi:[1,0,1]
	v_and_b32_e32 v30, 0xffff0000, v59
	s_delay_alu instid0(VALU_DEP_4) | instskip(NEXT) | instid1(VALU_DEP_3)
	v_pk_fma_f32 v[14:15], v[66:67], v[40:41], v[14:15] op_sel_hi:[1,0,1]
	v_pk_fma_f32 v[12:13], v[76:77], v[40:41], v[12:13] op_sel_hi:[1,0,1]
	s_wait_loadcnt 0x2
	v_dual_lshlrev_b32 v41, 16, v50 :: v_dual_lshlrev_b32 v40, 16, v48
	s_delay_alu instid0(VALU_DEP_3)
	v_pk_fma_f32 v[14:15], v[32:33], v[30:31], v[14:15] op_sel_hi:[1,0,1]
	v_and_b32_e32 v32, 0xffff0000, v60
	v_pk_fma_f32 v[12:13], v[38:39], v[30:31], v[12:13] op_sel_hi:[1,0,1]
	v_and_b32_e32 v31, 0xffff0000, v50
	v_and_b32_e32 v30, 0xffff0000, v48
	v_pk_fma_f32 v[14:15], v[34:35], v[42:43], v[14:15] op_sel_hi:[1,0,1]
	v_lshlrev_b32_e32 v35, 16, v51
	v_pk_fma_f32 v[12:13], v[36:37], v[42:43], v[12:13] op_sel_hi:[1,0,1]
	v_lshlrev_b32_e32 v36, 16, v61
	v_lshlrev_b32_e32 v34, 16, v49
	v_pk_fma_f32 v[14:15], v[26:27], v[32:33], v[14:15] op_sel_hi:[1,0,1]
	v_and_b32_e32 v27, 0xffff0000, v51
	v_pk_fma_f32 v[12:13], v[78:79], v[32:33], v[12:13] op_sel_hi:[1,0,1]
	v_and_b32_e32 v32, 0xffff0000, v61
	v_and_b32_e32 v26, 0xffff0000, v49
	v_pk_fma_f32 v[14:15], v[24:25], v[36:37], v[14:15] op_sel_hi:[1,0,1]
	s_wait_loadcnt 0x1
	v_lshlrev_b32_e32 v24, 16, v52
	v_pk_fma_f32 v[12:13], v[80:81], v[36:37], v[12:13] op_sel_hi:[1,0,1]
	s_wait_loadcnt 0x0
	v_dual_lshlrev_b32 v25, 16, v54 :: v_dual_lshlrev_b32 v36, 16, v64
	v_pk_fma_f32 v[14:15], v[28:29], v[32:33], v[14:15] op_sel_hi:[1,0,1]
	v_and_b32_e32 v29, 0xffff0000, v54
	v_pk_fma_f32 v[12:13], v[68:69], v[32:33], v[12:13] op_sel_hi:[1,0,1]
	v_and_b32_e32 v28, 0xffff0000, v52
	v_and_b32_e32 v32, 0xffff0000, v64
	v_pk_fma_f32 v[14:15], v[24:25], v[36:37], v[14:15] op_sel_hi:[1,0,1]
	v_lshlrev_b32_e32 v25, 16, v55
	v_pk_fma_f32 v[12:13], v[40:41], v[36:37], v[12:13] op_sel_hi:[1,0,1]
	v_lshlrev_b32_e32 v24, 16, v53
	v_lshlrev_b32_e32 v36, 16, v65
	v_pk_fma_f32 v[14:15], v[28:29], v[32:33], v[14:15] op_sel_hi:[1,0,1]
	v_and_b32_e32 v29, 0xffff0000, v55
	v_pk_fma_f32 v[12:13], v[30:31], v[32:33], v[12:13] op_sel_hi:[1,0,1]
	v_and_b32_e32 v28, 0xffff0000, v53
	v_and_b32_e32 v30, 0xffff0000, v65
	v_pk_fma_f32 v[14:15], v[24:25], v[36:37], v[14:15] op_sel_hi:[1,0,1]
	s_delay_alu instid0(VALU_DEP_4) | instskip(NEXT) | instid1(VALU_DEP_2)
	v_pk_fma_f32 v[12:13], v[34:35], v[36:37], v[12:13] op_sel_hi:[1,0,1]
	v_pk_fma_f32 v[14:15], v[28:29], v[30:31], v[14:15] op_sel_hi:[1,0,1]
	s_delay_alu instid0(VALU_DEP_2)
	v_pk_fma_f32 v[12:13], v[26:27], v[30:31], v[12:13] op_sel_hi:[1,0,1]
	s_and_not1_b32 exec_lo, exec_lo, s7
	s_cbranch_execnz .LBB115_23
; %bb.24:
	s_or_b32 exec_lo, exec_lo, s7
.LBB115_25:
	s_delay_alu instid0(SALU_CYCLE_1)
	s_or_b32 exec_lo, exec_lo, s6
.LBB115_26:
	s_delay_alu instid0(SALU_CYCLE_1)
	s_or_b32 exec_lo, exec_lo, s3
	s_cbranch_execz .LBB115_28
	s_branch .LBB115_39
.LBB115_27:
                                        ; implicit-def: $vgpr15
                                        ; implicit-def: $vgpr13
.LBB115_28:
	v_dual_mov_b32 v15, 0 :: v_dual_mov_b32 v14, 0
	v_dual_mov_b32 v13, 0 :: v_dual_mov_b32 v12, 0
	s_and_saveexec_b32 s3, s2
	s_cbranch_execz .LBB115_38
; %bb.29:
	v_dual_mov_b32 v13, v1 :: v_dual_bitop2_b32 v12, 4, v0 bitop3:0x54
	v_sub_nc_u64_e32 v[14:15], v[4:5], v[0:1]
	s_delay_alu instid0(VALU_DEP_2) | instskip(NEXT) | instid1(VALU_DEP_1)
	v_sub_nc_u64_e32 v[12:13], v[12:13], v[4:5]
	v_add_nc_u64_e32 v[12:13], v[12:13], v[16:17]
	v_not_b32_e32 v17, v17
	v_not_b32_e32 v16, v16
	s_delay_alu instid0(VALU_DEP_1) | instskip(NEXT) | instid1(VALU_DEP_4)
	v_add_nc_u64_e32 v[14:15], v[14:15], v[16:17]
	v_max_i64 v[12:13], v[12:13], v[8:9]
	s_delay_alu instid0(VALU_DEP_1) | instskip(NEXT) | instid1(VALU_DEP_1)
	v_add_nc_u64_e32 v[16:17], v[14:15], v[12:13]
	v_dual_mov_b32 v13, 0 :: v_dual_bitop2_b32 v12, 12, v16 bitop3:0x40
	s_delay_alu instid0(VALU_DEP_1) | instskip(NEXT) | instid1(VALU_DEP_2)
	v_dual_mov_b32 v15, v13 :: v_dual_mov_b32 v14, v13
	v_cmp_ne_u64_e32 vcc_lo, 12, v[12:13]
	v_mov_b32_e32 v12, v13
	s_and_saveexec_b32 s2, vcc_lo
	s_cbranch_execz .LBB115_33
; %bb.30:
	v_dual_lshrrev_b32 v1, 2, v16 :: v_dual_mov_b32 v13, 0
	v_lshl_add_u64 v[18:19], v[6:7], 3, s[8:9]
	s_mov_b32 s6, 0
	s_delay_alu instid0(VALU_DEP_2) | instskip(NEXT) | instid1(VALU_DEP_1)
	v_dual_add_nc_u32 v1, 1, v1 :: v_dual_mov_b32 v15, v13
	v_dual_mov_b32 v14, v13 :: v_dual_bitop2_b32 v12, 3, v1 bitop3:0x40
	s_delay_alu instid0(VALU_DEP_1)
	v_sub_nc_u64_e32 v[20:21], 0, v[12:13]
	v_mov_b32_e32 v12, v13
.LBB115_31:                             ; =>This Inner Loop Header: Depth=1
	global_load_b64 v[26:27], v[18:19], off
	global_load_b128 v[22:25], v[10:11], off
	v_add_nc_u64_e32 v[20:21], 1, v[20:21]
	v_add_nc_u64_e32 v[6:7], 4, v[6:7]
	s_wait_xcnt 0x1
	v_add_nc_u64_e32 v[18:19], 32, v[18:19]
	s_delay_alu instid0(VALU_DEP_3)
	v_cmp_eq_u64_e32 vcc_lo, 0, v[20:21]
	s_or_b32 s6, vcc_lo, s6
	s_wait_loadcnt 0x1
	v_sub_nc_u64_e32 v[26:27], v[26:27], v[4:5]
	s_wait_loadcnt 0x0
	v_and_b32_e32 v35, 0xffff0000, v23
	v_and_b32_e32 v41, 0xffff0000, v25
	v_lshlrev_b32_e32 v34, 16, v23
	v_and_b32_e32 v23, 0xffff0000, v24
	v_lshlrev_b32_e32 v40, 16, v25
	s_wait_kmcnt 0x0
	v_lshl_add_u64 v[30:31], v[26:27], 3, s[4:5]
	global_load_b64 v[32:33], v[30:31], off
	global_load_b128 v[26:29], v[10:11], off offset:16
	s_wait_xcnt 0x1
	v_and_b32_e32 v31, 0xffff0000, v22
	v_dual_lshlrev_b32 v30, 16, v22 :: v_dual_lshlrev_b32 v22, 16, v24
	s_wait_xcnt 0x0
	v_add_nc_u64_e32 v[10:11], 0x80, v[10:11]
	s_wait_loadcnt 0x1
	v_lshlrev_b32_e32 v24, 16, v32
	s_wait_loadcnt 0x0
	v_and_b32_e32 v37, 0xffff0000, v26
	v_lshlrev_b32_e32 v36, 16, v26
	v_and_b32_e32 v39, 0xffff0000, v28
	v_lshlrev_b32_e32 v38, 16, v28
	;; [unrolled: 2-line block ×3, first 2 shown]
	v_pk_fma_f32 v[12:13], v[30:31], v[24:25], v[12:13] op_sel_hi:[1,0,1]
	v_pk_fma_f32 v[14:15], v[34:35], v[24:25], v[14:15] op_sel_hi:[1,0,1]
	v_and_b32_e32 v25, 0xffff0000, v27
	v_lshlrev_b32_e32 v24, 16, v27
	s_delay_alu instid0(VALU_DEP_4) | instskip(NEXT) | instid1(VALU_DEP_4)
	v_pk_fma_f32 v[12:13], v[22:23], v[26:27], v[12:13] op_sel_hi:[1,0,1]
	v_pk_fma_f32 v[14:15], v[40:41], v[26:27], v[14:15] op_sel_hi:[1,0,1]
	v_and_b32_e32 v23, 0xffff0000, v29
	v_lshlrev_b32_e32 v22, 16, v29
	v_and_b32_e32 v26, 0xffff0000, v33
	v_pk_fma_f32 v[12:13], v[36:37], v[28:29], v[12:13] op_sel_hi:[1,0,1]
	v_pk_fma_f32 v[14:15], v[24:25], v[28:29], v[14:15] op_sel_hi:[1,0,1]
	s_delay_alu instid0(VALU_DEP_2) | instskip(NEXT) | instid1(VALU_DEP_2)
	v_pk_fma_f32 v[12:13], v[38:39], v[26:27], v[12:13] op_sel_hi:[1,0,1]
	v_pk_fma_f32 v[14:15], v[22:23], v[26:27], v[14:15] op_sel_hi:[1,0,1]
	s_and_not1_b32 exec_lo, exec_lo, s6
	s_cbranch_execnz .LBB115_31
; %bb.32:
	s_or_b32 exec_lo, exec_lo, s6
.LBB115_33:
	s_delay_alu instid0(SALU_CYCLE_1) | instskip(NEXT) | instid1(SALU_CYCLE_1)
	s_or_b32 exec_lo, exec_lo, s2
	s_mov_b32 s2, exec_lo
	v_cmpx_lt_u64_e32 11, v[16:17]
	s_cbranch_execz .LBB115_37
; %bb.34:
	v_lshl_add_u64 v[16:17], v[6:7], 3, s[8:9]
	s_mov_b32 s6, 0
	s_delay_alu instid0(VALU_DEP_1)
	v_add_nc_u64_e32 v[16:17], 64, v[16:17]
.LBB115_35:                             ; =>This Inner Loop Header: Depth=1
	s_clause 0x3
	global_load_b64 v[34:35], v[16:17], off offset:-64
	global_load_b64 v[38:39], v[16:17], off offset:-32
	global_load_b64 v[40:41], v[16:17], off
	global_load_b64 v[46:47], v[16:17], off offset:32
	s_clause 0x3
	global_load_b128 v[18:21], v[10:11], off
	global_load_b128 v[22:25], v[10:11], off offset:16
	global_load_b128 v[26:29], v[10:11], off offset:128
	;; [unrolled: 1-line block ×3, first 2 shown]
	v_add_nc_u64_e32 v[6:7], 16, v[6:7]
	s_wait_xcnt 0x4
	v_add_nc_u64_e32 v[16:17], 0x80, v[16:17]
	s_delay_alu instid0(VALU_DEP_2)
	v_cmp_ge_i64_e32 vcc_lo, v[6:7], v[8:9]
	s_or_b32 s6, vcc_lo, s6
	s_wait_loadcnt 0x7
	v_sub_nc_u64_e32 v[34:35], v[34:35], v[4:5]
	s_wait_loadcnt 0x6
	v_sub_nc_u64_e32 v[38:39], v[38:39], v[4:5]
	;; [unrolled: 2-line block ×4, first 2 shown]
	s_wait_loadcnt 0x3
	v_and_b32_e32 v61, 0xffff0000, v19
	v_and_b32_e32 v77, 0xffff0000, v21
	s_wait_loadcnt 0x0
	v_dual_lshlrev_b32 v68, 16, v28 :: v_dual_lshlrev_b32 v70, 16, v30
	s_wait_kmcnt 0x0
	v_lshl_add_u64 v[42:43], v[34:35], 3, s[4:5]
	v_lshl_add_u64 v[52:53], v[38:39], 3, s[4:5]
	;; [unrolled: 1-line block ×4, first 2 shown]
	global_load_b64 v[50:51], v[42:43], off
	global_load_b128 v[34:37], v[10:11], off offset:256
	global_load_b64 v[54:55], v[52:53], off
	s_clause 0x1
	global_load_b128 v[38:41], v[10:11], off offset:272
	global_load_b128 v[42:45], v[10:11], off offset:384
	s_clause 0x1
	global_load_b64 v[52:53], v[48:49], off
	global_load_b64 v[58:59], v[56:57], off
	global_load_b128 v[46:49], v[10:11], off offset:400
	s_wait_xcnt 0x1
	v_and_b32_e32 v57, 0xffff0000, v18
	v_dual_lshlrev_b32 v56, 16, v18 :: v_dual_lshlrev_b32 v60, 16, v19
	v_and_b32_e32 v71, 0xffff0000, v30
	v_and_b32_e32 v73, 0xffff0000, v32
	v_dual_lshlrev_b32 v72, 16, v32 :: v_dual_lshlrev_b32 v30, 16, v33
	v_and_b32_e32 v19, 0xffff0000, v20
	v_dual_lshlrev_b32 v18, 16, v20 :: v_dual_lshlrev_b32 v62, 16, v22
	v_dual_lshlrev_b32 v76, 16, v21 :: v_dual_lshlrev_b32 v20, 16, v23
	v_and_b32_e32 v63, 0xffff0000, v22
	v_and_b32_e32 v21, 0xffff0000, v23
	;; [unrolled: 1-line block ×3, first 2 shown]
	v_dual_lshlrev_b32 v64, 16, v24 :: v_dual_lshlrev_b32 v66, 16, v26
	v_and_b32_e32 v23, 0xffff0000, v25
	v_dual_lshlrev_b32 v22, 16, v25 :: v_dual_lshlrev_b32 v24, 16, v27
	v_and_b32_e32 v67, 0xffff0000, v26
	v_and_b32_e32 v25, 0xffff0000, v27
	;; [unrolled: 1-line block ×4, first 2 shown]
	v_dual_lshlrev_b32 v26, 16, v29 :: v_dual_lshlrev_b32 v28, 16, v31
	v_and_b32_e32 v29, 0xffff0000, v31
	v_and_b32_e32 v31, 0xffff0000, v33
	s_wait_xcnt 0x0
	v_add_nc_u64_e32 v[10:11], 0x200, v[10:11]
	s_wait_loadcnt 0x7
	v_lshlrev_b32_e32 v32, 16, v50
	s_wait_loadcnt 0x6
	v_and_b32_e32 v75, 0xffff0000, v34
	v_lshlrev_b32_e32 v74, 16, v34
	v_and_b32_e32 v34, 0xffff0000, v50
	v_and_b32_e32 v79, 0xffff0000, v36
	v_pk_fma_f32 v[12:13], v[56:57], v[32:33], v[12:13] op_sel_hi:[1,0,1]
	v_pk_fma_f32 v[14:15], v[60:61], v[32:33], v[14:15] op_sel_hi:[1,0,1]
	v_dual_lshlrev_b32 v78, 16, v36 :: v_dual_lshlrev_b32 v32, 16, v35
	v_lshlrev_b32_e32 v36, 16, v51
	s_delay_alu instid0(VALU_DEP_4) | instskip(NEXT) | instid1(VALU_DEP_4)
	v_pk_fma_f32 v[12:13], v[18:19], v[34:35], v[12:13] op_sel_hi:[1,0,1]
	v_pk_fma_f32 v[14:15], v[76:77], v[34:35], v[14:15] op_sel_hi:[1,0,1]
	v_lshlrev_b32_e32 v18, 16, v37
	v_and_b32_e32 v34, 0xffff0000, v51
	v_and_b32_e32 v33, 0xffff0000, v35
	v_pk_fma_f32 v[12:13], v[62:63], v[36:37], v[12:13] op_sel_hi:[1,0,1]
	v_pk_fma_f32 v[14:15], v[20:21], v[36:37], v[14:15] op_sel_hi:[1,0,1]
	s_wait_loadcnt 0x5
	v_lshlrev_b32_e32 v36, 16, v54
	v_and_b32_e32 v19, 0xffff0000, v37
	s_wait_loadcnt 0x4
	v_and_b32_e32 v21, 0xffff0000, v38
	v_pk_fma_f32 v[12:13], v[64:65], v[34:35], v[12:13] op_sel_hi:[1,0,1]
	v_pk_fma_f32 v[14:15], v[22:23], v[34:35], v[14:15] op_sel_hi:[1,0,1]
	v_and_b32_e32 v34, 0xffff0000, v54
	v_dual_lshlrev_b32 v20, 16, v38 :: v_dual_lshlrev_b32 v22, 16, v39
	v_and_b32_e32 v23, 0xffff0000, v39
	s_delay_alu instid0(VALU_DEP_4)
	v_pk_fma_f32 v[14:15], v[24:25], v[36:37], v[14:15] op_sel_hi:[1,0,1]
	v_lshlrev_b32_e32 v24, 16, v40
	v_pk_fma_f32 v[12:13], v[66:67], v[36:37], v[12:13] op_sel_hi:[1,0,1]
	v_lshlrev_b32_e32 v36, 16, v55
	v_and_b32_e32 v25, 0xffff0000, v40
	v_pk_fma_f32 v[14:15], v[26:27], v[34:35], v[14:15] op_sel_hi:[1,0,1]
	v_lshlrev_b32_e32 v26, 16, v41
	v_pk_fma_f32 v[12:13], v[68:69], v[34:35], v[12:13] op_sel_hi:[1,0,1]
	v_and_b32_e32 v34, 0xffff0000, v55
	v_and_b32_e32 v27, 0xffff0000, v41
	v_pk_fma_f32 v[14:15], v[28:29], v[36:37], v[14:15] op_sel_hi:[1,0,1]
	s_wait_loadcnt 0x3
	v_lshlrev_b32_e32 v28, 16, v42
	v_pk_fma_f32 v[12:13], v[70:71], v[36:37], v[12:13] op_sel_hi:[1,0,1]
	s_wait_loadcnt 0x2
	v_lshlrev_b32_e32 v36, 16, v52
	v_and_b32_e32 v29, 0xffff0000, v42
	v_pk_fma_f32 v[14:15], v[30:31], v[34:35], v[14:15] op_sel_hi:[1,0,1]
	v_and_b32_e32 v31, 0xffff0000, v44
	v_pk_fma_f32 v[12:13], v[72:73], v[34:35], v[12:13] op_sel_hi:[1,0,1]
	v_and_b32_e32 v34, 0xffff0000, v52
	v_lshlrev_b32_e32 v30, 16, v44
	v_pk_fma_f32 v[14:15], v[32:33], v[36:37], v[14:15] op_sel_hi:[1,0,1]
	s_wait_loadcnt 0x0
	v_and_b32_e32 v33, 0xffff0000, v46
	v_pk_fma_f32 v[12:13], v[74:75], v[36:37], v[12:13] op_sel_hi:[1,0,1]
	v_dual_lshlrev_b32 v36, 16, v53 :: v_dual_lshlrev_b32 v32, 16, v46
	v_pk_fma_f32 v[14:15], v[18:19], v[34:35], v[14:15] op_sel_hi:[1,0,1]
	v_lshlrev_b32_e32 v18, 16, v48
	s_delay_alu instid0(VALU_DEP_4)
	v_pk_fma_f32 v[12:13], v[78:79], v[34:35], v[12:13] op_sel_hi:[1,0,1]
	v_and_b32_e32 v34, 0xffff0000, v53
	v_and_b32_e32 v19, 0xffff0000, v48
	v_pk_fma_f32 v[14:15], v[22:23], v[36:37], v[14:15] op_sel_hi:[1,0,1]
	v_lshlrev_b32_e32 v22, 16, v58
	v_pk_fma_f32 v[12:13], v[20:21], v[36:37], v[12:13] op_sel_hi:[1,0,1]
	v_and_b32_e32 v21, 0xffff0000, v43
	v_lshlrev_b32_e32 v20, 16, v43
	v_pk_fma_f32 v[14:15], v[26:27], v[34:35], v[14:15] op_sel_hi:[1,0,1]
	v_and_b32_e32 v26, 0xffff0000, v58
	v_pk_fma_f32 v[12:13], v[24:25], v[34:35], v[12:13] op_sel_hi:[1,0,1]
	v_and_b32_e32 v25, 0xffff0000, v45
	v_lshlrev_b32_e32 v24, 16, v45
	v_pk_fma_f32 v[14:15], v[20:21], v[22:23], v[14:15] op_sel_hi:[1,0,1]
	v_and_b32_e32 v21, 0xffff0000, v47
	v_pk_fma_f32 v[12:13], v[28:29], v[22:23], v[12:13] op_sel_hi:[1,0,1]
	v_lshlrev_b32_e32 v20, 16, v47
	v_lshlrev_b32_e32 v22, 16, v59
	v_pk_fma_f32 v[14:15], v[24:25], v[26:27], v[14:15] op_sel_hi:[1,0,1]
	v_and_b32_e32 v25, 0xffff0000, v49
	v_pk_fma_f32 v[12:13], v[30:31], v[26:27], v[12:13] op_sel_hi:[1,0,1]
	v_lshlrev_b32_e32 v24, 16, v49
	v_and_b32_e32 v26, 0xffff0000, v59
	v_pk_fma_f32 v[14:15], v[20:21], v[22:23], v[14:15] op_sel_hi:[1,0,1]
	s_delay_alu instid0(VALU_DEP_4) | instskip(NEXT) | instid1(VALU_DEP_2)
	v_pk_fma_f32 v[12:13], v[32:33], v[22:23], v[12:13] op_sel_hi:[1,0,1]
	v_pk_fma_f32 v[14:15], v[24:25], v[26:27], v[14:15] op_sel_hi:[1,0,1]
	s_delay_alu instid0(VALU_DEP_2)
	v_pk_fma_f32 v[12:13], v[18:19], v[26:27], v[12:13] op_sel_hi:[1,0,1]
	s_and_not1_b32 exec_lo, exec_lo, s6
	s_cbranch_execnz .LBB115_35
; %bb.36:
	s_or_b32 exec_lo, exec_lo, s6
.LBB115_37:
	s_delay_alu instid0(SALU_CYCLE_1)
	s_or_b32 exec_lo, exec_lo, s2
.LBB115_38:
	s_delay_alu instid0(SALU_CYCLE_1)
	s_or_b32 exec_lo, exec_lo, s3
.LBB115_39:
	v_mbcnt_lo_u32_b32 v1, -1, 0
	s_mov_b32 s2, -1
	s_delay_alu instid0(VALU_DEP_1) | instskip(SKIP_1) | instid1(VALU_DEP_1)
	v_xor_b32_e32 v8, 1, v1
	v_xor_b32_e32 v4, 2, v1
	v_cmp_gt_i32_e32 vcc_lo, 32, v4
	v_cndmask_b32_e32 v4, v1, v4, vcc_lo
	s_delay_alu instid0(VALU_DEP_4) | instskip(SKIP_2) | instid1(VALU_DEP_2)
	v_cmp_gt_i32_e32 vcc_lo, 32, v8
	v_cndmask_b32_e32 v1, v1, v8, vcc_lo
	v_cmp_eq_u32_e32 vcc_lo, 3, v0
	v_dual_lshlrev_b32 v1, 2, v1 :: v_dual_lshlrev_b32 v7, 2, v4
	ds_bpermute_b32 v4, v7, v12
	ds_bpermute_b32 v5, v7, v13
	;; [unrolled: 1-line block ×4, first 2 shown]
	s_wait_dscnt 0x2
	v_pk_add_f32 v[4:5], v[12:13], v[4:5]
	s_wait_dscnt 0x0
	v_pk_add_f32 v[8:9], v[14:15], v[6:7]
	ds_bpermute_b32 v6, v1, v4
	ds_bpermute_b32 v7, v1, v5
	;; [unrolled: 1-line block ×4, first 2 shown]
	s_and_b32 exec_lo, exec_lo, vcc_lo
	s_cbranch_execz .LBB115_10
; %bb.40:
	s_load_b64 s[0:1], s[0:1], 0x58
	s_wait_dscnt 0x2
	v_pk_add_f32 v[6:7], v[4:5], v[6:7]
	s_wait_dscnt 0x0
	v_pk_add_f32 v[4:5], v[8:9], v[10:11]
	s_cmp_eq_f32 s16, 0
	s_wait_kmcnt 0x0
	v_lshl_add_u64 v[0:1], v[2:3], 4, s[0:1]
	s_cbranch_scc0 .LBB115_42
; %bb.41:
	v_pk_mul_f32 v[8:9], s[12:13], v[6:7] op_sel_hi:[0,1]
	v_pk_mul_f32 v[10:11], s[12:13], v[4:5] op_sel_hi:[0,1]
	s_mov_b32 s2, 0
	global_store_b128 v[0:1], v[8:11], off
.LBB115_42:
	s_and_not1_b32 vcc_lo, exec_lo, s2
	s_cbranch_vccnz .LBB115_10
; %bb.43:
	global_load_b128 v[8:11], v[0:1], off
	v_pk_mul_f32 v[2:3], s[12:13], v[6:7] op_sel_hi:[0,1]
	v_pk_mul_f32 v[4:5], s[12:13], v[4:5] op_sel_hi:[0,1]
	s_wait_loadcnt 0x0
	s_delay_alu instid0(VALU_DEP_2) | instskip(NEXT) | instid1(VALU_DEP_2)
	v_pk_fma_f32 v[2:3], s[16:17], v[8:9], v[2:3] op_sel_hi:[0,1,1]
	v_pk_fma_f32 v[4:5], s[16:17], v[10:11], v[4:5] op_sel_hi:[0,1,1]
	global_store_b128 v[0:1], v[2:5], off
	s_sendmsg sendmsg(MSG_DEALLOC_VGPRS)
	s_endpgm
	.section	.rodata,"a",@progbits
	.p2align	6, 0x0
	.amdhsa_kernel _ZN9rocsparseL18bsrxmvn_4x4_kernelILj128ELj4Efll18rocsparse_bfloat16S1_fEEvT3_20rocsparse_direction_NS_24const_host_device_scalarIT1_EES2_PKS2_PKT2_SB_S8_PKT4_PKT5_S6_PT6_21rocsparse_index_base_b
		.amdhsa_group_segment_fixed_size 0
		.amdhsa_private_segment_fixed_size 0
		.amdhsa_kernarg_size 104
		.amdhsa_user_sgpr_count 2
		.amdhsa_user_sgpr_dispatch_ptr 0
		.amdhsa_user_sgpr_queue_ptr 0
		.amdhsa_user_sgpr_kernarg_segment_ptr 1
		.amdhsa_user_sgpr_dispatch_id 0
		.amdhsa_user_sgpr_kernarg_preload_length 0
		.amdhsa_user_sgpr_kernarg_preload_offset 0
		.amdhsa_user_sgpr_private_segment_size 0
		.amdhsa_wavefront_size32 1
		.amdhsa_uses_dynamic_stack 0
		.amdhsa_enable_private_segment 0
		.amdhsa_system_sgpr_workgroup_id_x 1
		.amdhsa_system_sgpr_workgroup_id_y 0
		.amdhsa_system_sgpr_workgroup_id_z 0
		.amdhsa_system_sgpr_workgroup_info 0
		.amdhsa_system_vgpr_workitem_id 0
		.amdhsa_next_free_vgpr 86
		.amdhsa_next_free_sgpr 18
		.amdhsa_named_barrier_count 0
		.amdhsa_reserve_vcc 1
		.amdhsa_float_round_mode_32 0
		.amdhsa_float_round_mode_16_64 0
		.amdhsa_float_denorm_mode_32 3
		.amdhsa_float_denorm_mode_16_64 3
		.amdhsa_fp16_overflow 0
		.amdhsa_memory_ordered 1
		.amdhsa_forward_progress 1
		.amdhsa_inst_pref_size 35
		.amdhsa_round_robin_scheduling 0
		.amdhsa_exception_fp_ieee_invalid_op 0
		.amdhsa_exception_fp_denorm_src 0
		.amdhsa_exception_fp_ieee_div_zero 0
		.amdhsa_exception_fp_ieee_overflow 0
		.amdhsa_exception_fp_ieee_underflow 0
		.amdhsa_exception_fp_ieee_inexact 0
		.amdhsa_exception_int_div_zero 0
	.end_amdhsa_kernel
	.section	.text._ZN9rocsparseL18bsrxmvn_4x4_kernelILj128ELj4Efll18rocsparse_bfloat16S1_fEEvT3_20rocsparse_direction_NS_24const_host_device_scalarIT1_EES2_PKS2_PKT2_SB_S8_PKT4_PKT5_S6_PT6_21rocsparse_index_base_b,"axG",@progbits,_ZN9rocsparseL18bsrxmvn_4x4_kernelILj128ELj4Efll18rocsparse_bfloat16S1_fEEvT3_20rocsparse_direction_NS_24const_host_device_scalarIT1_EES2_PKS2_PKT2_SB_S8_PKT4_PKT5_S6_PT6_21rocsparse_index_base_b,comdat
.Lfunc_end115:
	.size	_ZN9rocsparseL18bsrxmvn_4x4_kernelILj128ELj4Efll18rocsparse_bfloat16S1_fEEvT3_20rocsparse_direction_NS_24const_host_device_scalarIT1_EES2_PKS2_PKT2_SB_S8_PKT4_PKT5_S6_PT6_21rocsparse_index_base_b, .Lfunc_end115-_ZN9rocsparseL18bsrxmvn_4x4_kernelILj128ELj4Efll18rocsparse_bfloat16S1_fEEvT3_20rocsparse_direction_NS_24const_host_device_scalarIT1_EES2_PKS2_PKT2_SB_S8_PKT4_PKT5_S6_PT6_21rocsparse_index_base_b
                                        ; -- End function
	.set _ZN9rocsparseL18bsrxmvn_4x4_kernelILj128ELj4Efll18rocsparse_bfloat16S1_fEEvT3_20rocsparse_direction_NS_24const_host_device_scalarIT1_EES2_PKS2_PKT2_SB_S8_PKT4_PKT5_S6_PT6_21rocsparse_index_base_b.num_vgpr, 86
	.set _ZN9rocsparseL18bsrxmvn_4x4_kernelILj128ELj4Efll18rocsparse_bfloat16S1_fEEvT3_20rocsparse_direction_NS_24const_host_device_scalarIT1_EES2_PKS2_PKT2_SB_S8_PKT4_PKT5_S6_PT6_21rocsparse_index_base_b.num_agpr, 0
	.set _ZN9rocsparseL18bsrxmvn_4x4_kernelILj128ELj4Efll18rocsparse_bfloat16S1_fEEvT3_20rocsparse_direction_NS_24const_host_device_scalarIT1_EES2_PKS2_PKT2_SB_S8_PKT4_PKT5_S6_PT6_21rocsparse_index_base_b.numbered_sgpr, 18
	.set _ZN9rocsparseL18bsrxmvn_4x4_kernelILj128ELj4Efll18rocsparse_bfloat16S1_fEEvT3_20rocsparse_direction_NS_24const_host_device_scalarIT1_EES2_PKS2_PKT2_SB_S8_PKT4_PKT5_S6_PT6_21rocsparse_index_base_b.num_named_barrier, 0
	.set _ZN9rocsparseL18bsrxmvn_4x4_kernelILj128ELj4Efll18rocsparse_bfloat16S1_fEEvT3_20rocsparse_direction_NS_24const_host_device_scalarIT1_EES2_PKS2_PKT2_SB_S8_PKT4_PKT5_S6_PT6_21rocsparse_index_base_b.private_seg_size, 0
	.set _ZN9rocsparseL18bsrxmvn_4x4_kernelILj128ELj4Efll18rocsparse_bfloat16S1_fEEvT3_20rocsparse_direction_NS_24const_host_device_scalarIT1_EES2_PKS2_PKT2_SB_S8_PKT4_PKT5_S6_PT6_21rocsparse_index_base_b.uses_vcc, 1
	.set _ZN9rocsparseL18bsrxmvn_4x4_kernelILj128ELj4Efll18rocsparse_bfloat16S1_fEEvT3_20rocsparse_direction_NS_24const_host_device_scalarIT1_EES2_PKS2_PKT2_SB_S8_PKT4_PKT5_S6_PT6_21rocsparse_index_base_b.uses_flat_scratch, 0
	.set _ZN9rocsparseL18bsrxmvn_4x4_kernelILj128ELj4Efll18rocsparse_bfloat16S1_fEEvT3_20rocsparse_direction_NS_24const_host_device_scalarIT1_EES2_PKS2_PKT2_SB_S8_PKT4_PKT5_S6_PT6_21rocsparse_index_base_b.has_dyn_sized_stack, 0
	.set _ZN9rocsparseL18bsrxmvn_4x4_kernelILj128ELj4Efll18rocsparse_bfloat16S1_fEEvT3_20rocsparse_direction_NS_24const_host_device_scalarIT1_EES2_PKS2_PKT2_SB_S8_PKT4_PKT5_S6_PT6_21rocsparse_index_base_b.has_recursion, 0
	.set _ZN9rocsparseL18bsrxmvn_4x4_kernelILj128ELj4Efll18rocsparse_bfloat16S1_fEEvT3_20rocsparse_direction_NS_24const_host_device_scalarIT1_EES2_PKS2_PKT2_SB_S8_PKT4_PKT5_S6_PT6_21rocsparse_index_base_b.has_indirect_call, 0
	.section	.AMDGPU.csdata,"",@progbits
; Kernel info:
; codeLenInByte = 4376
; TotalNumSgprs: 20
; NumVgprs: 86
; ScratchSize: 0
; MemoryBound: 0
; FloatMode: 240
; IeeeMode: 1
; LDSByteSize: 0 bytes/workgroup (compile time only)
; SGPRBlocks: 0
; VGPRBlocks: 5
; NumSGPRsForWavesPerEU: 20
; NumVGPRsForWavesPerEU: 86
; NamedBarCnt: 0
; Occupancy: 10
; WaveLimiterHint : 1
; COMPUTE_PGM_RSRC2:SCRATCH_EN: 0
; COMPUTE_PGM_RSRC2:USER_SGPR: 2
; COMPUTE_PGM_RSRC2:TRAP_HANDLER: 0
; COMPUTE_PGM_RSRC2:TGID_X_EN: 1
; COMPUTE_PGM_RSRC2:TGID_Y_EN: 0
; COMPUTE_PGM_RSRC2:TGID_Z_EN: 0
; COMPUTE_PGM_RSRC2:TIDIG_COMP_CNT: 0
	.section	.text._ZN9rocsparseL18bsrxmvn_4x4_kernelILj128ELj8Efll18rocsparse_bfloat16S1_fEEvT3_20rocsparse_direction_NS_24const_host_device_scalarIT1_EES2_PKS2_PKT2_SB_S8_PKT4_PKT5_S6_PT6_21rocsparse_index_base_b,"axG",@progbits,_ZN9rocsparseL18bsrxmvn_4x4_kernelILj128ELj8Efll18rocsparse_bfloat16S1_fEEvT3_20rocsparse_direction_NS_24const_host_device_scalarIT1_EES2_PKS2_PKT2_SB_S8_PKT4_PKT5_S6_PT6_21rocsparse_index_base_b,comdat
	.globl	_ZN9rocsparseL18bsrxmvn_4x4_kernelILj128ELj8Efll18rocsparse_bfloat16S1_fEEvT3_20rocsparse_direction_NS_24const_host_device_scalarIT1_EES2_PKS2_PKT2_SB_S8_PKT4_PKT5_S6_PT6_21rocsparse_index_base_b ; -- Begin function _ZN9rocsparseL18bsrxmvn_4x4_kernelILj128ELj8Efll18rocsparse_bfloat16S1_fEEvT3_20rocsparse_direction_NS_24const_host_device_scalarIT1_EES2_PKS2_PKT2_SB_S8_PKT4_PKT5_S6_PT6_21rocsparse_index_base_b
	.p2align	8
	.type	_ZN9rocsparseL18bsrxmvn_4x4_kernelILj128ELj8Efll18rocsparse_bfloat16S1_fEEvT3_20rocsparse_direction_NS_24const_host_device_scalarIT1_EES2_PKS2_PKT2_SB_S8_PKT4_PKT5_S6_PT6_21rocsparse_index_base_b,@function
_ZN9rocsparseL18bsrxmvn_4x4_kernelILj128ELj8Efll18rocsparse_bfloat16S1_fEEvT3_20rocsparse_direction_NS_24const_host_device_scalarIT1_EES2_PKS2_PKT2_SB_S8_PKT4_PKT5_S6_PT6_21rocsparse_index_base_b: ; @_ZN9rocsparseL18bsrxmvn_4x4_kernelILj128ELj8Efll18rocsparse_bfloat16S1_fEEvT3_20rocsparse_direction_NS_24const_host_device_scalarIT1_EES2_PKS2_PKT2_SB_S8_PKT4_PKT5_S6_PT6_21rocsparse_index_base_b
; %bb.0:
	s_clause 0x2
	s_load_b64 s[2:3], s[0:1], 0x60
	s_load_b128 s[12:15], s[0:1], 0x10
	s_load_b64 s[16:17], s[0:1], 0x50
	s_wait_kmcnt 0x0
	s_bitcmp1_b32 s3, 0
	s_cselect_b32 s3, -1, 0
	s_delay_alu instid0(SALU_CYCLE_1)
	s_and_b32 vcc_lo, exec_lo, s3
	s_xor_b32 s3, s3, -1
	s_cbranch_vccnz .LBB116_2
; %bb.1:
	s_load_b32 s12, s[12:13], 0x0
.LBB116_2:
	s_and_not1_b32 vcc_lo, exec_lo, s3
	s_cbranch_vccnz .LBB116_4
; %bb.3:
	s_load_b32 s16, s[16:17], 0x0
.LBB116_4:
	s_wait_kmcnt 0x0
	s_cmp_neq_f32 s12, 0
	s_mov_b32 s6, 0
	s_cselect_b32 s3, -1, 0
	s_cmp_neq_f32 s16, 1.0
	s_cselect_b32 s4, -1, 0
	s_delay_alu instid0(SALU_CYCLE_1) | instskip(NEXT) | instid1(SALU_CYCLE_1)
	s_or_b32 s3, s3, s4
	s_and_not1_b32 vcc_lo, exec_lo, s3
	s_cbranch_vccnz .LBB116_10
; %bb.5:
	s_load_b64 s[4:5], s[0:1], 0x20
	s_bfe_u32 s3, ttmp6, 0x4000c
	s_and_b32 s7, ttmp6, 15
	s_add_co_i32 s3, s3, 1
	s_getreg_b32 s8, hwreg(HW_REG_IB_STS2, 6, 4)
	s_mul_i32 s3, ttmp9, s3
	v_dual_lshrrev_b32 v1, 3, v0 :: v_dual_mov_b32 v7, 0
	s_add_co_i32 s7, s7, s3
	s_cmp_eq_u32 s8, 0
	s_cselect_b32 s3, ttmp9, s7
	s_delay_alu instid0(VALU_DEP_1) | instid1(SALU_CYCLE_1)
	v_lshl_or_b32 v6, s3, 4, v1
	s_wait_kmcnt 0x0
	s_cmp_lg_u64 s[4:5], 0
	s_cbranch_scc0 .LBB116_11
; %bb.6:
	s_mov_b32 s7, 0
                                        ; implicit-def: $vgpr2_vgpr3
                                        ; implicit-def: $vgpr4_vgpr5
	s_mov_b32 s3, exec_lo
	v_cmpx_gt_i64_e64 s[14:15], v[6:7]
	s_xor_b32 s8, exec_lo, s3
	s_cbranch_execz .LBB116_8
; %bb.7:
	v_lshl_add_u64 v[2:3], v[6:7], 3, s[4:5]
	s_mov_b32 s3, 0
	s_mov_b32 s6, exec_lo
	v_mov_b64_e32 v[4:5], s[2:3]
	global_load_b64 v[2:3], v[2:3], off
	s_wait_loadcnt 0x0
	v_sub_nc_u64_e64 v[2:3], v[2:3], s[2:3]
.LBB116_8:
	s_or_b32 exec_lo, exec_lo, s8
	s_delay_alu instid0(SALU_CYCLE_1)
	s_and_b32 vcc_lo, exec_lo, s7
	s_cbranch_vccnz .LBB116_12
.LBB116_9:
	s_and_saveexec_b32 s2, s6
	s_cbranch_execnz .LBB116_15
.LBB116_10:
	s_sendmsg sendmsg(MSG_DEALLOC_VGPRS)
	s_endpgm
.LBB116_11:
                                        ; implicit-def: $vgpr2_vgpr3
                                        ; implicit-def: $vgpr4_vgpr5
	s_cbranch_execz .LBB116_9
.LBB116_12:
	s_load_b64 s[4:5], s[0:1], 0x0
	s_wait_kmcnt 0x0
	v_cmp_gt_i64_e32 vcc_lo, s[4:5], v[6:7]
	s_and_saveexec_b32 s4, vcc_lo
; %bb.13:
	s_mov_b32 s3, 0
	s_or_b32 s6, s6, exec_lo
; %bb.14:
	s_or_b32 exec_lo, exec_lo, s4
	v_mov_b64_e32 v[4:5], s[2:3]
	v_mov_b64_e32 v[2:3], v[6:7]
	s_and_saveexec_b32 s2, s6
	s_cbranch_execz .LBB116_10
.LBB116_15:
	s_load_b256 s[4:11], s[0:1], 0x28
	s_delay_alu instid0(VALU_DEP_1) | instskip(SKIP_3) | instid1(VALU_DEP_2)
	v_lshlrev_b64_e32 v[6:7], 3, v[2:3]
	v_dual_mov_b32 v1, 0 :: v_dual_bitop2_b32 v0, 7, v0 bitop3:0x40
	s_load_b32 s3, s[0:1], 0x8
	s_wait_kmcnt 0x0
	v_add_nc_u64_e32 v[8:9], s[4:5], v[6:7]
	v_add_nc_u64_e32 v[6:7], s[6:7], v[6:7]
	s_cmp_eq_u64 s[6:7], 0
	s_load_b64 s[4:5], s[0:1], 0x48
	s_cselect_b32 vcc_lo, -1, 0
	s_cmp_eq_u32 s3, 1
	global_load_b64 v[16:17], v[8:9], off
	s_wait_xcnt 0x0
	v_add_nc_u64_e32 v[8:9], 8, v[8:9]
	s_delay_alu instid0(VALU_DEP_1) | instskip(SKIP_4) | instid1(VALU_DEP_1)
	v_dual_cndmask_b32 v7, v7, v9 :: v_dual_cndmask_b32 v6, v6, v8
	global_load_b64 v[8:9], v[6:7], off
	s_wait_loadcnt 0x1
	s_wait_xcnt 0x0
	v_sub_nc_u64_e32 v[6:7], v[16:17], v[4:5]
	v_add_nc_u64_e32 v[6:7], v[6:7], v[0:1]
	s_wait_loadcnt 0x0
	v_sub_nc_u64_e32 v[8:9], v[8:9], v[4:5]
	s_delay_alu instid0(VALU_DEP_2) | instskip(NEXT) | instid1(VALU_DEP_2)
	v_lshlrev_b64_e32 v[10:11], 5, v[6:7]
	v_cmp_lt_i64_e64 s2, v[6:7], v[8:9]
	s_delay_alu instid0(VALU_DEP_2)
	v_add_nc_u64_e32 v[10:11], s[10:11], v[10:11]
	s_cbranch_scc1 .LBB116_27
; %bb.16:
	v_dual_mov_b32 v13, v1 :: v_dual_mov_b32 v12, v1
	v_dual_mov_b32 v15, v1 :: v_dual_mov_b32 v14, v1
	s_and_saveexec_b32 s3, s2
	s_cbranch_execz .LBB116_26
; %bb.17:
	v_dual_mov_b32 v13, v1 :: v_dual_bitop2_b32 v12, 8, v0 bitop3:0x54
	v_sub_nc_u64_e32 v[14:15], v[4:5], v[0:1]
	v_not_b32_e32 v19, v17
	v_not_b32_e32 v18, v16
	v_mov_b64_e32 v[20:21], v[10:11]
	v_sub_nc_u64_e32 v[12:13], v[12:13], v[4:5]
	s_delay_alu instid0(VALU_DEP_3) | instskip(SKIP_1) | instid1(VALU_DEP_3)
	v_add_nc_u64_e32 v[14:15], v[14:15], v[18:19]
	v_mov_b64_e32 v[18:19], v[6:7]
	v_add_nc_u64_e32 v[12:13], v[12:13], v[16:17]
	s_delay_alu instid0(VALU_DEP_1) | instskip(NEXT) | instid1(VALU_DEP_1)
	v_max_i64 v[12:13], v[12:13], v[8:9]
	v_add_nc_u64_e32 v[22:23], v[14:15], v[12:13]
	s_delay_alu instid0(VALU_DEP_1) | instskip(NEXT) | instid1(VALU_DEP_1)
	v_dual_mov_b32 v15, 0 :: v_dual_bitop2_b32 v14, 24, v22 bitop3:0x40
	v_dual_mov_b32 v12, v15 :: v_dual_mov_b32 v13, v15
	s_delay_alu instid0(VALU_DEP_2)
	v_cmp_ne_u64_e32 vcc_lo, 24, v[14:15]
	v_mov_b32_e32 v14, v15
	s_and_saveexec_b32 s6, vcc_lo
	s_cbranch_execz .LBB116_21
; %bb.18:
	v_dual_mov_b32 v13, 0 :: v_dual_lshrrev_b32 v12, 3, v22
	v_mov_b64_e32 v[20:21], v[10:11]
	v_mov_b64_e32 v[18:19], v[6:7]
	v_lshl_add_u64 v[24:25], v[6:7], 3, s[8:9]
	s_delay_alu instid0(VALU_DEP_4) | instskip(SKIP_1) | instid1(VALU_DEP_1)
	v_dual_mov_b32 v15, v13 :: v_dual_add_nc_u32 v12, 1, v12
	s_mov_b32 s7, 0
	v_dual_mov_b32 v14, v13 :: v_dual_bitop2_b32 v12, 3, v12 bitop3:0x40
	s_delay_alu instid0(VALU_DEP_1)
	v_sub_nc_u64_e32 v[26:27], 0, v[12:13]
	v_mov_b32_e32 v12, v13
.LBB116_19:                             ; =>This Inner Loop Header: Depth=1
	global_load_b64 v[28:29], v[24:25], off
	v_add_nc_u64_e32 v[26:27], 1, v[26:27]
	v_add_nc_u64_e32 v[18:19], 8, v[18:19]
	s_wait_xcnt 0x0
	v_add_nc_u64_e32 v[24:25], 64, v[24:25]
	s_delay_alu instid0(VALU_DEP_3) | instskip(SKIP_4) | instid1(VALU_DEP_1)
	v_cmp_eq_u64_e32 vcc_lo, 0, v[26:27]
	s_or_b32 s7, vcc_lo, s7
	s_wait_loadcnt 0x0
	v_sub_nc_u64_e32 v[28:29], v[28:29], v[4:5]
	s_wait_kmcnt 0x0
	v_lshl_add_u64 v[36:37], v[28:29], 3, s[4:5]
	s_clause 0x1
	global_load_b128 v[28:31], v[20:21], off
	global_load_b128 v[32:35], v[20:21], off offset:16
	global_load_b64 v[38:39], v[36:37], off
	s_wait_xcnt 0x1
	v_add_nc_u64_e32 v[20:21], 0x100, v[20:21]
	s_wait_loadcnt 0x2
	s_wait_xcnt 0x0
	v_and_b32_e32 v36, 0xffff0000, v28
	v_dual_lshlrev_b32 v41, 16, v30 :: v_dual_lshlrev_b32 v40, 16, v28
	v_and_b32_e32 v37, 0xffff0000, v30
	v_dual_lshlrev_b32 v43, 16, v31 :: v_dual_lshlrev_b32 v42, 16, v29
	v_and_b32_e32 v30, 0xffff0000, v29
	s_wait_loadcnt 0x1
	v_dual_lshlrev_b32 v29, 16, v34 :: v_dual_lshlrev_b32 v28, 16, v32
	s_wait_loadcnt 0x0
	v_lshlrev_b32_e32 v44, 16, v38
	v_and_b32_e32 v46, 0xffff0000, v32
	v_and_b32_e32 v47, 0xffff0000, v34
	;; [unrolled: 1-line block ×3, first 2 shown]
	v_lshlrev_b32_e32 v34, 16, v39
	v_pk_fma_f32 v[12:13], v[28:29], v[44:45], v[12:13] op_sel_hi:[1,0,1]
	v_lshlrev_b32_e32 v29, 16, v35
	v_pk_fma_f32 v[14:15], v[40:41], v[44:45], v[14:15] op_sel_hi:[1,0,1]
	v_lshlrev_b32_e32 v28, 16, v33
	v_and_b32_e32 v31, 0xffff0000, v31
	v_pk_fma_f32 v[12:13], v[46:47], v[32:33], v[12:13] op_sel_hi:[1,0,1]
	s_delay_alu instid0(VALU_DEP_4)
	v_pk_fma_f32 v[14:15], v[36:37], v[32:33], v[14:15] op_sel_hi:[1,0,1]
	v_and_b32_e32 v37, 0xffff0000, v35
	v_and_b32_e32 v36, 0xffff0000, v33
	;; [unrolled: 1-line block ×3, first 2 shown]
	v_pk_fma_f32 v[12:13], v[28:29], v[34:35], v[12:13] op_sel_hi:[1,0,1]
	v_pk_fma_f32 v[14:15], v[42:43], v[34:35], v[14:15] op_sel_hi:[1,0,1]
	s_delay_alu instid0(VALU_DEP_2) | instskip(NEXT) | instid1(VALU_DEP_2)
	v_pk_fma_f32 v[12:13], v[36:37], v[32:33], v[12:13] op_sel_hi:[1,0,1]
	v_pk_fma_f32 v[14:15], v[30:31], v[32:33], v[14:15] op_sel_hi:[1,0,1]
	s_and_not1_b32 exec_lo, exec_lo, s7
	s_cbranch_execnz .LBB116_19
; %bb.20:
	s_or_b32 exec_lo, exec_lo, s7
.LBB116_21:
	s_delay_alu instid0(SALU_CYCLE_1) | instskip(NEXT) | instid1(SALU_CYCLE_1)
	s_or_b32 exec_lo, exec_lo, s6
	s_mov_b32 s6, exec_lo
	v_cmpx_lt_u64_e32 23, v[22:23]
	s_cbranch_execz .LBB116_25
; %bb.22:
	v_lshl_add_u64 v[22:23], v[18:19], 3, s[8:9]
	s_mov_b32 s7, 0
	s_delay_alu instid0(VALU_DEP_1)
	v_add_nc_u64_e32 v[22:23], 0x80, v[22:23]
.LBB116_23:                             ; =>This Inner Loop Header: Depth=1
	s_clause 0x3
	global_load_b64 v[40:41], v[22:23], off offset:-128
	global_load_b64 v[42:43], v[22:23], off offset:-64
	global_load_b64 v[48:49], v[22:23], off
	global_load_b64 v[50:51], v[22:23], off offset:64
	s_clause 0x3
	global_load_b128 v[24:27], v[20:21], off
	global_load_b128 v[28:31], v[20:21], off offset:16
	global_load_b128 v[32:35], v[20:21], off offset:256
	;; [unrolled: 1-line block ×3, first 2 shown]
	v_add_nc_u64_e32 v[18:19], 32, v[18:19]
	s_wait_xcnt 0x4
	v_add_nc_u64_e32 v[22:23], 0x100, v[22:23]
	s_delay_alu instid0(VALU_DEP_2)
	v_cmp_ge_i64_e32 vcc_lo, v[18:19], v[8:9]
	s_or_b32 s7, vcc_lo, s7
	s_wait_loadcnt 0x7
	v_sub_nc_u64_e32 v[40:41], v[40:41], v[4:5]
	s_wait_loadcnt 0x6
	v_sub_nc_u64_e32 v[44:45], v[42:43], v[4:5]
	;; [unrolled: 2-line block ×3, first 2 shown]
	s_wait_loadcnt 0x3
	v_dual_lshlrev_b32 v67, 16, v26 :: v_dual_lshlrev_b32 v66, 16, v24
	s_wait_loadcnt 0x2
	v_dual_lshlrev_b32 v71, 16, v30 :: v_dual_lshlrev_b32 v70, 16, v28
	s_wait_kmcnt 0x0
	v_lshl_add_u64 v[46:47], v[40:41], 3, s[4:5]
	v_lshl_add_u64 v[52:53], v[44:45], 3, s[4:5]
	;; [unrolled: 1-line block ×3, first 2 shown]
	v_and_b32_e32 v68, 0xffff0000, v28
	global_load_b64 v[56:57], v[46:47], off
	global_load_b128 v[40:43], v[20:21], off offset:272
	global_load_b64 v[58:59], v[52:53], off
	global_load_b128 v[44:47], v[20:21], off offset:528
	s_wait_xcnt 0x1
	v_sub_nc_u64_e32 v[52:53], v[50:51], v[4:5]
	global_load_b64 v[60:61], v[54:55], off
	global_load_b128 v[48:51], v[20:21], off offset:768
	v_and_b32_e32 v69, 0xffff0000, v30
	v_dual_lshlrev_b32 v73, 16, v27 :: v_dual_lshlrev_b32 v72, 16, v25
	s_wait_loadcnt 0x7
	v_and_b32_e32 v75, 0xffff0000, v34
	v_and_b32_e32 v74, 0xffff0000, v32
	v_lshl_add_u64 v[62:63], v[52:53], 3, s[4:5]
	v_dual_lshlrev_b32 v77, 16, v35 :: v_dual_lshlrev_b32 v76, 16, v33
	global_load_b128 v[52:55], v[20:21], off offset:784
	global_load_b64 v[64:65], v[62:63], off
	s_wait_xcnt 0x0
	v_and_b32_e32 v62, 0xffff0000, v24
	v_and_b32_e32 v63, 0xffff0000, v26
	;; [unrolled: 1-line block ×3, first 2 shown]
	v_dual_lshlrev_b32 v25, 16, v34 :: v_dual_lshlrev_b32 v24, 16, v32
	v_and_b32_e32 v34, 0xffff0000, v33
	s_wait_loadcnt 0x8
	v_dual_lshlrev_b32 v33, 16, v38 :: v_dual_lshlrev_b32 v32, 16, v36
	v_and_b32_e32 v79, 0xffff0000, v38
	v_and_b32_e32 v78, 0xffff0000, v36
	v_dual_lshlrev_b32 v81, 16, v39 :: v_dual_lshlrev_b32 v80, 16, v37
	v_and_b32_e32 v38, 0xffff0000, v37
	v_dual_lshlrev_b32 v37, 16, v31 :: v_dual_lshlrev_b32 v36, 16, v29
	v_and_b32_e32 v30, 0xffff0000, v29
	v_and_b32_e32 v27, 0xffff0000, v27
	;; [unrolled: 1-line block ×5, first 2 shown]
	v_add_nc_u64_e32 v[20:21], 0x400, v[20:21]
	s_wait_loadcnt 0x6
	v_dual_lshlrev_b32 v82, 16, v56 :: v_dual_lshlrev_b32 v29, 16, v42
	v_lshlrev_b32_e32 v28, 16, v40
	v_and_b32_e32 v84, 0xffff0000, v40
	v_and_b32_e32 v40, 0xffff0000, v56
	s_delay_alu instid0(VALU_DEP_4)
	v_pk_fma_f32 v[14:15], v[66:67], v[82:83], v[14:15] op_sel_hi:[1,0,1]
	v_lshlrev_b32_e32 v67, 16, v43
	v_pk_fma_f32 v[12:13], v[70:71], v[82:83], v[12:13] op_sel_hi:[1,0,1]
	v_and_b32_e32 v85, 0xffff0000, v42
	v_lshlrev_b32_e32 v42, 16, v57
	v_pk_fma_f32 v[14:15], v[62:63], v[40:41], v[14:15] op_sel_hi:[1,0,1]
	v_lshlrev_b32_e32 v66, 16, v41
	v_pk_fma_f32 v[12:13], v[68:69], v[40:41], v[12:13] op_sel_hi:[1,0,1]
	v_and_b32_e32 v40, 0xffff0000, v57
	v_and_b32_e32 v63, 0xffff0000, v43
	v_and_b32_e32 v62, 0xffff0000, v41
	s_delay_alu instid0(VALU_DEP_4)
	v_pk_fma_f32 v[12:13], v[36:37], v[42:43], v[12:13] op_sel_hi:[1,0,1]
	s_wait_loadcnt 0x4
	v_lshlrev_b32_e32 v36, 16, v44
	v_pk_fma_f32 v[14:15], v[72:73], v[42:43], v[14:15] op_sel_hi:[1,0,1]
	v_lshlrev_b32_e32 v42, 16, v58
	v_lshlrev_b32_e32 v37, 16, v46
	v_pk_fma_f32 v[12:13], v[30:31], v[40:41], v[12:13] op_sel_hi:[1,0,1]
	v_and_b32_e32 v30, 0xffff0000, v58
	v_pk_fma_f32 v[14:15], v[26:27], v[40:41], v[14:15] op_sel_hi:[1,0,1]
	v_and_b32_e32 v40, 0xffff0000, v59
	v_and_b32_e32 v27, 0xffff0000, v46
	;; [unrolled: 1-line block ×3, first 2 shown]
	s_delay_alu instid0(VALU_DEP_4) | instskip(SKIP_3) | instid1(VALU_DEP_4)
	v_pk_fma_f32 v[14:15], v[24:25], v[42:43], v[14:15] op_sel_hi:[1,0,1]
	v_lshlrev_b32_e32 v25, 16, v47
	v_pk_fma_f32 v[12:13], v[28:29], v[42:43], v[12:13] op_sel_hi:[1,0,1]
	v_dual_lshlrev_b32 v24, 16, v45 :: v_dual_lshlrev_b32 v28, 16, v59
	v_pk_fma_f32 v[14:15], v[74:75], v[30:31], v[14:15] op_sel_hi:[1,0,1]
	s_wait_loadcnt 0x3
	v_lshlrev_b32_e32 v42, 16, v60
	v_pk_fma_f32 v[12:13], v[84:85], v[30:31], v[12:13] op_sel_hi:[1,0,1]
	v_and_b32_e32 v31, 0xffff0000, v47
	v_and_b32_e32 v30, 0xffff0000, v45
	v_pk_fma_f32 v[14:15], v[76:77], v[28:29], v[14:15] op_sel_hi:[1,0,1]
	s_delay_alu instid0(VALU_DEP_4) | instskip(SKIP_2) | instid1(VALU_DEP_3)
	v_pk_fma_f32 v[12:13], v[66:67], v[28:29], v[12:13] op_sel_hi:[1,0,1]
	s_wait_loadcnt 0x2
	v_dual_lshlrev_b32 v28, 16, v48 :: v_dual_lshlrev_b32 v29, 16, v50
	v_pk_fma_f32 v[14:15], v[34:35], v[40:41], v[14:15] op_sel_hi:[1,0,1]
	v_and_b32_e32 v35, 0xffff0000, v50
	v_pk_fma_f32 v[12:13], v[62:63], v[40:41], v[12:13] op_sel_hi:[1,0,1]
	v_and_b32_e32 v40, 0xffff0000, v60
	v_and_b32_e32 v34, 0xffff0000, v48
	v_pk_fma_f32 v[14:15], v[32:33], v[42:43], v[14:15] op_sel_hi:[1,0,1]
	v_lshlrev_b32_e32 v33, 16, v51
	v_pk_fma_f32 v[12:13], v[36:37], v[42:43], v[12:13] op_sel_hi:[1,0,1]
	v_lshlrev_b32_e32 v36, 16, v61
	v_lshlrev_b32_e32 v32, 16, v49
	v_pk_fma_f32 v[14:15], v[78:79], v[40:41], v[14:15] op_sel_hi:[1,0,1]
	s_delay_alu instid0(VALU_DEP_4) | instskip(SKIP_3) | instid1(VALU_DEP_4)
	v_pk_fma_f32 v[12:13], v[26:27], v[40:41], v[12:13] op_sel_hi:[1,0,1]
	v_and_b32_e32 v40, 0xffff0000, v61
	v_and_b32_e32 v27, 0xffff0000, v51
	;; [unrolled: 1-line block ×3, first 2 shown]
	v_pk_fma_f32 v[12:13], v[24:25], v[36:37], v[12:13] op_sel_hi:[1,0,1]
	s_wait_loadcnt 0x1
	v_lshlrev_b32_e32 v25, 16, v54
	v_pk_fma_f32 v[14:15], v[80:81], v[36:37], v[14:15] op_sel_hi:[1,0,1]
	v_lshlrev_b32_e32 v24, 16, v52
	s_wait_loadcnt 0x0
	v_lshlrev_b32_e32 v36, 16, v64
	v_pk_fma_f32 v[12:13], v[30:31], v[40:41], v[12:13] op_sel_hi:[1,0,1]
	v_and_b32_e32 v31, 0xffff0000, v54
	v_pk_fma_f32 v[14:15], v[38:39], v[40:41], v[14:15] op_sel_hi:[1,0,1]
	v_and_b32_e32 v30, 0xffff0000, v52
	v_and_b32_e32 v38, 0xffff0000, v64
	v_pk_fma_f32 v[12:13], v[24:25], v[36:37], v[12:13] op_sel_hi:[1,0,1]
	v_lshlrev_b32_e32 v25, 16, v55
	v_pk_fma_f32 v[14:15], v[28:29], v[36:37], v[14:15] op_sel_hi:[1,0,1]
	v_lshlrev_b32_e32 v24, 16, v53
	v_lshlrev_b32_e32 v28, 16, v65
	v_pk_fma_f32 v[12:13], v[30:31], v[38:39], v[12:13] op_sel_hi:[1,0,1]
	v_and_b32_e32 v31, 0xffff0000, v55
	v_pk_fma_f32 v[14:15], v[34:35], v[38:39], v[14:15] op_sel_hi:[1,0,1]
	v_and_b32_e32 v30, 0xffff0000, v53
	v_and_b32_e32 v34, 0xffff0000, v65
	v_pk_fma_f32 v[12:13], v[24:25], v[28:29], v[12:13] op_sel_hi:[1,0,1]
	s_delay_alu instid0(VALU_DEP_4) | instskip(NEXT) | instid1(VALU_DEP_2)
	v_pk_fma_f32 v[14:15], v[32:33], v[28:29], v[14:15] op_sel_hi:[1,0,1]
	v_pk_fma_f32 v[12:13], v[30:31], v[34:35], v[12:13] op_sel_hi:[1,0,1]
	s_delay_alu instid0(VALU_DEP_2)
	v_pk_fma_f32 v[14:15], v[26:27], v[34:35], v[14:15] op_sel_hi:[1,0,1]
	s_and_not1_b32 exec_lo, exec_lo, s7
	s_cbranch_execnz .LBB116_23
; %bb.24:
	s_or_b32 exec_lo, exec_lo, s7
.LBB116_25:
	s_delay_alu instid0(SALU_CYCLE_1)
	s_or_b32 exec_lo, exec_lo, s6
.LBB116_26:
	s_delay_alu instid0(SALU_CYCLE_1)
	s_or_b32 exec_lo, exec_lo, s3
	s_cbranch_execz .LBB116_28
	s_branch .LBB116_39
.LBB116_27:
                                        ; implicit-def: $vgpr13
                                        ; implicit-def: $vgpr15
.LBB116_28:
	v_dual_mov_b32 v13, 0 :: v_dual_mov_b32 v12, 0
	v_dual_mov_b32 v15, 0 :: v_dual_mov_b32 v14, 0
	s_and_saveexec_b32 s3, s2
	s_cbranch_execz .LBB116_38
; %bb.29:
	v_dual_mov_b32 v13, v1 :: v_dual_bitop2_b32 v12, 8, v0 bitop3:0x54
	v_sub_nc_u64_e32 v[14:15], v[4:5], v[0:1]
	s_delay_alu instid0(VALU_DEP_2) | instskip(NEXT) | instid1(VALU_DEP_1)
	v_sub_nc_u64_e32 v[12:13], v[12:13], v[4:5]
	v_add_nc_u64_e32 v[12:13], v[12:13], v[16:17]
	v_not_b32_e32 v17, v17
	v_not_b32_e32 v16, v16
	s_delay_alu instid0(VALU_DEP_1) | instskip(NEXT) | instid1(VALU_DEP_4)
	v_add_nc_u64_e32 v[14:15], v[14:15], v[16:17]
	v_max_i64 v[12:13], v[12:13], v[8:9]
	s_delay_alu instid0(VALU_DEP_1) | instskip(NEXT) | instid1(VALU_DEP_1)
	v_add_nc_u64_e32 v[16:17], v[14:15], v[12:13]
	v_dual_mov_b32 v15, 0 :: v_dual_bitop2_b32 v14, 24, v16 bitop3:0x40
	s_delay_alu instid0(VALU_DEP_1) | instskip(NEXT) | instid1(VALU_DEP_2)
	v_dual_mov_b32 v13, v15 :: v_dual_mov_b32 v12, v15
	v_cmp_ne_u64_e32 vcc_lo, 24, v[14:15]
	v_mov_b32_e32 v14, v15
	s_and_saveexec_b32 s2, vcc_lo
	s_cbranch_execz .LBB116_33
; %bb.30:
	v_dual_lshrrev_b32 v1, 3, v16 :: v_dual_mov_b32 v13, 0
	v_lshl_add_u64 v[18:19], v[6:7], 3, s[8:9]
	s_mov_b32 s6, 0
	s_delay_alu instid0(VALU_DEP_2) | instskip(NEXT) | instid1(VALU_DEP_1)
	v_dual_mov_b32 v14, v13 :: v_dual_add_nc_u32 v1, 1, v1
	v_dual_mov_b32 v15, v13 :: v_dual_bitop2_b32 v12, 3, v1 bitop3:0x40
	s_delay_alu instid0(VALU_DEP_1)
	v_sub_nc_u64_e32 v[20:21], 0, v[12:13]
	v_mov_b32_e32 v12, v13
.LBB116_31:                             ; =>This Inner Loop Header: Depth=1
	global_load_b64 v[22:23], v[18:19], off
	v_add_nc_u64_e32 v[20:21], 1, v[20:21]
	v_add_nc_u64_e32 v[6:7], 8, v[6:7]
	s_wait_xcnt 0x0
	v_add_nc_u64_e32 v[18:19], 64, v[18:19]
	s_delay_alu instid0(VALU_DEP_3)
	v_cmp_eq_u64_e32 vcc_lo, 0, v[20:21]
	s_or_b32 s6, vcc_lo, s6
	s_wait_loadcnt 0x0
	v_sub_nc_u64_e32 v[26:27], v[22:23], v[4:5]
	global_load_b128 v[22:25], v[10:11], off
	s_wait_kmcnt 0x0
	v_lshl_add_u64 v[30:31], v[26:27], 3, s[4:5]
	global_load_b64 v[32:33], v[30:31], off
	global_load_b128 v[26:29], v[10:11], off offset:16
	s_wait_xcnt 0x0
	v_add_nc_u64_e32 v[10:11], 0x100, v[10:11]
	s_wait_loadcnt 0x2
	v_and_b32_e32 v31, 0xffff0000, v22
	v_dual_lshlrev_b32 v30, 16, v22 :: v_dual_lshlrev_b32 v34, 16, v23
	v_and_b32_e32 v35, 0xffff0000, v23
	v_and_b32_e32 v23, 0xffff0000, v24
	v_dual_lshlrev_b32 v22, 16, v24 :: v_dual_lshlrev_b32 v36, 16, v25
	v_and_b32_e32 v37, 0xffff0000, v25
	s_wait_loadcnt 0x0
	v_and_b32_e32 v25, 0xffff0000, v26
	v_dual_lshlrev_b32 v24, 16, v26 :: v_dual_lshlrev_b32 v26, 16, v32
	v_and_b32_e32 v39, 0xffff0000, v28
	v_lshlrev_b32_e32 v38, 16, v28
	v_and_b32_e32 v28, 0xffff0000, v32
	s_delay_alu instid0(VALU_DEP_4) | instskip(SKIP_3) | instid1(VALU_DEP_4)
	v_pk_fma_f32 v[14:15], v[30:31], v[26:27], v[14:15] op_sel_hi:[1,0,1]
	v_pk_fma_f32 v[12:13], v[34:35], v[26:27], v[12:13] op_sel_hi:[1,0,1]
	v_and_b32_e32 v31, 0xffff0000, v27
	v_dual_lshlrev_b32 v30, 16, v27 :: v_dual_lshlrev_b32 v26, 16, v33
	v_pk_fma_f32 v[14:15], v[22:23], v[28:29], v[14:15] op_sel_hi:[1,0,1]
	s_delay_alu instid0(VALU_DEP_4)
	v_pk_fma_f32 v[12:13], v[36:37], v[28:29], v[12:13] op_sel_hi:[1,0,1]
	v_and_b32_e32 v23, 0xffff0000, v29
	v_lshlrev_b32_e32 v22, 16, v29
	v_and_b32_e32 v28, 0xffff0000, v33
	v_pk_fma_f32 v[14:15], v[24:25], v[26:27], v[14:15] op_sel_hi:[1,0,1]
	v_pk_fma_f32 v[12:13], v[30:31], v[26:27], v[12:13] op_sel_hi:[1,0,1]
	s_delay_alu instid0(VALU_DEP_2) | instskip(NEXT) | instid1(VALU_DEP_2)
	v_pk_fma_f32 v[14:15], v[38:39], v[28:29], v[14:15] op_sel_hi:[1,0,1]
	v_pk_fma_f32 v[12:13], v[22:23], v[28:29], v[12:13] op_sel_hi:[1,0,1]
	s_and_not1_b32 exec_lo, exec_lo, s6
	s_cbranch_execnz .LBB116_31
; %bb.32:
	s_or_b32 exec_lo, exec_lo, s6
.LBB116_33:
	s_delay_alu instid0(SALU_CYCLE_1) | instskip(NEXT) | instid1(SALU_CYCLE_1)
	s_or_b32 exec_lo, exec_lo, s2
	s_mov_b32 s2, exec_lo
	v_cmpx_lt_u64_e32 23, v[16:17]
	s_cbranch_execz .LBB116_37
; %bb.34:
	v_lshl_add_u64 v[16:17], v[6:7], 3, s[8:9]
	s_mov_b32 s6, 0
	s_delay_alu instid0(VALU_DEP_1)
	v_add_nc_u64_e32 v[16:17], 0x80, v[16:17]
.LBB116_35:                             ; =>This Inner Loop Header: Depth=1
	s_clause 0x3
	global_load_b64 v[34:35], v[16:17], off offset:-128
	global_load_b64 v[38:39], v[16:17], off offset:-64
	global_load_b64 v[40:41], v[16:17], off
	global_load_b64 v[46:47], v[16:17], off offset:64
	s_clause 0x3
	global_load_b128 v[18:21], v[10:11], off
	global_load_b128 v[22:25], v[10:11], off offset:16
	global_load_b128 v[26:29], v[10:11], off offset:256
	;; [unrolled: 1-line block ×3, first 2 shown]
	v_add_nc_u64_e32 v[6:7], 32, v[6:7]
	s_wait_xcnt 0x4
	v_add_nc_u64_e32 v[16:17], 0x100, v[16:17]
	s_delay_alu instid0(VALU_DEP_2)
	v_cmp_ge_i64_e32 vcc_lo, v[6:7], v[8:9]
	s_or_b32 s6, vcc_lo, s6
	s_wait_loadcnt 0x7
	v_sub_nc_u64_e32 v[34:35], v[34:35], v[4:5]
	s_wait_loadcnt 0x6
	v_sub_nc_u64_e32 v[38:39], v[38:39], v[4:5]
	;; [unrolled: 2-line block ×3, first 2 shown]
	s_wait_loadcnt 0x3
	v_and_b32_e32 v61, 0xffff0000, v19
	v_and_b32_e32 v63, 0xffff0000, v21
	s_wait_loadcnt 0x2
	v_and_b32_e32 v77, 0xffff0000, v23
	s_wait_kmcnt 0x0
	v_lshl_add_u64 v[42:43], v[34:35], 3, s[4:5]
	v_lshl_add_u64 v[44:45], v[38:39], 3, s[4:5]
	s_wait_loadcnt 0x0
	v_and_b32_e32 v71, 0xffff0000, v30
	v_lshl_add_u64 v[56:57], v[46:47], 3, s[4:5]
	v_dual_lshlrev_b32 v70, 16, v30 :: v_dual_lshlrev_b32 v72, 16, v32
	global_load_b64 v[50:51], v[42:43], off
	global_load_b128 v[34:37], v[10:11], off offset:512
	s_wait_xcnt 0x1
	v_sub_nc_u64_e32 v[42:43], v[40:41], v[4:5]
	global_load_b64 v[52:53], v[44:45], off
	global_load_b128 v[38:41], v[10:11], off offset:528
	v_and_b32_e32 v73, 0xffff0000, v32
	v_lshlrev_b32_e32 v30, 16, v33
	v_and_b32_e32 v65, 0xffff0000, v24
	v_and_b32_e32 v67, 0xffff0000, v26
	v_dual_lshlrev_b32 v66, 16, v26 :: v_dual_lshlrev_b32 v68, 16, v28
	v_lshl_add_u64 v[48:49], v[42:43], 3, s[4:5]
	global_load_b128 v[42:45], v[10:11], off offset:768
	s_clause 0x1
	global_load_b64 v[54:55], v[48:49], off
	global_load_b64 v[58:59], v[56:57], off
	global_load_b128 v[46:49], v[10:11], off offset:784
	s_wait_xcnt 0x1
	v_and_b32_e32 v57, 0xffff0000, v18
	v_dual_lshlrev_b32 v56, 16, v18 :: v_dual_lshlrev_b32 v60, 16, v19
	v_and_b32_e32 v19, 0xffff0000, v20
	v_dual_lshlrev_b32 v18, 16, v20 :: v_dual_lshlrev_b32 v62, 16, v21
	;; [unrolled: 2-line block ×3, first 2 shown]
	v_dual_lshlrev_b32 v22, 16, v25 :: v_dual_lshlrev_b32 v24, 16, v27
	v_and_b32_e32 v69, 0xffff0000, v28
	v_dual_lshlrev_b32 v26, 16, v29 :: v_dual_lshlrev_b32 v28, 16, v31
	s_wait_xcnt 0x0
	v_add_nc_u64_e32 v[10:11], 0x400, v[10:11]
	v_lshlrev_b32_e32 v76, 16, v23
	v_and_b32_e32 v23, 0xffff0000, v25
	v_and_b32_e32 v25, 0xffff0000, v27
	;; [unrolled: 1-line block ×5, first 2 shown]
	s_wait_loadcnt 0x7
	v_lshlrev_b32_e32 v32, 16, v50
	s_wait_loadcnt 0x6
	v_and_b32_e32 v75, 0xffff0000, v34
	v_lshlrev_b32_e32 v74, 16, v34
	v_and_b32_e32 v34, 0xffff0000, v50
	v_and_b32_e32 v79, 0xffff0000, v36
	v_pk_fma_f32 v[14:15], v[56:57], v[32:33], v[14:15] op_sel_hi:[1,0,1]
	v_pk_fma_f32 v[12:13], v[60:61], v[32:33], v[12:13] op_sel_hi:[1,0,1]
	v_dual_lshlrev_b32 v78, 16, v36 :: v_dual_lshlrev_b32 v32, 16, v35
	v_lshlrev_b32_e32 v36, 16, v51
	s_delay_alu instid0(VALU_DEP_4) | instskip(NEXT) | instid1(VALU_DEP_4)
	v_pk_fma_f32 v[14:15], v[18:19], v[34:35], v[14:15] op_sel_hi:[1,0,1]
	v_pk_fma_f32 v[12:13], v[62:63], v[34:35], v[12:13] op_sel_hi:[1,0,1]
	v_lshlrev_b32_e32 v18, 16, v37
	v_and_b32_e32 v34, 0xffff0000, v51
	v_and_b32_e32 v33, 0xffff0000, v35
	v_pk_fma_f32 v[14:15], v[20:21], v[36:37], v[14:15] op_sel_hi:[1,0,1]
	v_pk_fma_f32 v[12:13], v[76:77], v[36:37], v[12:13] op_sel_hi:[1,0,1]
	s_wait_loadcnt 0x4
	v_dual_lshlrev_b32 v20, 16, v38 :: v_dual_lshlrev_b32 v36, 16, v52
	v_and_b32_e32 v19, 0xffff0000, v37
	v_pk_fma_f32 v[14:15], v[64:65], v[34:35], v[14:15] op_sel_hi:[1,0,1]
	v_pk_fma_f32 v[12:13], v[22:23], v[34:35], v[12:13] op_sel_hi:[1,0,1]
	v_and_b32_e32 v34, 0xffff0000, v52
	v_and_b32_e32 v21, 0xffff0000, v38
	v_and_b32_e32 v23, 0xffff0000, v39
	v_pk_fma_f32 v[14:15], v[66:67], v[36:37], v[14:15] op_sel_hi:[1,0,1]
	v_pk_fma_f32 v[12:13], v[24:25], v[36:37], v[12:13] op_sel_hi:[1,0,1]
	v_dual_lshlrev_b32 v36, 16, v53 :: v_dual_lshlrev_b32 v22, 16, v39
	v_lshlrev_b32_e32 v24, 16, v40
	s_delay_alu instid0(VALU_DEP_4) | instskip(NEXT) | instid1(VALU_DEP_4)
	v_pk_fma_f32 v[14:15], v[68:69], v[34:35], v[14:15] op_sel_hi:[1,0,1]
	v_pk_fma_f32 v[12:13], v[26:27], v[34:35], v[12:13] op_sel_hi:[1,0,1]
	v_and_b32_e32 v34, 0xffff0000, v53
	v_lshlrev_b32_e32 v26, 16, v41
	v_and_b32_e32 v25, 0xffff0000, v40
	v_and_b32_e32 v27, 0xffff0000, v41
	v_pk_fma_f32 v[12:13], v[28:29], v[36:37], v[12:13] op_sel_hi:[1,0,1]
	s_wait_loadcnt 0x3
	v_lshlrev_b32_e32 v28, 16, v42
	v_pk_fma_f32 v[14:15], v[70:71], v[36:37], v[14:15] op_sel_hi:[1,0,1]
	s_wait_loadcnt 0x2
	v_lshlrev_b32_e32 v36, 16, v54
	v_and_b32_e32 v29, 0xffff0000, v42
	v_pk_fma_f32 v[12:13], v[30:31], v[34:35], v[12:13] op_sel_hi:[1,0,1]
	v_and_b32_e32 v31, 0xffff0000, v43
	v_pk_fma_f32 v[14:15], v[72:73], v[34:35], v[14:15] op_sel_hi:[1,0,1]
	v_and_b32_e32 v34, 0xffff0000, v54
	v_lshlrev_b32_e32 v30, 16, v43
	v_pk_fma_f32 v[12:13], v[32:33], v[36:37], v[12:13] op_sel_hi:[1,0,1]
	v_and_b32_e32 v33, 0xffff0000, v44
	v_pk_fma_f32 v[14:15], v[74:75], v[36:37], v[14:15] op_sel_hi:[1,0,1]
	v_dual_lshlrev_b32 v36, 16, v55 :: v_dual_lshlrev_b32 v32, 16, v44
	s_delay_alu instid0(VALU_DEP_4)
	v_pk_fma_f32 v[12:13], v[18:19], v[34:35], v[12:13] op_sel_hi:[1,0,1]
	s_wait_loadcnt 0x0
	v_lshlrev_b32_e32 v18, 16, v46
	v_pk_fma_f32 v[14:15], v[78:79], v[34:35], v[14:15] op_sel_hi:[1,0,1]
	v_and_b32_e32 v34, 0xffff0000, v55
	v_and_b32_e32 v19, 0xffff0000, v46
	v_pk_fma_f32 v[12:13], v[22:23], v[36:37], v[12:13] op_sel_hi:[1,0,1]
	v_lshlrev_b32_e32 v22, 16, v58
	v_pk_fma_f32 v[14:15], v[20:21], v[36:37], v[14:15] op_sel_hi:[1,0,1]
	v_lshlrev_b32_e32 v20, 16, v48
	v_and_b32_e32 v21, 0xffff0000, v48
	v_pk_fma_f32 v[12:13], v[26:27], v[34:35], v[12:13] op_sel_hi:[1,0,1]
	v_and_b32_e32 v26, 0xffff0000, v58
	v_pk_fma_f32 v[14:15], v[24:25], v[34:35], v[14:15] op_sel_hi:[1,0,1]
	v_and_b32_e32 v25, 0xffff0000, v45
	v_lshlrev_b32_e32 v24, 16, v45
	v_pk_fma_f32 v[12:13], v[30:31], v[22:23], v[12:13] op_sel_hi:[1,0,1]
	s_delay_alu instid0(VALU_DEP_4)
	v_pk_fma_f32 v[14:15], v[28:29], v[22:23], v[14:15] op_sel_hi:[1,0,1]
	v_and_b32_e32 v23, 0xffff0000, v47
	v_lshlrev_b32_e32 v22, 16, v47
	v_lshlrev_b32_e32 v28, 16, v59
	v_pk_fma_f32 v[12:13], v[24:25], v[26:27], v[12:13] op_sel_hi:[1,0,1]
	v_pk_fma_f32 v[14:15], v[32:33], v[26:27], v[14:15] op_sel_hi:[1,0,1]
	v_and_b32_e32 v25, 0xffff0000, v49
	v_lshlrev_b32_e32 v24, 16, v49
	v_and_b32_e32 v26, 0xffff0000, v59
	v_pk_fma_f32 v[12:13], v[22:23], v[28:29], v[12:13] op_sel_hi:[1,0,1]
	v_pk_fma_f32 v[14:15], v[18:19], v[28:29], v[14:15] op_sel_hi:[1,0,1]
	s_delay_alu instid0(VALU_DEP_2) | instskip(NEXT) | instid1(VALU_DEP_2)
	v_pk_fma_f32 v[12:13], v[24:25], v[26:27], v[12:13] op_sel_hi:[1,0,1]
	v_pk_fma_f32 v[14:15], v[20:21], v[26:27], v[14:15] op_sel_hi:[1,0,1]
	s_and_not1_b32 exec_lo, exec_lo, s6
	s_cbranch_execnz .LBB116_35
; %bb.36:
	s_or_b32 exec_lo, exec_lo, s6
.LBB116_37:
	s_delay_alu instid0(SALU_CYCLE_1)
	s_or_b32 exec_lo, exec_lo, s2
.LBB116_38:
	s_delay_alu instid0(SALU_CYCLE_1)
	s_or_b32 exec_lo, exec_lo, s3
.LBB116_39:
	v_mbcnt_lo_u32_b32 v1, -1, 0
	s_mov_b32 s2, -1
	s_delay_alu instid0(VALU_DEP_1) | instskip(SKIP_1) | instid1(VALU_DEP_1)
	v_xor_b32_e32 v8, 2, v1
	v_xor_b32_e32 v4, 4, v1
	v_cmp_gt_i32_e32 vcc_lo, 32, v4
	v_cndmask_b32_e32 v4, v1, v4, vcc_lo
	s_delay_alu instid0(VALU_DEP_4) | instskip(NEXT) | instid1(VALU_DEP_2)
	v_cmp_gt_i32_e32 vcc_lo, 32, v8
	v_lshlrev_b32_e32 v7, 2, v4
	v_cndmask_b32_e32 v8, v1, v8, vcc_lo
	ds_bpermute_b32 v4, v7, v14
	ds_bpermute_b32 v5, v7, v15
	;; [unrolled: 1-line block ×4, first 2 shown]
	v_lshlrev_b32_e32 v11, 2, v8
	s_wait_dscnt 0x2
	v_pk_add_f32 v[4:5], v[14:15], v[4:5]
	s_wait_dscnt 0x0
	v_pk_add_f32 v[6:7], v[12:13], v[6:7]
	v_xor_b32_e32 v12, 1, v1
	ds_bpermute_b32 v8, v11, v4
	ds_bpermute_b32 v9, v11, v5
	;; [unrolled: 1-line block ×4, first 2 shown]
	v_cmp_gt_i32_e32 vcc_lo, 32, v12
	v_cndmask_b32_e32 v1, v1, v12, vcc_lo
	v_cmp_eq_u32_e32 vcc_lo, 7, v0
	s_delay_alu instid0(VALU_DEP_2)
	v_lshlrev_b32_e32 v1, 2, v1
	s_wait_dscnt 0x2
	v_pk_add_f32 v[4:5], v[4:5], v[8:9]
	s_wait_dscnt 0x0
	v_pk_add_f32 v[8:9], v[6:7], v[10:11]
	ds_bpermute_b32 v6, v1, v4
	ds_bpermute_b32 v7, v1, v5
	;; [unrolled: 1-line block ×4, first 2 shown]
	s_and_b32 exec_lo, exec_lo, vcc_lo
	s_cbranch_execz .LBB116_10
; %bb.40:
	s_load_b64 s[0:1], s[0:1], 0x58
	s_wait_dscnt 0x2
	v_pk_add_f32 v[6:7], v[4:5], v[6:7]
	s_wait_dscnt 0x0
	v_pk_add_f32 v[4:5], v[8:9], v[10:11]
	s_cmp_eq_f32 s16, 0
	s_wait_kmcnt 0x0
	v_lshl_add_u64 v[0:1], v[2:3], 4, s[0:1]
	s_cbranch_scc0 .LBB116_42
; %bb.41:
	v_pk_mul_f32 v[8:9], s[12:13], v[6:7] op_sel_hi:[0,1]
	v_pk_mul_f32 v[10:11], s[12:13], v[4:5] op_sel_hi:[0,1]
	s_mov_b32 s2, 0
	global_store_b128 v[0:1], v[8:11], off
.LBB116_42:
	s_and_not1_b32 vcc_lo, exec_lo, s2
	s_cbranch_vccnz .LBB116_10
; %bb.43:
	global_load_b128 v[8:11], v[0:1], off
	v_pk_mul_f32 v[2:3], s[12:13], v[6:7] op_sel_hi:[0,1]
	v_pk_mul_f32 v[4:5], s[12:13], v[4:5] op_sel_hi:[0,1]
	s_wait_loadcnt 0x0
	s_delay_alu instid0(VALU_DEP_2) | instskip(NEXT) | instid1(VALU_DEP_2)
	v_pk_fma_f32 v[2:3], s[16:17], v[8:9], v[2:3] op_sel_hi:[0,1,1]
	v_pk_fma_f32 v[4:5], s[16:17], v[10:11], v[4:5] op_sel_hi:[0,1,1]
	global_store_b128 v[0:1], v[2:5], off
	s_sendmsg sendmsg(MSG_DEALLOC_VGPRS)
	s_endpgm
	.section	.rodata,"a",@progbits
	.p2align	6, 0x0
	.amdhsa_kernel _ZN9rocsparseL18bsrxmvn_4x4_kernelILj128ELj8Efll18rocsparse_bfloat16S1_fEEvT3_20rocsparse_direction_NS_24const_host_device_scalarIT1_EES2_PKS2_PKT2_SB_S8_PKT4_PKT5_S6_PT6_21rocsparse_index_base_b
		.amdhsa_group_segment_fixed_size 0
		.amdhsa_private_segment_fixed_size 0
		.amdhsa_kernarg_size 104
		.amdhsa_user_sgpr_count 2
		.amdhsa_user_sgpr_dispatch_ptr 0
		.amdhsa_user_sgpr_queue_ptr 0
		.amdhsa_user_sgpr_kernarg_segment_ptr 1
		.amdhsa_user_sgpr_dispatch_id 0
		.amdhsa_user_sgpr_kernarg_preload_length 0
		.amdhsa_user_sgpr_kernarg_preload_offset 0
		.amdhsa_user_sgpr_private_segment_size 0
		.amdhsa_wavefront_size32 1
		.amdhsa_uses_dynamic_stack 0
		.amdhsa_enable_private_segment 0
		.amdhsa_system_sgpr_workgroup_id_x 1
		.amdhsa_system_sgpr_workgroup_id_y 0
		.amdhsa_system_sgpr_workgroup_id_z 0
		.amdhsa_system_sgpr_workgroup_info 0
		.amdhsa_system_vgpr_workitem_id 0
		.amdhsa_next_free_vgpr 86
		.amdhsa_next_free_sgpr 18
		.amdhsa_named_barrier_count 0
		.amdhsa_reserve_vcc 1
		.amdhsa_float_round_mode_32 0
		.amdhsa_float_round_mode_16_64 0
		.amdhsa_float_denorm_mode_32 3
		.amdhsa_float_denorm_mode_16_64 3
		.amdhsa_fp16_overflow 0
		.amdhsa_memory_ordered 1
		.amdhsa_forward_progress 1
		.amdhsa_inst_pref_size 35
		.amdhsa_round_robin_scheduling 0
		.amdhsa_exception_fp_ieee_invalid_op 0
		.amdhsa_exception_fp_denorm_src 0
		.amdhsa_exception_fp_ieee_div_zero 0
		.amdhsa_exception_fp_ieee_overflow 0
		.amdhsa_exception_fp_ieee_underflow 0
		.amdhsa_exception_fp_ieee_inexact 0
		.amdhsa_exception_int_div_zero 0
	.end_amdhsa_kernel
	.section	.text._ZN9rocsparseL18bsrxmvn_4x4_kernelILj128ELj8Efll18rocsparse_bfloat16S1_fEEvT3_20rocsparse_direction_NS_24const_host_device_scalarIT1_EES2_PKS2_PKT2_SB_S8_PKT4_PKT5_S6_PT6_21rocsparse_index_base_b,"axG",@progbits,_ZN9rocsparseL18bsrxmvn_4x4_kernelILj128ELj8Efll18rocsparse_bfloat16S1_fEEvT3_20rocsparse_direction_NS_24const_host_device_scalarIT1_EES2_PKS2_PKT2_SB_S8_PKT4_PKT5_S6_PT6_21rocsparse_index_base_b,comdat
.Lfunc_end116:
	.size	_ZN9rocsparseL18bsrxmvn_4x4_kernelILj128ELj8Efll18rocsparse_bfloat16S1_fEEvT3_20rocsparse_direction_NS_24const_host_device_scalarIT1_EES2_PKS2_PKT2_SB_S8_PKT4_PKT5_S6_PT6_21rocsparse_index_base_b, .Lfunc_end116-_ZN9rocsparseL18bsrxmvn_4x4_kernelILj128ELj8Efll18rocsparse_bfloat16S1_fEEvT3_20rocsparse_direction_NS_24const_host_device_scalarIT1_EES2_PKS2_PKT2_SB_S8_PKT4_PKT5_S6_PT6_21rocsparse_index_base_b
                                        ; -- End function
	.set _ZN9rocsparseL18bsrxmvn_4x4_kernelILj128ELj8Efll18rocsparse_bfloat16S1_fEEvT3_20rocsparse_direction_NS_24const_host_device_scalarIT1_EES2_PKS2_PKT2_SB_S8_PKT4_PKT5_S6_PT6_21rocsparse_index_base_b.num_vgpr, 86
	.set _ZN9rocsparseL18bsrxmvn_4x4_kernelILj128ELj8Efll18rocsparse_bfloat16S1_fEEvT3_20rocsparse_direction_NS_24const_host_device_scalarIT1_EES2_PKS2_PKT2_SB_S8_PKT4_PKT5_S6_PT6_21rocsparse_index_base_b.num_agpr, 0
	.set _ZN9rocsparseL18bsrxmvn_4x4_kernelILj128ELj8Efll18rocsparse_bfloat16S1_fEEvT3_20rocsparse_direction_NS_24const_host_device_scalarIT1_EES2_PKS2_PKT2_SB_S8_PKT4_PKT5_S6_PT6_21rocsparse_index_base_b.numbered_sgpr, 18
	.set _ZN9rocsparseL18bsrxmvn_4x4_kernelILj128ELj8Efll18rocsparse_bfloat16S1_fEEvT3_20rocsparse_direction_NS_24const_host_device_scalarIT1_EES2_PKS2_PKT2_SB_S8_PKT4_PKT5_S6_PT6_21rocsparse_index_base_b.num_named_barrier, 0
	.set _ZN9rocsparseL18bsrxmvn_4x4_kernelILj128ELj8Efll18rocsparse_bfloat16S1_fEEvT3_20rocsparse_direction_NS_24const_host_device_scalarIT1_EES2_PKS2_PKT2_SB_S8_PKT4_PKT5_S6_PT6_21rocsparse_index_base_b.private_seg_size, 0
	.set _ZN9rocsparseL18bsrxmvn_4x4_kernelILj128ELj8Efll18rocsparse_bfloat16S1_fEEvT3_20rocsparse_direction_NS_24const_host_device_scalarIT1_EES2_PKS2_PKT2_SB_S8_PKT4_PKT5_S6_PT6_21rocsparse_index_base_b.uses_vcc, 1
	.set _ZN9rocsparseL18bsrxmvn_4x4_kernelILj128ELj8Efll18rocsparse_bfloat16S1_fEEvT3_20rocsparse_direction_NS_24const_host_device_scalarIT1_EES2_PKS2_PKT2_SB_S8_PKT4_PKT5_S6_PT6_21rocsparse_index_base_b.uses_flat_scratch, 0
	.set _ZN9rocsparseL18bsrxmvn_4x4_kernelILj128ELj8Efll18rocsparse_bfloat16S1_fEEvT3_20rocsparse_direction_NS_24const_host_device_scalarIT1_EES2_PKS2_PKT2_SB_S8_PKT4_PKT5_S6_PT6_21rocsparse_index_base_b.has_dyn_sized_stack, 0
	.set _ZN9rocsparseL18bsrxmvn_4x4_kernelILj128ELj8Efll18rocsparse_bfloat16S1_fEEvT3_20rocsparse_direction_NS_24const_host_device_scalarIT1_EES2_PKS2_PKT2_SB_S8_PKT4_PKT5_S6_PT6_21rocsparse_index_base_b.has_recursion, 0
	.set _ZN9rocsparseL18bsrxmvn_4x4_kernelILj128ELj8Efll18rocsparse_bfloat16S1_fEEvT3_20rocsparse_direction_NS_24const_host_device_scalarIT1_EES2_PKS2_PKT2_SB_S8_PKT4_PKT5_S6_PT6_21rocsparse_index_base_b.has_indirect_call, 0
	.section	.AMDGPU.csdata,"",@progbits
; Kernel info:
; codeLenInByte = 4432
; TotalNumSgprs: 20
; NumVgprs: 86
; ScratchSize: 0
; MemoryBound: 0
; FloatMode: 240
; IeeeMode: 1
; LDSByteSize: 0 bytes/workgroup (compile time only)
; SGPRBlocks: 0
; VGPRBlocks: 5
; NumSGPRsForWavesPerEU: 20
; NumVGPRsForWavesPerEU: 86
; NamedBarCnt: 0
; Occupancy: 10
; WaveLimiterHint : 1
; COMPUTE_PGM_RSRC2:SCRATCH_EN: 0
; COMPUTE_PGM_RSRC2:USER_SGPR: 2
; COMPUTE_PGM_RSRC2:TRAP_HANDLER: 0
; COMPUTE_PGM_RSRC2:TGID_X_EN: 1
; COMPUTE_PGM_RSRC2:TGID_Y_EN: 0
; COMPUTE_PGM_RSRC2:TGID_Z_EN: 0
; COMPUTE_PGM_RSRC2:TIDIG_COMP_CNT: 0
	.section	.text._ZN9rocsparseL18bsrxmvn_4x4_kernelILj128ELj16Efll18rocsparse_bfloat16S1_fEEvT3_20rocsparse_direction_NS_24const_host_device_scalarIT1_EES2_PKS2_PKT2_SB_S8_PKT4_PKT5_S6_PT6_21rocsparse_index_base_b,"axG",@progbits,_ZN9rocsparseL18bsrxmvn_4x4_kernelILj128ELj16Efll18rocsparse_bfloat16S1_fEEvT3_20rocsparse_direction_NS_24const_host_device_scalarIT1_EES2_PKS2_PKT2_SB_S8_PKT4_PKT5_S6_PT6_21rocsparse_index_base_b,comdat
	.globl	_ZN9rocsparseL18bsrxmvn_4x4_kernelILj128ELj16Efll18rocsparse_bfloat16S1_fEEvT3_20rocsparse_direction_NS_24const_host_device_scalarIT1_EES2_PKS2_PKT2_SB_S8_PKT4_PKT5_S6_PT6_21rocsparse_index_base_b ; -- Begin function _ZN9rocsparseL18bsrxmvn_4x4_kernelILj128ELj16Efll18rocsparse_bfloat16S1_fEEvT3_20rocsparse_direction_NS_24const_host_device_scalarIT1_EES2_PKS2_PKT2_SB_S8_PKT4_PKT5_S6_PT6_21rocsparse_index_base_b
	.p2align	8
	.type	_ZN9rocsparseL18bsrxmvn_4x4_kernelILj128ELj16Efll18rocsparse_bfloat16S1_fEEvT3_20rocsparse_direction_NS_24const_host_device_scalarIT1_EES2_PKS2_PKT2_SB_S8_PKT4_PKT5_S6_PT6_21rocsparse_index_base_b,@function
_ZN9rocsparseL18bsrxmvn_4x4_kernelILj128ELj16Efll18rocsparse_bfloat16S1_fEEvT3_20rocsparse_direction_NS_24const_host_device_scalarIT1_EES2_PKS2_PKT2_SB_S8_PKT4_PKT5_S6_PT6_21rocsparse_index_base_b: ; @_ZN9rocsparseL18bsrxmvn_4x4_kernelILj128ELj16Efll18rocsparse_bfloat16S1_fEEvT3_20rocsparse_direction_NS_24const_host_device_scalarIT1_EES2_PKS2_PKT2_SB_S8_PKT4_PKT5_S6_PT6_21rocsparse_index_base_b
; %bb.0:
	s_clause 0x2
	s_load_b64 s[2:3], s[0:1], 0x60
	s_load_b128 s[12:15], s[0:1], 0x10
	s_load_b64 s[16:17], s[0:1], 0x50
	s_wait_kmcnt 0x0
	s_bitcmp1_b32 s3, 0
	s_cselect_b32 s3, -1, 0
	s_delay_alu instid0(SALU_CYCLE_1)
	s_and_b32 vcc_lo, exec_lo, s3
	s_xor_b32 s3, s3, -1
	s_cbranch_vccnz .LBB117_2
; %bb.1:
	s_load_b32 s12, s[12:13], 0x0
.LBB117_2:
	s_and_not1_b32 vcc_lo, exec_lo, s3
	s_cbranch_vccnz .LBB117_4
; %bb.3:
	s_load_b32 s16, s[16:17], 0x0
.LBB117_4:
	s_wait_kmcnt 0x0
	s_cmp_neq_f32 s12, 0
	s_mov_b32 s6, 0
	s_cselect_b32 s3, -1, 0
	s_cmp_neq_f32 s16, 1.0
	s_cselect_b32 s4, -1, 0
	s_delay_alu instid0(SALU_CYCLE_1) | instskip(NEXT) | instid1(SALU_CYCLE_1)
	s_or_b32 s3, s3, s4
	s_and_not1_b32 vcc_lo, exec_lo, s3
	s_cbranch_vccnz .LBB117_10
; %bb.5:
	s_load_b64 s[4:5], s[0:1], 0x20
	s_bfe_u32 s3, ttmp6, 0x4000c
	s_and_b32 s7, ttmp6, 15
	s_add_co_i32 s3, s3, 1
	s_getreg_b32 s8, hwreg(HW_REG_IB_STS2, 6, 4)
	s_mul_i32 s3, ttmp9, s3
	v_dual_lshrrev_b32 v1, 4, v0 :: v_dual_mov_b32 v7, 0
	s_add_co_i32 s7, s7, s3
	s_cmp_eq_u32 s8, 0
	s_cselect_b32 s3, ttmp9, s7
	s_delay_alu instid0(VALU_DEP_1) | instid1(SALU_CYCLE_1)
	v_lshl_or_b32 v6, s3, 3, v1
	s_wait_kmcnt 0x0
	s_cmp_lg_u64 s[4:5], 0
	s_cbranch_scc0 .LBB117_11
; %bb.6:
	s_mov_b32 s7, 0
                                        ; implicit-def: $vgpr2_vgpr3
                                        ; implicit-def: $vgpr4_vgpr5
	s_mov_b32 s3, exec_lo
	v_cmpx_gt_i64_e64 s[14:15], v[6:7]
	s_xor_b32 s8, exec_lo, s3
	s_cbranch_execz .LBB117_8
; %bb.7:
	v_lshl_add_u64 v[2:3], v[6:7], 3, s[4:5]
	s_mov_b32 s3, 0
	s_mov_b32 s6, exec_lo
	v_mov_b64_e32 v[4:5], s[2:3]
	global_load_b64 v[2:3], v[2:3], off
	s_wait_loadcnt 0x0
	v_sub_nc_u64_e64 v[2:3], v[2:3], s[2:3]
.LBB117_8:
	s_or_b32 exec_lo, exec_lo, s8
	s_delay_alu instid0(SALU_CYCLE_1)
	s_and_b32 vcc_lo, exec_lo, s7
	s_cbranch_vccnz .LBB117_12
.LBB117_9:
	s_and_saveexec_b32 s2, s6
	s_cbranch_execnz .LBB117_15
.LBB117_10:
	s_sendmsg sendmsg(MSG_DEALLOC_VGPRS)
	s_endpgm
.LBB117_11:
                                        ; implicit-def: $vgpr2_vgpr3
                                        ; implicit-def: $vgpr4_vgpr5
	s_cbranch_execz .LBB117_9
.LBB117_12:
	s_load_b64 s[4:5], s[0:1], 0x0
	s_wait_kmcnt 0x0
	v_cmp_gt_i64_e32 vcc_lo, s[4:5], v[6:7]
	s_and_saveexec_b32 s4, vcc_lo
; %bb.13:
	s_mov_b32 s3, 0
	s_or_b32 s6, s6, exec_lo
; %bb.14:
	s_or_b32 exec_lo, exec_lo, s4
	v_mov_b64_e32 v[4:5], s[2:3]
	v_mov_b64_e32 v[2:3], v[6:7]
	s_and_saveexec_b32 s2, s6
	s_cbranch_execz .LBB117_10
.LBB117_15:
	s_load_b256 s[4:11], s[0:1], 0x28
	s_delay_alu instid0(VALU_DEP_1) | instskip(SKIP_3) | instid1(VALU_DEP_2)
	v_lshlrev_b64_e32 v[6:7], 3, v[2:3]
	v_dual_mov_b32 v1, 0 :: v_dual_bitop2_b32 v0, 15, v0 bitop3:0x40
	s_load_b32 s3, s[0:1], 0x8
	s_wait_kmcnt 0x0
	v_add_nc_u64_e32 v[8:9], s[4:5], v[6:7]
	v_add_nc_u64_e32 v[6:7], s[6:7], v[6:7]
	s_cmp_eq_u64 s[6:7], 0
	s_load_b64 s[4:5], s[0:1], 0x48
	s_cselect_b32 vcc_lo, -1, 0
	s_cmp_eq_u32 s3, 1
	global_load_b64 v[14:15], v[8:9], off
	s_wait_xcnt 0x0
	v_add_nc_u64_e32 v[8:9], 8, v[8:9]
	s_delay_alu instid0(VALU_DEP_1) | instskip(SKIP_4) | instid1(VALU_DEP_1)
	v_dual_cndmask_b32 v7, v7, v9 :: v_dual_cndmask_b32 v6, v6, v8
	global_load_b64 v[8:9], v[6:7], off
	s_wait_loadcnt 0x1
	s_wait_xcnt 0x0
	v_sub_nc_u64_e32 v[6:7], v[14:15], v[4:5]
	v_add_nc_u64_e32 v[6:7], v[6:7], v[0:1]
	s_wait_loadcnt 0x0
	v_sub_nc_u64_e32 v[8:9], v[8:9], v[4:5]
	s_delay_alu instid0(VALU_DEP_2) | instskip(NEXT) | instid1(VALU_DEP_2)
	v_lshlrev_b64_e32 v[10:11], 5, v[6:7]
	v_cmp_lt_i64_e64 s2, v[6:7], v[8:9]
	s_delay_alu instid0(VALU_DEP_2)
	v_add_nc_u64_e32 v[10:11], s[10:11], v[10:11]
	s_cbranch_scc1 .LBB117_27
; %bb.16:
	v_dual_mov_b32 v21, v1 :: v_dual_mov_b32 v20, v1
	v_dual_mov_b32 v13, v1 :: v_dual_mov_b32 v12, v1
	s_and_saveexec_b32 s3, s2
	s_cbranch_execz .LBB117_26
; %bb.17:
	v_dual_mov_b32 v13, v1 :: v_dual_bitop2_b32 v12, 16, v0 bitop3:0x54
	v_sub_nc_u64_e32 v[16:17], v[4:5], v[0:1]
	v_not_b32_e32 v19, v15
	v_not_b32_e32 v18, v14
	v_mov_b64_e32 v[22:23], 0
	v_sub_nc_u64_e32 v[12:13], v[12:13], v[4:5]
	s_delay_alu instid0(VALU_DEP_3) | instskip(SKIP_1) | instid1(VALU_DEP_3)
	v_add_nc_u64_e32 v[16:17], v[16:17], v[18:19]
	v_mov_b64_e32 v[18:19], v[10:11]
	v_add_nc_u64_e32 v[12:13], v[12:13], v[14:15]
	s_delay_alu instid0(VALU_DEP_1) | instskip(NEXT) | instid1(VALU_DEP_1)
	v_max_i64 v[12:13], v[12:13], v[8:9]
	v_add_nc_u64_e32 v[24:25], v[16:17], v[12:13]
	v_mov_b32_e32 v20, 0
	v_mov_b64_e32 v[12:13], 0
	s_delay_alu instid0(VALU_DEP_2) | instskip(NEXT) | instid1(VALU_DEP_1)
	v_dual_mov_b32 v17, v20 :: v_dual_bitop2_b32 v16, 48, v24 bitop3:0x40
	v_cmp_ne_u64_e32 vcc_lo, 48, v[16:17]
	v_mov_b64_e32 v[16:17], v[6:7]
	s_and_saveexec_b32 s6, vcc_lo
	s_cbranch_execz .LBB117_21
; %bb.18:
	v_dual_mov_b32 v13, v20 :: v_dual_lshrrev_b32 v12, 4, v24
	v_mov_b64_e32 v[18:19], v[10:11]
	v_mov_b64_e32 v[16:17], v[6:7]
	v_lshl_add_u64 v[22:23], v[6:7], 3, s[8:9]
	s_delay_alu instid0(VALU_DEP_4) | instskip(SKIP_1) | instid1(VALU_DEP_1)
	v_dual_mov_b32 v21, v20 :: v_dual_add_nc_u32 v12, 1, v12
	s_mov_b32 s7, 0
	v_and_b32_e32 v12, 3, v12
	s_delay_alu instid0(VALU_DEP_1)
	v_sub_nc_u64_e32 v[26:27], 0, v[12:13]
	v_mov_b32_e32 v12, v20
.LBB117_19:                             ; =>This Inner Loop Header: Depth=1
	global_load_b64 v[28:29], v[22:23], off
	v_add_nc_u64_e32 v[26:27], 1, v[26:27]
	v_add_nc_u64_e32 v[16:17], 16, v[16:17]
	s_wait_xcnt 0x0
	v_add_nc_u64_e32 v[22:23], 0x80, v[22:23]
	s_delay_alu instid0(VALU_DEP_3) | instskip(SKIP_4) | instid1(VALU_DEP_1)
	v_cmp_eq_u64_e32 vcc_lo, 0, v[26:27]
	s_or_b32 s7, vcc_lo, s7
	s_wait_loadcnt 0x0
	v_sub_nc_u64_e32 v[28:29], v[28:29], v[4:5]
	s_wait_kmcnt 0x0
	v_lshl_add_u64 v[36:37], v[28:29], 3, s[4:5]
	s_clause 0x1
	global_load_b128 v[28:31], v[18:19], off
	global_load_b128 v[32:35], v[18:19], off offset:16
	global_load_b64 v[38:39], v[36:37], off
	s_wait_xcnt 0x1
	v_add_nc_u64_e32 v[18:19], 0x200, v[18:19]
	s_wait_loadcnt 0x2
	s_wait_xcnt 0x0
	v_dual_lshlrev_b32 v36, 16, v29 :: v_dual_lshlrev_b32 v41, 16, v30
	v_dual_lshlrev_b32 v40, 16, v28 :: v_dual_lshlrev_b32 v37, 16, v31
	v_and_b32_e32 v43, 0xffff0000, v30
	v_and_b32_e32 v42, 0xffff0000, v28
	;; [unrolled: 1-line block ×3, first 2 shown]
	s_wait_loadcnt 0x1
	v_dual_lshlrev_b32 v29, 16, v34 :: v_dual_lshlrev_b32 v28, 16, v32
	s_wait_loadcnt 0x0
	v_lshlrev_b32_e32 v44, 16, v38
	v_and_b32_e32 v47, 0xffff0000, v34
	v_and_b32_e32 v46, 0xffff0000, v32
	;; [unrolled: 1-line block ×3, first 2 shown]
	v_lshlrev_b32_e32 v34, 16, v39
	v_pk_fma_f32 v[20:21], v[28:29], v[44:45], v[20:21] op_sel_hi:[1,0,1]
	v_lshlrev_b32_e32 v28, 16, v33
	v_pk_fma_f32 v[12:13], v[40:41], v[44:45], v[12:13] op_sel_hi:[1,0,1]
	v_lshlrev_b32_e32 v29, 16, v35
	v_and_b32_e32 v31, 0xffff0000, v31
	v_pk_fma_f32 v[20:21], v[46:47], v[32:33], v[20:21] op_sel_hi:[1,0,1]
	v_and_b32_e32 v41, 0xffff0000, v35
	v_pk_fma_f32 v[12:13], v[42:43], v[32:33], v[12:13] op_sel_hi:[1,0,1]
	v_and_b32_e32 v40, 0xffff0000, v33
	v_and_b32_e32 v32, 0xffff0000, v39
	v_pk_fma_f32 v[20:21], v[28:29], v[34:35], v[20:21] op_sel_hi:[1,0,1]
	s_delay_alu instid0(VALU_DEP_4) | instskip(NEXT) | instid1(VALU_DEP_2)
	v_pk_fma_f32 v[12:13], v[36:37], v[34:35], v[12:13] op_sel_hi:[1,0,1]
	v_pk_fma_f32 v[20:21], v[40:41], v[32:33], v[20:21] op_sel_hi:[1,0,1]
	s_delay_alu instid0(VALU_DEP_2)
	v_pk_fma_f32 v[12:13], v[30:31], v[32:33], v[12:13] op_sel_hi:[1,0,1]
	s_and_not1_b32 exec_lo, exec_lo, s7
	s_cbranch_execnz .LBB117_19
; %bb.20:
	s_or_b32 exec_lo, exec_lo, s7
	v_mov_b64_e32 v[22:23], v[20:21]
.LBB117_21:
	s_or_b32 exec_lo, exec_lo, s6
	s_delay_alu instid0(SALU_CYCLE_1)
	s_mov_b32 s6, exec_lo
	v_cmpx_lt_u64_e32 47, v[24:25]
	s_cbranch_execz .LBB117_25
; %bb.22:
	v_lshl_add_u64 v[20:21], v[16:17], 3, s[8:9]
	s_mov_b32 s7, 0
	s_delay_alu instid0(VALU_DEP_1)
	v_add_nc_u64_e32 v[20:21], 0x100, v[20:21]
.LBB117_23:                             ; =>This Inner Loop Header: Depth=1
	s_clause 0x3
	global_load_b64 v[40:41], v[20:21], off offset:-256
	global_load_b64 v[42:43], v[20:21], off offset:-128
	global_load_b64 v[48:49], v[20:21], off
	global_load_b64 v[50:51], v[20:21], off offset:128
	s_clause 0x3
	global_load_b128 v[24:27], v[18:19], off
	global_load_b128 v[28:31], v[18:19], off offset:16
	global_load_b128 v[32:35], v[18:19], off offset:512
	;; [unrolled: 1-line block ×3, first 2 shown]
	v_add_nc_u64_e32 v[16:17], 64, v[16:17]
	s_wait_xcnt 0x4
	v_add_nc_u64_e32 v[20:21], 0x200, v[20:21]
	s_delay_alu instid0(VALU_DEP_2)
	v_cmp_ge_i64_e32 vcc_lo, v[16:17], v[8:9]
	s_or_b32 s7, vcc_lo, s7
	s_wait_loadcnt 0x7
	v_sub_nc_u64_e32 v[40:41], v[40:41], v[4:5]
	s_wait_loadcnt 0x6
	v_sub_nc_u64_e32 v[44:45], v[42:43], v[4:5]
	;; [unrolled: 2-line block ×3, first 2 shown]
	s_wait_loadcnt 0x3
	v_lshlrev_b32_e32 v66, 16, v24
	v_and_b32_e32 v69, 0xffff0000, v26
	v_and_b32_e32 v68, 0xffff0000, v24
	s_wait_kmcnt 0x0
	v_lshl_add_u64 v[46:47], v[40:41], 3, s[4:5]
	v_lshl_add_u64 v[52:53], v[44:45], 3, s[4:5]
	;; [unrolled: 1-line block ×3, first 2 shown]
	s_wait_loadcnt 0x2
	v_dual_lshlrev_b32 v70, 16, v29 :: v_dual_lshlrev_b32 v73, 16, v30
	global_load_b64 v[56:57], v[46:47], off
	global_load_b128 v[40:43], v[18:19], off offset:528
	global_load_b64 v[58:59], v[52:53], off
	global_load_b128 v[44:47], v[18:19], off offset:1040
	s_wait_xcnt 0x1
	v_sub_nc_u64_e32 v[52:53], v[50:51], v[4:5]
	global_load_b64 v[60:61], v[54:55], off
	global_load_b128 v[48:51], v[18:19], off offset:1536
	v_dual_lshlrev_b32 v72, 16, v28 :: v_dual_lshlrev_b32 v71, 16, v31
	s_wait_loadcnt 0x7
	v_and_b32_e32 v77, 0xffff0000, v34
	v_and_b32_e32 v76, 0xffff0000, v32
	v_dual_lshlrev_b32 v79, 16, v35 :: v_dual_lshlrev_b32 v78, 16, v33
	v_lshl_add_u64 v[62:63], v[52:53], 3, s[4:5]
	s_wait_loadcnt 0x6
	v_and_b32_e32 v80, 0xffff0000, v36
	global_load_b128 v[52:55], v[18:19], off offset:1552
	global_load_b64 v[64:65], v[62:63], off
	s_wait_xcnt 0x0
	v_dual_lshlrev_b32 v62, 16, v25 :: v_dual_lshlrev_b32 v67, 16, v26
	v_and_b32_e32 v26, 0xffff0000, v25
	v_dual_lshlrev_b32 v25, 16, v34 :: v_dual_lshlrev_b32 v24, 16, v32
	v_and_b32_e32 v34, 0xffff0000, v33
	v_dual_lshlrev_b32 v33, 16, v38 :: v_dual_lshlrev_b32 v32, 16, v36
	v_lshlrev_b32_e32 v63, 16, v27
	v_and_b32_e32 v75, 0xffff0000, v30
	v_and_b32_e32 v74, 0xffff0000, v28
	;; [unrolled: 1-line block ×6, first 2 shown]
	v_dual_lshlrev_b32 v83, 16, v39 :: v_dual_lshlrev_b32 v82, 16, v37
	v_and_b32_e32 v38, 0xffff0000, v37
	v_and_b32_e32 v35, 0xffff0000, v35
	;; [unrolled: 1-line block ×3, first 2 shown]
	v_add_nc_u64_e32 v[18:19], 0x800, v[18:19]
	s_wait_loadcnt 0x6
	v_dual_lshlrev_b32 v36, 16, v56 :: v_dual_lshlrev_b32 v29, 16, v42
	v_lshlrev_b32_e32 v28, 16, v40
	v_and_b32_e32 v84, 0xffff0000, v40
	v_and_b32_e32 v40, 0xffff0000, v56
	s_delay_alu instid0(VALU_DEP_4)
	v_pk_fma_f32 v[12:13], v[66:67], v[36:37], v[12:13] op_sel_hi:[1,0,1]
	v_pk_fma_f32 v[22:23], v[72:73], v[36:37], v[22:23] op_sel_hi:[1,0,1]
	v_and_b32_e32 v85, 0xffff0000, v42
	s_wait_loadcnt 0x5
	v_dual_lshlrev_b32 v42, 16, v57 :: v_dual_lshlrev_b32 v56, 16, v58
	v_pk_fma_f32 v[12:13], v[68:69], v[40:41], v[12:13] op_sel_hi:[1,0,1]
	v_pk_fma_f32 v[22:23], v[74:75], v[40:41], v[22:23] op_sel_hi:[1,0,1]
	v_and_b32_e32 v40, 0xffff0000, v57
	v_dual_lshlrev_b32 v37, 16, v43 :: v_dual_lshlrev_b32 v36, 16, v41
	s_delay_alu instid0(VALU_DEP_4) | instskip(NEXT) | instid1(VALU_DEP_4)
	v_pk_fma_f32 v[12:13], v[62:63], v[42:43], v[12:13] op_sel_hi:[1,0,1]
	v_pk_fma_f32 v[22:23], v[70:71], v[42:43], v[22:23] op_sel_hi:[1,0,1]
	v_and_b32_e32 v67, 0xffff0000, v43
	v_and_b32_e32 v66, 0xffff0000, v41
	s_wait_loadcnt 0x4
	v_lshlrev_b32_e32 v43, 16, v46
	v_pk_fma_f32 v[12:13], v[26:27], v[40:41], v[12:13] op_sel_hi:[1,0,1]
	v_pk_fma_f32 v[22:23], v[30:31], v[40:41], v[22:23] op_sel_hi:[1,0,1]
	v_and_b32_e32 v30, 0xffff0000, v58
	v_and_b32_e32 v40, 0xffff0000, v59
	v_lshlrev_b32_e32 v42, 16, v44
	v_pk_fma_f32 v[12:13], v[24:25], v[56:57], v[12:13] op_sel_hi:[1,0,1]
	v_pk_fma_f32 v[22:23], v[28:29], v[56:57], v[22:23] op_sel_hi:[1,0,1]
	v_dual_lshlrev_b32 v24, 16, v45 :: v_dual_lshlrev_b32 v28, 16, v59
	v_and_b32_e32 v26, 0xffff0000, v44
	s_delay_alu instid0(VALU_DEP_4) | instskip(NEXT) | instid1(VALU_DEP_4)
	v_pk_fma_f32 v[12:13], v[76:77], v[30:31], v[12:13] op_sel_hi:[1,0,1]
	v_pk_fma_f32 v[22:23], v[84:85], v[30:31], v[22:23] op_sel_hi:[1,0,1]
	v_and_b32_e32 v27, 0xffff0000, v46
	v_lshlrev_b32_e32 v25, 16, v47
	v_and_b32_e32 v31, 0xffff0000, v47
	v_pk_fma_f32 v[12:13], v[78:79], v[28:29], v[12:13] op_sel_hi:[1,0,1]
	v_pk_fma_f32 v[22:23], v[36:37], v[28:29], v[22:23] op_sel_hi:[1,0,1]
	s_wait_loadcnt 0x2
	v_dual_lshlrev_b32 v37, 16, v50 :: v_dual_lshlrev_b32 v44, 16, v60
	v_and_b32_e32 v30, 0xffff0000, v45
	v_pk_fma_f32 v[12:13], v[34:35], v[40:41], v[12:13] op_sel_hi:[1,0,1]
	v_pk_fma_f32 v[22:23], v[66:67], v[40:41], v[22:23] op_sel_hi:[1,0,1]
	v_and_b32_e32 v34, 0xffff0000, v60
	v_dual_lshlrev_b32 v40, 16, v61 :: v_dual_lshlrev_b32 v36, 16, v48
	s_delay_alu instid0(VALU_DEP_4) | instskip(NEXT) | instid1(VALU_DEP_4)
	v_pk_fma_f32 v[12:13], v[32:33], v[44:45], v[12:13] op_sel_hi:[1,0,1]
	v_pk_fma_f32 v[22:23], v[42:43], v[44:45], v[22:23] op_sel_hi:[1,0,1]
	v_lshlrev_b32_e32 v32, 16, v49
	v_and_b32_e32 v28, 0xffff0000, v48
	v_and_b32_e32 v29, 0xffff0000, v50
	v_pk_fma_f32 v[12:13], v[80:81], v[34:35], v[12:13] op_sel_hi:[1,0,1]
	v_pk_fma_f32 v[22:23], v[26:27], v[34:35], v[22:23] op_sel_hi:[1,0,1]
	v_and_b32_e32 v34, 0xffff0000, v61
	v_lshlrev_b32_e32 v33, 16, v51
	v_and_b32_e32 v27, 0xffff0000, v51
	v_and_b32_e32 v26, 0xffff0000, v49
	v_pk_fma_f32 v[22:23], v[24:25], v[40:41], v[22:23] op_sel_hi:[1,0,1]
	s_wait_loadcnt 0x1
	v_lshlrev_b32_e32 v24, 16, v52
	v_pk_fma_f32 v[12:13], v[82:83], v[40:41], v[12:13] op_sel_hi:[1,0,1]
	s_wait_loadcnt 0x0
	v_dual_lshlrev_b32 v25, 16, v54 :: v_dual_lshlrev_b32 v40, 16, v64
	v_pk_fma_f32 v[22:23], v[30:31], v[34:35], v[22:23] op_sel_hi:[1,0,1]
	v_and_b32_e32 v30, 0xffff0000, v52
	v_pk_fma_f32 v[12:13], v[38:39], v[34:35], v[12:13] op_sel_hi:[1,0,1]
	v_and_b32_e32 v31, 0xffff0000, v54
	v_and_b32_e32 v34, 0xffff0000, v64
	v_pk_fma_f32 v[22:23], v[24:25], v[40:41], v[22:23] op_sel_hi:[1,0,1]
	v_lshlrev_b32_e32 v25, 16, v55
	v_pk_fma_f32 v[12:13], v[36:37], v[40:41], v[12:13] op_sel_hi:[1,0,1]
	v_lshlrev_b32_e32 v24, 16, v53
	v_lshlrev_b32_e32 v36, 16, v65
	v_pk_fma_f32 v[22:23], v[30:31], v[34:35], v[22:23] op_sel_hi:[1,0,1]
	v_and_b32_e32 v30, 0xffff0000, v65
	v_pk_fma_f32 v[12:13], v[28:29], v[34:35], v[12:13] op_sel_hi:[1,0,1]
	v_and_b32_e32 v29, 0xffff0000, v55
	v_and_b32_e32 v28, 0xffff0000, v53
	v_pk_fma_f32 v[22:23], v[24:25], v[36:37], v[22:23] op_sel_hi:[1,0,1]
	s_delay_alu instid0(VALU_DEP_4) | instskip(NEXT) | instid1(VALU_DEP_2)
	v_pk_fma_f32 v[12:13], v[32:33], v[36:37], v[12:13] op_sel_hi:[1,0,1]
	v_pk_fma_f32 v[22:23], v[28:29], v[30:31], v[22:23] op_sel_hi:[1,0,1]
	s_delay_alu instid0(VALU_DEP_2)
	v_pk_fma_f32 v[12:13], v[26:27], v[30:31], v[12:13] op_sel_hi:[1,0,1]
	s_and_not1_b32 exec_lo, exec_lo, s7
	s_cbranch_execnz .LBB117_23
; %bb.24:
	s_or_b32 exec_lo, exec_lo, s7
	v_dual_mov_b32 v21, v23 :: v_dual_mov_b32 v20, v22
.LBB117_25:
	s_or_b32 exec_lo, exec_lo, s6
.LBB117_26:
	s_delay_alu instid0(SALU_CYCLE_1)
	s_or_b32 exec_lo, exec_lo, s3
	s_cbranch_execz .LBB117_28
	s_branch .LBB117_39
.LBB117_27:
                                        ; implicit-def: $vgpr21
                                        ; implicit-def: $vgpr13
.LBB117_28:
	v_dual_mov_b32 v21, 0 :: v_dual_mov_b32 v20, 0
	v_dual_mov_b32 v13, 0 :: v_dual_mov_b32 v12, 0
	s_and_saveexec_b32 s3, s2
	s_cbranch_execz .LBB117_38
; %bb.29:
	v_dual_mov_b32 v13, v1 :: v_dual_bitop2_b32 v12, 16, v0 bitop3:0x54
	v_sub_nc_u64_e32 v[16:17], v[4:5], v[0:1]
	s_delay_alu instid0(VALU_DEP_2) | instskip(NEXT) | instid1(VALU_DEP_1)
	v_sub_nc_u64_e32 v[12:13], v[12:13], v[4:5]
	v_add_nc_u64_e32 v[12:13], v[12:13], v[14:15]
	v_not_b32_e32 v15, v15
	v_not_b32_e32 v14, v14
	s_delay_alu instid0(VALU_DEP_1) | instskip(NEXT) | instid1(VALU_DEP_4)
	v_add_nc_u64_e32 v[14:15], v[16:17], v[14:15]
	v_max_i64 v[12:13], v[12:13], v[8:9]
	s_delay_alu instid0(VALU_DEP_1) | instskip(SKIP_2) | instid1(VALU_DEP_2)
	v_add_nc_u64_e32 v[14:15], v[14:15], v[12:13]
	v_mov_b32_e32 v20, 0
	v_mov_b64_e32 v[12:13], 0
	v_dual_mov_b32 v17, v20 :: v_dual_bitop2_b32 v16, 48, v14 bitop3:0x40
	s_delay_alu instid0(VALU_DEP_1)
	v_cmp_ne_u64_e32 vcc_lo, 48, v[16:17]
	v_mov_b64_e32 v[16:17], 0
	s_and_saveexec_b32 s2, vcc_lo
	s_cbranch_execz .LBB117_33
; %bb.30:
	v_dual_lshrrev_b32 v1, 4, v14 :: v_dual_mov_b32 v13, v20
	v_lshl_add_u64 v[16:17], v[6:7], 3, s[8:9]
	s_mov_b32 s6, 0
	s_delay_alu instid0(VALU_DEP_2) | instskip(NEXT) | instid1(VALU_DEP_1)
	v_dual_mov_b32 v21, v20 :: v_dual_add_nc_u32 v1, 1, v1
	v_and_b32_e32 v12, 3, v1
	s_delay_alu instid0(VALU_DEP_1)
	v_sub_nc_u64_e32 v[18:19], 0, v[12:13]
	v_mov_b32_e32 v12, v20
.LBB117_31:                             ; =>This Inner Loop Header: Depth=1
	global_load_b64 v[22:23], v[16:17], off
	v_add_nc_u64_e32 v[18:19], 1, v[18:19]
	v_add_nc_u64_e32 v[6:7], 16, v[6:7]
	s_wait_xcnt 0x0
	v_add_nc_u64_e32 v[16:17], 0x80, v[16:17]
	s_delay_alu instid0(VALU_DEP_3)
	v_cmp_eq_u64_e32 vcc_lo, 0, v[18:19]
	s_or_b32 s6, vcc_lo, s6
	s_wait_loadcnt 0x0
	v_sub_nc_u64_e32 v[26:27], v[22:23], v[4:5]
	global_load_b128 v[22:25], v[10:11], off
	s_wait_kmcnt 0x0
	v_lshl_add_u64 v[30:31], v[26:27], 3, s[4:5]
	global_load_b64 v[32:33], v[30:31], off
	global_load_b128 v[26:29], v[10:11], off offset:16
	s_wait_xcnt 0x0
	v_add_nc_u64_e32 v[10:11], 0x200, v[10:11]
	s_wait_loadcnt 0x2
	v_and_b32_e32 v31, 0xffff0000, v22
	v_dual_lshlrev_b32 v30, 16, v22 :: v_dual_lshlrev_b32 v34, 16, v23
	v_and_b32_e32 v35, 0xffff0000, v23
	v_and_b32_e32 v23, 0xffff0000, v24
	v_dual_lshlrev_b32 v22, 16, v24 :: v_dual_lshlrev_b32 v36, 16, v25
	v_and_b32_e32 v37, 0xffff0000, v25
	s_wait_loadcnt 0x0
	v_and_b32_e32 v25, 0xffff0000, v26
	v_dual_lshlrev_b32 v24, 16, v26 :: v_dual_lshlrev_b32 v26, 16, v32
	v_and_b32_e32 v32, 0xffff0000, v32
	v_and_b32_e32 v39, 0xffff0000, v27
	v_lshlrev_b32_e32 v38, 16, v27
	s_delay_alu instid0(VALU_DEP_4) | instskip(SKIP_3) | instid1(VALU_DEP_4)
	v_pk_fma_f32 v[12:13], v[30:31], v[26:27], v[12:13] op_sel_hi:[1,0,1]
	v_pk_fma_f32 v[20:21], v[34:35], v[26:27], v[20:21] op_sel_hi:[1,0,1]
	v_and_b32_e32 v27, 0xffff0000, v28
	v_dual_lshlrev_b32 v26, 16, v28 :: v_dual_lshlrev_b32 v28, 16, v33
	v_pk_fma_f32 v[12:13], v[22:23], v[32:33], v[12:13] op_sel_hi:[1,0,1]
	s_delay_alu instid0(VALU_DEP_4)
	v_pk_fma_f32 v[20:21], v[36:37], v[32:33], v[20:21] op_sel_hi:[1,0,1]
	v_and_b32_e32 v23, 0xffff0000, v29
	v_lshlrev_b32_e32 v22, 16, v29
	v_and_b32_e32 v30, 0xffff0000, v33
	v_pk_fma_f32 v[12:13], v[24:25], v[28:29], v[12:13] op_sel_hi:[1,0,1]
	v_pk_fma_f32 v[20:21], v[38:39], v[28:29], v[20:21] op_sel_hi:[1,0,1]
	s_delay_alu instid0(VALU_DEP_2) | instskip(NEXT) | instid1(VALU_DEP_2)
	v_pk_fma_f32 v[12:13], v[26:27], v[30:31], v[12:13] op_sel_hi:[1,0,1]
	v_pk_fma_f32 v[20:21], v[22:23], v[30:31], v[20:21] op_sel_hi:[1,0,1]
	s_and_not1_b32 exec_lo, exec_lo, s6
	s_cbranch_execnz .LBB117_31
; %bb.32:
	s_or_b32 exec_lo, exec_lo, s6
	s_delay_alu instid0(VALU_DEP_1)
	v_mov_b64_e32 v[16:17], v[20:21]
.LBB117_33:
	s_or_b32 exec_lo, exec_lo, s2
	s_delay_alu instid0(SALU_CYCLE_1)
	s_mov_b32 s2, exec_lo
	v_cmpx_lt_u64_e32 47, v[14:15]
	s_cbranch_execz .LBB117_37
; %bb.34:
	v_lshl_add_u64 v[14:15], v[6:7], 3, s[8:9]
	s_mov_b32 s6, 0
	s_delay_alu instid0(VALU_DEP_1)
	v_add_nc_u64_e32 v[14:15], 0x100, v[14:15]
.LBB117_35:                             ; =>This Inner Loop Header: Depth=1
	s_clause 0x3
	global_load_b64 v[34:35], v[14:15], off offset:-256
	global_load_b64 v[36:37], v[14:15], off offset:-128
	global_load_b64 v[42:43], v[14:15], off
	global_load_b64 v[44:45], v[14:15], off offset:128
	s_clause 0x3
	global_load_b128 v[18:21], v[10:11], off
	global_load_b128 v[22:25], v[10:11], off offset:16
	global_load_b128 v[26:29], v[10:11], off offset:512
	;; [unrolled: 1-line block ×3, first 2 shown]
	v_add_nc_u64_e32 v[6:7], 64, v[6:7]
	s_wait_xcnt 0x4
	v_add_nc_u64_e32 v[14:15], 0x200, v[14:15]
	s_delay_alu instid0(VALU_DEP_2)
	v_cmp_ge_i64_e32 vcc_lo, v[6:7], v[8:9]
	s_or_b32 s6, vcc_lo, s6
	s_wait_loadcnt 0x7
	v_sub_nc_u64_e32 v[34:35], v[34:35], v[4:5]
	s_wait_loadcnt 0x6
	v_sub_nc_u64_e32 v[38:39], v[36:37], v[4:5]
	;; [unrolled: 2-line block ×3, first 2 shown]
	s_wait_loadcnt 0x3
	v_and_b32_e32 v61, 0xffff0000, v19
	v_and_b32_e32 v63, 0xffff0000, v21
	s_wait_loadcnt 0x0
	v_dual_lshlrev_b32 v68, 16, v28 :: v_dual_lshlrev_b32 v70, 16, v30
	s_wait_kmcnt 0x0
	v_lshl_add_u64 v[40:41], v[34:35], 3, s[4:5]
	v_lshl_add_u64 v[46:47], v[38:39], 3, s[4:5]
	;; [unrolled: 1-line block ×3, first 2 shown]
	v_and_b32_e32 v71, 0xffff0000, v30
	global_load_b64 v[50:51], v[40:41], off
	global_load_b128 v[34:37], v[10:11], off offset:1024
	global_load_b64 v[52:53], v[46:47], off
	global_load_b128 v[38:41], v[10:11], off offset:1040
	s_wait_xcnt 0x1
	v_sub_nc_u64_e32 v[46:47], v[44:45], v[4:5]
	global_load_b64 v[54:55], v[48:49], off
	global_load_b128 v[42:45], v[10:11], off offset:1536
	v_and_b32_e32 v73, 0xffff0000, v32
	v_dual_lshlrev_b32 v72, 16, v32 :: v_dual_lshlrev_b32 v30, 16, v33
	v_and_b32_e32 v65, 0xffff0000, v23
	v_and_b32_e32 v77, 0xffff0000, v25
	v_lshl_add_u64 v[56:57], v[46:47], 3, s[4:5]
	v_lshlrev_b32_e32 v76, 16, v25
	v_and_b32_e32 v67, 0xffff0000, v26
	global_load_b64 v[58:59], v[56:57], off
	global_load_b128 v[46:49], v[10:11], off offset:1552
	s_wait_xcnt 0x1
	v_and_b32_e32 v57, 0xffff0000, v18
	v_dual_lshlrev_b32 v56, 16, v18 :: v_dual_lshlrev_b32 v60, 16, v19
	v_and_b32_e32 v19, 0xffff0000, v20
	v_dual_lshlrev_b32 v18, 16, v20 :: v_dual_lshlrev_b32 v62, 16, v21
	v_and_b32_e32 v21, 0xffff0000, v22
	v_dual_lshlrev_b32 v20, 16, v22 :: v_dual_lshlrev_b32 v64, 16, v23
	v_and_b32_e32 v23, 0xffff0000, v24
	v_dual_lshlrev_b32 v22, 16, v24 :: v_dual_lshlrev_b32 v66, 16, v26
	v_and_b32_e32 v25, 0xffff0000, v27
	v_lshlrev_b32_e32 v24, 16, v27
	v_and_b32_e32 v69, 0xffff0000, v28
	v_and_b32_e32 v27, 0xffff0000, v29
	v_dual_lshlrev_b32 v26, 16, v29 :: v_dual_lshlrev_b32 v28, 16, v31
	v_and_b32_e32 v29, 0xffff0000, v31
	v_and_b32_e32 v31, 0xffff0000, v33
	s_wait_xcnt 0x0
	v_add_nc_u64_e32 v[10:11], 0x800, v[10:11]
	s_wait_loadcnt 0x7
	v_lshlrev_b32_e32 v32, 16, v50
	s_wait_loadcnt 0x6
	v_and_b32_e32 v75, 0xffff0000, v34
	v_lshlrev_b32_e32 v74, 16, v34
	v_and_b32_e32 v34, 0xffff0000, v50
	v_and_b32_e32 v79, 0xffff0000, v36
	v_pk_fma_f32 v[12:13], v[56:57], v[32:33], v[12:13] op_sel_hi:[1,0,1]
	v_pk_fma_f32 v[16:17], v[60:61], v[32:33], v[16:17] op_sel_hi:[1,0,1]
	v_dual_lshlrev_b32 v78, 16, v36 :: v_dual_lshlrev_b32 v32, 16, v35
	v_lshlrev_b32_e32 v36, 16, v51
	s_delay_alu instid0(VALU_DEP_4) | instskip(NEXT) | instid1(VALU_DEP_4)
	v_pk_fma_f32 v[12:13], v[18:19], v[34:35], v[12:13] op_sel_hi:[1,0,1]
	v_pk_fma_f32 v[16:17], v[62:63], v[34:35], v[16:17] op_sel_hi:[1,0,1]
	v_lshlrev_b32_e32 v18, 16, v37
	v_and_b32_e32 v34, 0xffff0000, v51
	v_and_b32_e32 v33, 0xffff0000, v35
	v_pk_fma_f32 v[12:13], v[20:21], v[36:37], v[12:13] op_sel_hi:[1,0,1]
	v_pk_fma_f32 v[16:17], v[64:65], v[36:37], v[16:17] op_sel_hi:[1,0,1]
	s_wait_loadcnt 0x4
	v_dual_lshlrev_b32 v20, 16, v38 :: v_dual_lshlrev_b32 v36, 16, v52
	v_and_b32_e32 v19, 0xffff0000, v37
	v_pk_fma_f32 v[12:13], v[22:23], v[34:35], v[12:13] op_sel_hi:[1,0,1]
	v_pk_fma_f32 v[16:17], v[76:77], v[34:35], v[16:17] op_sel_hi:[1,0,1]
	v_and_b32_e32 v34, 0xffff0000, v52
	v_and_b32_e32 v21, 0xffff0000, v38
	v_lshlrev_b32_e32 v22, 16, v40
	v_pk_fma_f32 v[12:13], v[66:67], v[36:37], v[12:13] op_sel_hi:[1,0,1]
	v_pk_fma_f32 v[16:17], v[24:25], v[36:37], v[16:17] op_sel_hi:[1,0,1]
	v_lshlrev_b32_e32 v36, 16, v53
	v_and_b32_e32 v25, 0xffff0000, v39
	v_lshlrev_b32_e32 v24, 16, v39
	v_pk_fma_f32 v[12:13], v[68:69], v[34:35], v[12:13] op_sel_hi:[1,0,1]
	v_pk_fma_f32 v[16:17], v[26:27], v[34:35], v[16:17] op_sel_hi:[1,0,1]
	v_and_b32_e32 v34, 0xffff0000, v53
	v_lshlrev_b32_e32 v26, 16, v41
	v_and_b32_e32 v23, 0xffff0000, v40
	v_and_b32_e32 v27, 0xffff0000, v41
	v_pk_fma_f32 v[16:17], v[28:29], v[36:37], v[16:17] op_sel_hi:[1,0,1]
	s_wait_loadcnt 0x2
	v_lshlrev_b32_e32 v28, 16, v42
	v_pk_fma_f32 v[12:13], v[70:71], v[36:37], v[12:13] op_sel_hi:[1,0,1]
	v_lshlrev_b32_e32 v36, 16, v54
	v_and_b32_e32 v29, 0xffff0000, v42
	v_pk_fma_f32 v[16:17], v[30:31], v[34:35], v[16:17] op_sel_hi:[1,0,1]
	v_and_b32_e32 v31, 0xffff0000, v43
	v_pk_fma_f32 v[12:13], v[72:73], v[34:35], v[12:13] op_sel_hi:[1,0,1]
	v_and_b32_e32 v34, 0xffff0000, v54
	v_lshlrev_b32_e32 v30, 16, v43
	v_pk_fma_f32 v[16:17], v[32:33], v[36:37], v[16:17] op_sel_hi:[1,0,1]
	v_and_b32_e32 v33, 0xffff0000, v44
	v_pk_fma_f32 v[12:13], v[74:75], v[36:37], v[12:13] op_sel_hi:[1,0,1]
	v_dual_lshlrev_b32 v36, 16, v55 :: v_dual_lshlrev_b32 v32, 16, v44
	s_delay_alu instid0(VALU_DEP_4) | instskip(SKIP_1) | instid1(VALU_DEP_4)
	v_pk_fma_f32 v[16:17], v[18:19], v[34:35], v[16:17] op_sel_hi:[1,0,1]
	v_lshlrev_b32_e32 v18, 16, v45
	v_pk_fma_f32 v[12:13], v[78:79], v[34:35], v[12:13] op_sel_hi:[1,0,1]
	v_and_b32_e32 v34, 0xffff0000, v55
	v_and_b32_e32 v19, 0xffff0000, v45
	v_pk_fma_f32 v[16:17], v[24:25], v[36:37], v[16:17] op_sel_hi:[1,0,1]
	s_wait_loadcnt 0x1
	v_lshlrev_b32_e32 v24, 16, v58
	v_pk_fma_f32 v[12:13], v[20:21], v[36:37], v[12:13] op_sel_hi:[1,0,1]
	s_wait_loadcnt 0x0
	v_and_b32_e32 v21, 0xffff0000, v46
	v_lshlrev_b32_e32 v20, 16, v46
	v_pk_fma_f32 v[16:17], v[26:27], v[34:35], v[16:17] op_sel_hi:[1,0,1]
	v_and_b32_e32 v26, 0xffff0000, v58
	v_pk_fma_f32 v[12:13], v[22:23], v[34:35], v[12:13] op_sel_hi:[1,0,1]
	v_and_b32_e32 v23, 0xffff0000, v48
	v_lshlrev_b32_e32 v22, 16, v48
	s_delay_alu instid0(VALU_DEP_3)
	v_pk_fma_f32 v[12:13], v[28:29], v[24:25], v[12:13] op_sel_hi:[1,0,1]
	v_lshlrev_b32_e32 v28, 16, v59
	v_pk_fma_f32 v[16:17], v[30:31], v[24:25], v[16:17] op_sel_hi:[1,0,1]
	v_and_b32_e32 v25, 0xffff0000, v47
	v_lshlrev_b32_e32 v24, 16, v47
	v_pk_fma_f32 v[12:13], v[32:33], v[26:27], v[12:13] op_sel_hi:[1,0,1]
	s_delay_alu instid0(VALU_DEP_4)
	v_pk_fma_f32 v[16:17], v[18:19], v[26:27], v[16:17] op_sel_hi:[1,0,1]
	v_and_b32_e32 v19, 0xffff0000, v49
	v_lshlrev_b32_e32 v18, 16, v49
	v_and_b32_e32 v26, 0xffff0000, v59
	v_pk_fma_f32 v[12:13], v[20:21], v[28:29], v[12:13] op_sel_hi:[1,0,1]
	v_pk_fma_f32 v[16:17], v[24:25], v[28:29], v[16:17] op_sel_hi:[1,0,1]
	s_delay_alu instid0(VALU_DEP_2) | instskip(NEXT) | instid1(VALU_DEP_2)
	v_pk_fma_f32 v[12:13], v[22:23], v[26:27], v[12:13] op_sel_hi:[1,0,1]
	v_pk_fma_f32 v[16:17], v[18:19], v[26:27], v[16:17] op_sel_hi:[1,0,1]
	s_and_not1_b32 exec_lo, exec_lo, s6
	s_cbranch_execnz .LBB117_35
; %bb.36:
	s_or_b32 exec_lo, exec_lo, s6
	s_delay_alu instid0(VALU_DEP_1)
	v_dual_mov_b32 v21, v17 :: v_dual_mov_b32 v20, v16
.LBB117_37:
	s_or_b32 exec_lo, exec_lo, s2
.LBB117_38:
	s_delay_alu instid0(SALU_CYCLE_1)
	s_or_b32 exec_lo, exec_lo, s3
.LBB117_39:
	v_mbcnt_lo_u32_b32 v1, -1, 0
	s_mov_b32 s2, -1
	s_delay_alu instid0(VALU_DEP_1) | instskip(SKIP_1) | instid1(VALU_DEP_1)
	v_xor_b32_e32 v8, 4, v1
	v_xor_b32_e32 v4, 8, v1
	v_cmp_gt_i32_e32 vcc_lo, 32, v4
	v_cndmask_b32_e32 v4, v1, v4, vcc_lo
	s_delay_alu instid0(VALU_DEP_4) | instskip(NEXT) | instid1(VALU_DEP_2)
	v_cmp_gt_i32_e32 vcc_lo, 32, v8
	v_lshlrev_b32_e32 v7, 2, v4
	v_cndmask_b32_e32 v8, v1, v8, vcc_lo
	ds_bpermute_b32 v4, v7, v12
	ds_bpermute_b32 v5, v7, v13
	;; [unrolled: 1-line block ×4, first 2 shown]
	v_lshlrev_b32_e32 v11, 2, v8
	s_wait_dscnt 0x2
	v_pk_add_f32 v[4:5], v[12:13], v[4:5]
	v_xor_b32_e32 v12, 2, v1
	s_wait_dscnt 0x0
	v_pk_add_f32 v[6:7], v[20:21], v[6:7]
	ds_bpermute_b32 v8, v11, v4
	ds_bpermute_b32 v9, v11, v5
	;; [unrolled: 1-line block ×4, first 2 shown]
	v_cmp_gt_i32_e32 vcc_lo, 32, v12
	v_cndmask_b32_e32 v12, v1, v12, vcc_lo
	s_delay_alu instid0(VALU_DEP_1)
	v_lshlrev_b32_e32 v12, 2, v12
	s_wait_dscnt 0x2
	v_pk_add_f32 v[4:5], v[4:5], v[8:9]
	s_wait_dscnt 0x0
	v_pk_add_f32 v[6:7], v[6:7], v[10:11]
	ds_bpermute_b32 v8, v12, v4
	ds_bpermute_b32 v9, v12, v5
	;; [unrolled: 1-line block ×4, first 2 shown]
	v_xor_b32_e32 v12, 1, v1
	s_delay_alu instid0(VALU_DEP_1) | instskip(SKIP_2) | instid1(VALU_DEP_2)
	v_cmp_gt_i32_e32 vcc_lo, 32, v12
	v_cndmask_b32_e32 v1, v1, v12, vcc_lo
	v_cmp_eq_u32_e32 vcc_lo, 15, v0
	v_lshlrev_b32_e32 v1, 2, v1
	s_wait_dscnt 0x2
	v_pk_add_f32 v[4:5], v[4:5], v[8:9]
	s_wait_dscnt 0x0
	v_pk_add_f32 v[8:9], v[6:7], v[10:11]
	ds_bpermute_b32 v6, v1, v4
	ds_bpermute_b32 v7, v1, v5
	;; [unrolled: 1-line block ×4, first 2 shown]
	s_and_b32 exec_lo, exec_lo, vcc_lo
	s_cbranch_execz .LBB117_10
; %bb.40:
	s_load_b64 s[0:1], s[0:1], 0x58
	s_wait_dscnt 0x2
	v_pk_add_f32 v[6:7], v[4:5], v[6:7]
	s_wait_dscnt 0x0
	v_pk_add_f32 v[4:5], v[8:9], v[10:11]
	s_cmp_eq_f32 s16, 0
	s_wait_kmcnt 0x0
	v_lshl_add_u64 v[0:1], v[2:3], 4, s[0:1]
	s_cbranch_scc0 .LBB117_42
; %bb.41:
	v_pk_mul_f32 v[8:9], s[12:13], v[6:7] op_sel_hi:[0,1]
	v_pk_mul_f32 v[10:11], s[12:13], v[4:5] op_sel_hi:[0,1]
	s_mov_b32 s2, 0
	global_store_b128 v[0:1], v[8:11], off
.LBB117_42:
	s_and_not1_b32 vcc_lo, exec_lo, s2
	s_cbranch_vccnz .LBB117_10
; %bb.43:
	global_load_b128 v[8:11], v[0:1], off
	v_pk_mul_f32 v[2:3], s[12:13], v[6:7] op_sel_hi:[0,1]
	v_pk_mul_f32 v[4:5], s[12:13], v[4:5] op_sel_hi:[0,1]
	s_wait_loadcnt 0x0
	s_delay_alu instid0(VALU_DEP_2) | instskip(NEXT) | instid1(VALU_DEP_2)
	v_pk_fma_f32 v[2:3], s[16:17], v[8:9], v[2:3] op_sel_hi:[0,1,1]
	v_pk_fma_f32 v[4:5], s[16:17], v[10:11], v[4:5] op_sel_hi:[0,1,1]
	global_store_b128 v[0:1], v[2:5], off
	s_sendmsg sendmsg(MSG_DEALLOC_VGPRS)
	s_endpgm
	.section	.rodata,"a",@progbits
	.p2align	6, 0x0
	.amdhsa_kernel _ZN9rocsparseL18bsrxmvn_4x4_kernelILj128ELj16Efll18rocsparse_bfloat16S1_fEEvT3_20rocsparse_direction_NS_24const_host_device_scalarIT1_EES2_PKS2_PKT2_SB_S8_PKT4_PKT5_S6_PT6_21rocsparse_index_base_b
		.amdhsa_group_segment_fixed_size 0
		.amdhsa_private_segment_fixed_size 0
		.amdhsa_kernarg_size 104
		.amdhsa_user_sgpr_count 2
		.amdhsa_user_sgpr_dispatch_ptr 0
		.amdhsa_user_sgpr_queue_ptr 0
		.amdhsa_user_sgpr_kernarg_segment_ptr 1
		.amdhsa_user_sgpr_dispatch_id 0
		.amdhsa_user_sgpr_kernarg_preload_length 0
		.amdhsa_user_sgpr_kernarg_preload_offset 0
		.amdhsa_user_sgpr_private_segment_size 0
		.amdhsa_wavefront_size32 1
		.amdhsa_uses_dynamic_stack 0
		.amdhsa_enable_private_segment 0
		.amdhsa_system_sgpr_workgroup_id_x 1
		.amdhsa_system_sgpr_workgroup_id_y 0
		.amdhsa_system_sgpr_workgroup_id_z 0
		.amdhsa_system_sgpr_workgroup_info 0
		.amdhsa_system_vgpr_workitem_id 0
		.amdhsa_next_free_vgpr 86
		.amdhsa_next_free_sgpr 18
		.amdhsa_named_barrier_count 0
		.amdhsa_reserve_vcc 1
		.amdhsa_float_round_mode_32 0
		.amdhsa_float_round_mode_16_64 0
		.amdhsa_float_denorm_mode_32 3
		.amdhsa_float_denorm_mode_16_64 3
		.amdhsa_fp16_overflow 0
		.amdhsa_memory_ordered 1
		.amdhsa_forward_progress 1
		.amdhsa_inst_pref_size 36
		.amdhsa_round_robin_scheduling 0
		.amdhsa_exception_fp_ieee_invalid_op 0
		.amdhsa_exception_fp_denorm_src 0
		.amdhsa_exception_fp_ieee_div_zero 0
		.amdhsa_exception_fp_ieee_overflow 0
		.amdhsa_exception_fp_ieee_underflow 0
		.amdhsa_exception_fp_ieee_inexact 0
		.amdhsa_exception_int_div_zero 0
	.end_amdhsa_kernel
	.section	.text._ZN9rocsparseL18bsrxmvn_4x4_kernelILj128ELj16Efll18rocsparse_bfloat16S1_fEEvT3_20rocsparse_direction_NS_24const_host_device_scalarIT1_EES2_PKS2_PKT2_SB_S8_PKT4_PKT5_S6_PT6_21rocsparse_index_base_b,"axG",@progbits,_ZN9rocsparseL18bsrxmvn_4x4_kernelILj128ELj16Efll18rocsparse_bfloat16S1_fEEvT3_20rocsparse_direction_NS_24const_host_device_scalarIT1_EES2_PKS2_PKT2_SB_S8_PKT4_PKT5_S6_PT6_21rocsparse_index_base_b,comdat
.Lfunc_end117:
	.size	_ZN9rocsparseL18bsrxmvn_4x4_kernelILj128ELj16Efll18rocsparse_bfloat16S1_fEEvT3_20rocsparse_direction_NS_24const_host_device_scalarIT1_EES2_PKS2_PKT2_SB_S8_PKT4_PKT5_S6_PT6_21rocsparse_index_base_b, .Lfunc_end117-_ZN9rocsparseL18bsrxmvn_4x4_kernelILj128ELj16Efll18rocsparse_bfloat16S1_fEEvT3_20rocsparse_direction_NS_24const_host_device_scalarIT1_EES2_PKS2_PKT2_SB_S8_PKT4_PKT5_S6_PT6_21rocsparse_index_base_b
                                        ; -- End function
	.set _ZN9rocsparseL18bsrxmvn_4x4_kernelILj128ELj16Efll18rocsparse_bfloat16S1_fEEvT3_20rocsparse_direction_NS_24const_host_device_scalarIT1_EES2_PKS2_PKT2_SB_S8_PKT4_PKT5_S6_PT6_21rocsparse_index_base_b.num_vgpr, 86
	.set _ZN9rocsparseL18bsrxmvn_4x4_kernelILj128ELj16Efll18rocsparse_bfloat16S1_fEEvT3_20rocsparse_direction_NS_24const_host_device_scalarIT1_EES2_PKS2_PKT2_SB_S8_PKT4_PKT5_S6_PT6_21rocsparse_index_base_b.num_agpr, 0
	.set _ZN9rocsparseL18bsrxmvn_4x4_kernelILj128ELj16Efll18rocsparse_bfloat16S1_fEEvT3_20rocsparse_direction_NS_24const_host_device_scalarIT1_EES2_PKS2_PKT2_SB_S8_PKT4_PKT5_S6_PT6_21rocsparse_index_base_b.numbered_sgpr, 18
	.set _ZN9rocsparseL18bsrxmvn_4x4_kernelILj128ELj16Efll18rocsparse_bfloat16S1_fEEvT3_20rocsparse_direction_NS_24const_host_device_scalarIT1_EES2_PKS2_PKT2_SB_S8_PKT4_PKT5_S6_PT6_21rocsparse_index_base_b.num_named_barrier, 0
	.set _ZN9rocsparseL18bsrxmvn_4x4_kernelILj128ELj16Efll18rocsparse_bfloat16S1_fEEvT3_20rocsparse_direction_NS_24const_host_device_scalarIT1_EES2_PKS2_PKT2_SB_S8_PKT4_PKT5_S6_PT6_21rocsparse_index_base_b.private_seg_size, 0
	.set _ZN9rocsparseL18bsrxmvn_4x4_kernelILj128ELj16Efll18rocsparse_bfloat16S1_fEEvT3_20rocsparse_direction_NS_24const_host_device_scalarIT1_EES2_PKS2_PKT2_SB_S8_PKT4_PKT5_S6_PT6_21rocsparse_index_base_b.uses_vcc, 1
	.set _ZN9rocsparseL18bsrxmvn_4x4_kernelILj128ELj16Efll18rocsparse_bfloat16S1_fEEvT3_20rocsparse_direction_NS_24const_host_device_scalarIT1_EES2_PKS2_PKT2_SB_S8_PKT4_PKT5_S6_PT6_21rocsparse_index_base_b.uses_flat_scratch, 0
	.set _ZN9rocsparseL18bsrxmvn_4x4_kernelILj128ELj16Efll18rocsparse_bfloat16S1_fEEvT3_20rocsparse_direction_NS_24const_host_device_scalarIT1_EES2_PKS2_PKT2_SB_S8_PKT4_PKT5_S6_PT6_21rocsparse_index_base_b.has_dyn_sized_stack, 0
	.set _ZN9rocsparseL18bsrxmvn_4x4_kernelILj128ELj16Efll18rocsparse_bfloat16S1_fEEvT3_20rocsparse_direction_NS_24const_host_device_scalarIT1_EES2_PKS2_PKT2_SB_S8_PKT4_PKT5_S6_PT6_21rocsparse_index_base_b.has_recursion, 0
	.set _ZN9rocsparseL18bsrxmvn_4x4_kernelILj128ELj16Efll18rocsparse_bfloat16S1_fEEvT3_20rocsparse_direction_NS_24const_host_device_scalarIT1_EES2_PKS2_PKT2_SB_S8_PKT4_PKT5_S6_PT6_21rocsparse_index_base_b.has_indirect_call, 0
	.section	.AMDGPU.csdata,"",@progbits
; Kernel info:
; codeLenInByte = 4520
; TotalNumSgprs: 20
; NumVgprs: 86
; ScratchSize: 0
; MemoryBound: 0
; FloatMode: 240
; IeeeMode: 1
; LDSByteSize: 0 bytes/workgroup (compile time only)
; SGPRBlocks: 0
; VGPRBlocks: 5
; NumSGPRsForWavesPerEU: 20
; NumVGPRsForWavesPerEU: 86
; NamedBarCnt: 0
; Occupancy: 10
; WaveLimiterHint : 1
; COMPUTE_PGM_RSRC2:SCRATCH_EN: 0
; COMPUTE_PGM_RSRC2:USER_SGPR: 2
; COMPUTE_PGM_RSRC2:TRAP_HANDLER: 0
; COMPUTE_PGM_RSRC2:TGID_X_EN: 1
; COMPUTE_PGM_RSRC2:TGID_Y_EN: 0
; COMPUTE_PGM_RSRC2:TGID_Z_EN: 0
; COMPUTE_PGM_RSRC2:TIDIG_COMP_CNT: 0
	.section	.text._ZN9rocsparseL18bsrxmvn_4x4_kernelILj128ELj32Efll18rocsparse_bfloat16S1_fEEvT3_20rocsparse_direction_NS_24const_host_device_scalarIT1_EES2_PKS2_PKT2_SB_S8_PKT4_PKT5_S6_PT6_21rocsparse_index_base_b,"axG",@progbits,_ZN9rocsparseL18bsrxmvn_4x4_kernelILj128ELj32Efll18rocsparse_bfloat16S1_fEEvT3_20rocsparse_direction_NS_24const_host_device_scalarIT1_EES2_PKS2_PKT2_SB_S8_PKT4_PKT5_S6_PT6_21rocsparse_index_base_b,comdat
	.globl	_ZN9rocsparseL18bsrxmvn_4x4_kernelILj128ELj32Efll18rocsparse_bfloat16S1_fEEvT3_20rocsparse_direction_NS_24const_host_device_scalarIT1_EES2_PKS2_PKT2_SB_S8_PKT4_PKT5_S6_PT6_21rocsparse_index_base_b ; -- Begin function _ZN9rocsparseL18bsrxmvn_4x4_kernelILj128ELj32Efll18rocsparse_bfloat16S1_fEEvT3_20rocsparse_direction_NS_24const_host_device_scalarIT1_EES2_PKS2_PKT2_SB_S8_PKT4_PKT5_S6_PT6_21rocsparse_index_base_b
	.p2align	8
	.type	_ZN9rocsparseL18bsrxmvn_4x4_kernelILj128ELj32Efll18rocsparse_bfloat16S1_fEEvT3_20rocsparse_direction_NS_24const_host_device_scalarIT1_EES2_PKS2_PKT2_SB_S8_PKT4_PKT5_S6_PT6_21rocsparse_index_base_b,@function
_ZN9rocsparseL18bsrxmvn_4x4_kernelILj128ELj32Efll18rocsparse_bfloat16S1_fEEvT3_20rocsparse_direction_NS_24const_host_device_scalarIT1_EES2_PKS2_PKT2_SB_S8_PKT4_PKT5_S6_PT6_21rocsparse_index_base_b: ; @_ZN9rocsparseL18bsrxmvn_4x4_kernelILj128ELj32Efll18rocsparse_bfloat16S1_fEEvT3_20rocsparse_direction_NS_24const_host_device_scalarIT1_EES2_PKS2_PKT2_SB_S8_PKT4_PKT5_S6_PT6_21rocsparse_index_base_b
; %bb.0:
	s_clause 0x2
	s_load_b64 s[2:3], s[0:1], 0x60
	s_load_b128 s[12:15], s[0:1], 0x10
	s_load_b64 s[16:17], s[0:1], 0x50
	s_wait_kmcnt 0x0
	s_bitcmp1_b32 s3, 0
	s_cselect_b32 s3, -1, 0
	s_delay_alu instid0(SALU_CYCLE_1)
	s_and_b32 vcc_lo, exec_lo, s3
	s_xor_b32 s3, s3, -1
	s_cbranch_vccnz .LBB118_2
; %bb.1:
	s_load_b32 s12, s[12:13], 0x0
.LBB118_2:
	s_and_not1_b32 vcc_lo, exec_lo, s3
	s_cbranch_vccnz .LBB118_4
; %bb.3:
	s_load_b32 s16, s[16:17], 0x0
.LBB118_4:
	s_wait_kmcnt 0x0
	s_cmp_neq_f32 s12, 0
	s_mov_b32 s6, 0
	s_cselect_b32 s3, -1, 0
	s_cmp_neq_f32 s16, 1.0
	s_cselect_b32 s4, -1, 0
	s_delay_alu instid0(SALU_CYCLE_1) | instskip(NEXT) | instid1(SALU_CYCLE_1)
	s_or_b32 s3, s3, s4
	s_and_not1_b32 vcc_lo, exec_lo, s3
	s_cbranch_vccnz .LBB118_10
; %bb.5:
	s_load_b64 s[4:5], s[0:1], 0x20
	s_bfe_u32 s3, ttmp6, 0x4000c
	s_and_b32 s7, ttmp6, 15
	s_add_co_i32 s3, s3, 1
	s_getreg_b32 s8, hwreg(HW_REG_IB_STS2, 6, 4)
	s_mul_i32 s3, ttmp9, s3
	v_dual_lshrrev_b32 v1, 5, v0 :: v_dual_mov_b32 v7, 0
	s_add_co_i32 s7, s7, s3
	s_cmp_eq_u32 s8, 0
	s_cselect_b32 s3, ttmp9, s7
	s_delay_alu instid0(VALU_DEP_1) | instid1(SALU_CYCLE_1)
	v_lshl_or_b32 v6, s3, 2, v1
	s_wait_kmcnt 0x0
	s_cmp_lg_u64 s[4:5], 0
	s_cbranch_scc0 .LBB118_11
; %bb.6:
	s_mov_b32 s7, 0
                                        ; implicit-def: $vgpr2_vgpr3
                                        ; implicit-def: $vgpr4_vgpr5
	s_mov_b32 s3, exec_lo
	v_cmpx_gt_i64_e64 s[14:15], v[6:7]
	s_xor_b32 s8, exec_lo, s3
	s_cbranch_execz .LBB118_8
; %bb.7:
	v_lshl_add_u64 v[2:3], v[6:7], 3, s[4:5]
	s_mov_b32 s3, 0
	s_mov_b32 s6, exec_lo
	v_mov_b64_e32 v[4:5], s[2:3]
	global_load_b64 v[2:3], v[2:3], off
	s_wait_loadcnt 0x0
	v_sub_nc_u64_e64 v[2:3], v[2:3], s[2:3]
.LBB118_8:
	s_or_b32 exec_lo, exec_lo, s8
	s_delay_alu instid0(SALU_CYCLE_1)
	s_and_b32 vcc_lo, exec_lo, s7
	s_cbranch_vccnz .LBB118_12
.LBB118_9:
	s_and_saveexec_b32 s2, s6
	s_cbranch_execnz .LBB118_15
.LBB118_10:
	s_sendmsg sendmsg(MSG_DEALLOC_VGPRS)
	s_endpgm
.LBB118_11:
                                        ; implicit-def: $vgpr2_vgpr3
                                        ; implicit-def: $vgpr4_vgpr5
	s_cbranch_execz .LBB118_9
.LBB118_12:
	s_load_b64 s[4:5], s[0:1], 0x0
	s_wait_kmcnt 0x0
	v_cmp_gt_i64_e32 vcc_lo, s[4:5], v[6:7]
	s_and_saveexec_b32 s4, vcc_lo
; %bb.13:
	s_mov_b32 s3, 0
	s_or_b32 s6, s6, exec_lo
; %bb.14:
	s_or_b32 exec_lo, exec_lo, s4
	v_mov_b64_e32 v[4:5], s[2:3]
	v_mov_b64_e32 v[2:3], v[6:7]
	s_and_saveexec_b32 s2, s6
	s_cbranch_execz .LBB118_10
.LBB118_15:
	s_load_b256 s[4:11], s[0:1], 0x28
	s_delay_alu instid0(VALU_DEP_1) | instskip(SKIP_3) | instid1(VALU_DEP_2)
	v_lshlrev_b64_e32 v[6:7], 3, v[2:3]
	v_dual_mov_b32 v1, 0 :: v_dual_bitop2_b32 v0, 31, v0 bitop3:0x40
	s_load_b32 s3, s[0:1], 0x8
	s_wait_kmcnt 0x0
	v_add_nc_u64_e32 v[8:9], s[4:5], v[6:7]
	v_add_nc_u64_e32 v[6:7], s[6:7], v[6:7]
	s_cmp_eq_u64 s[6:7], 0
	s_load_b64 s[4:5], s[0:1], 0x48
	s_cselect_b32 vcc_lo, -1, 0
	s_cmp_eq_u32 s3, 1
	global_load_b64 v[14:15], v[8:9], off
	s_wait_xcnt 0x0
	v_add_nc_u64_e32 v[8:9], 8, v[8:9]
	s_delay_alu instid0(VALU_DEP_1) | instskip(SKIP_4) | instid1(VALU_DEP_1)
	v_dual_cndmask_b32 v7, v7, v9 :: v_dual_cndmask_b32 v6, v6, v8
	global_load_b64 v[8:9], v[6:7], off
	s_wait_loadcnt 0x1
	s_wait_xcnt 0x0
	v_sub_nc_u64_e32 v[6:7], v[14:15], v[4:5]
	v_add_nc_u64_e32 v[6:7], v[6:7], v[0:1]
	s_wait_loadcnt 0x0
	v_sub_nc_u64_e32 v[8:9], v[8:9], v[4:5]
	s_delay_alu instid0(VALU_DEP_2) | instskip(NEXT) | instid1(VALU_DEP_2)
	v_lshlrev_b64_e32 v[10:11], 5, v[6:7]
	v_cmp_lt_i64_e64 s2, v[6:7], v[8:9]
	s_delay_alu instid0(VALU_DEP_2)
	v_add_nc_u64_e32 v[10:11], s[10:11], v[10:11]
	s_cbranch_scc1 .LBB118_27
; %bb.16:
	v_dual_mov_b32 v21, v1 :: v_dual_mov_b32 v20, v1
	v_dual_mov_b32 v13, v1 :: v_dual_mov_b32 v12, v1
	s_and_saveexec_b32 s3, s2
	s_cbranch_execz .LBB118_26
; %bb.17:
	v_dual_mov_b32 v13, v1 :: v_dual_bitop2_b32 v12, 32, v0 bitop3:0x54
	v_sub_nc_u64_e32 v[16:17], v[4:5], v[0:1]
	v_not_b32_e32 v19, v15
	v_not_b32_e32 v18, v14
	v_mov_b32_e32 v20, 0
	v_sub_nc_u64_e32 v[12:13], v[12:13], v[4:5]
	v_mov_b64_e32 v[22:23], 0
	s_delay_alu instid0(VALU_DEP_4) | instskip(SKIP_1) | instid1(VALU_DEP_4)
	v_add_nc_u64_e32 v[16:17], v[16:17], v[18:19]
	v_mov_b64_e32 v[18:19], v[10:11]
	v_add_nc_u64_e32 v[12:13], v[12:13], v[14:15]
	s_delay_alu instid0(VALU_DEP_1) | instskip(NEXT) | instid1(VALU_DEP_1)
	v_max_i64 v[12:13], v[12:13], v[8:9]
	v_add_nc_u64_e32 v[24:25], v[16:17], v[12:13]
	v_mov_b32_e32 v17, v20
	v_mov_b64_e32 v[12:13], 0
	s_delay_alu instid0(VALU_DEP_3) | instskip(NEXT) | instid1(VALU_DEP_1)
	v_and_b32_e32 v16, 0x60, v24
	v_cmp_ne_u64_e32 vcc_lo, 0x60, v[16:17]
	v_mov_b64_e32 v[16:17], v[6:7]
	s_and_saveexec_b32 s6, vcc_lo
	s_cbranch_execz .LBB118_21
; %bb.18:
	v_dual_mov_b32 v13, v20 :: v_dual_lshrrev_b32 v12, 5, v24
	v_mov_b64_e32 v[18:19], v[10:11]
	v_mov_b64_e32 v[16:17], v[6:7]
	v_lshl_add_u64 v[22:23], v[6:7], 3, s[8:9]
	s_delay_alu instid0(VALU_DEP_4) | instskip(SKIP_1) | instid1(VALU_DEP_1)
	v_dual_mov_b32 v21, v20 :: v_dual_add_nc_u32 v12, 1, v12
	s_mov_b32 s7, 0
	v_and_b32_e32 v12, 3, v12
	s_delay_alu instid0(VALU_DEP_1)
	v_sub_nc_u64_e32 v[26:27], 0, v[12:13]
	v_mov_b32_e32 v12, v20
.LBB118_19:                             ; =>This Inner Loop Header: Depth=1
	global_load_b64 v[28:29], v[22:23], off
	v_add_nc_u64_e32 v[26:27], 1, v[26:27]
	v_add_nc_u64_e32 v[16:17], 32, v[16:17]
	s_wait_xcnt 0x0
	v_add_nc_u64_e32 v[22:23], 0x100, v[22:23]
	s_delay_alu instid0(VALU_DEP_3) | instskip(SKIP_4) | instid1(VALU_DEP_1)
	v_cmp_eq_u64_e32 vcc_lo, 0, v[26:27]
	s_or_b32 s7, vcc_lo, s7
	s_wait_loadcnt 0x0
	v_sub_nc_u64_e32 v[28:29], v[28:29], v[4:5]
	s_wait_kmcnt 0x0
	v_lshl_add_u64 v[36:37], v[28:29], 3, s[4:5]
	s_clause 0x1
	global_load_b128 v[28:31], v[18:19], off
	global_load_b128 v[32:35], v[18:19], off offset:16
	global_load_b64 v[38:39], v[36:37], off
	s_wait_xcnt 0x1
	v_add_nc_u64_e32 v[18:19], 0x400, v[18:19]
	s_wait_loadcnt 0x2
	s_wait_xcnt 0x0
	v_and_b32_e32 v36, 0xffff0000, v29
	v_dual_lshlrev_b32 v41, 16, v30 :: v_dual_lshlrev_b32 v40, 16, v28
	v_and_b32_e32 v43, 0xffff0000, v30
	v_and_b32_e32 v42, 0xffff0000, v28
	v_dual_lshlrev_b32 v45, 16, v31 :: v_dual_lshlrev_b32 v44, 16, v29
	s_wait_loadcnt 0x1
	v_dual_lshlrev_b32 v29, 16, v34 :: v_dual_lshlrev_b32 v28, 16, v32
	s_wait_loadcnt 0x0
	v_lshlrev_b32_e32 v30, 16, v38
	v_and_b32_e32 v47, 0xffff0000, v34
	v_and_b32_e32 v46, 0xffff0000, v32
	;; [unrolled: 1-line block ×4, first 2 shown]
	v_pk_fma_f32 v[20:21], v[28:29], v[30:31], v[20:21] op_sel_hi:[1,0,1]
	v_lshlrev_b32_e32 v29, 16, v35
	v_pk_fma_f32 v[12:13], v[40:41], v[30:31], v[12:13] op_sel_hi:[1,0,1]
	v_dual_lshlrev_b32 v28, 16, v33 :: v_dual_lshlrev_b32 v30, 16, v39
	s_delay_alu instid0(VALU_DEP_4) | instskip(SKIP_1) | instid1(VALU_DEP_4)
	v_pk_fma_f32 v[20:21], v[46:47], v[32:33], v[20:21] op_sel_hi:[1,0,1]
	v_and_b32_e32 v34, 0xffff0000, v39
	v_pk_fma_f32 v[12:13], v[42:43], v[32:33], v[12:13] op_sel_hi:[1,0,1]
	v_and_b32_e32 v32, 0xffff0000, v33
	v_and_b32_e32 v33, 0xffff0000, v35
	v_pk_fma_f32 v[20:21], v[28:29], v[30:31], v[20:21] op_sel_hi:[1,0,1]
	s_delay_alu instid0(VALU_DEP_4) | instskip(NEXT) | instid1(VALU_DEP_2)
	v_pk_fma_f32 v[12:13], v[44:45], v[30:31], v[12:13] op_sel_hi:[1,0,1]
	v_pk_fma_f32 v[20:21], v[32:33], v[34:35], v[20:21] op_sel_hi:[1,0,1]
	s_delay_alu instid0(VALU_DEP_2)
	v_pk_fma_f32 v[12:13], v[36:37], v[34:35], v[12:13] op_sel_hi:[1,0,1]
	s_and_not1_b32 exec_lo, exec_lo, s7
	s_cbranch_execnz .LBB118_19
; %bb.20:
	s_or_b32 exec_lo, exec_lo, s7
	v_mov_b64_e32 v[22:23], v[20:21]
.LBB118_21:
	s_or_b32 exec_lo, exec_lo, s6
	s_delay_alu instid0(SALU_CYCLE_1)
	s_mov_b32 s6, exec_lo
	v_cmpx_lt_u64_e32 0x5f, v[24:25]
	s_cbranch_execz .LBB118_25
; %bb.22:
	v_lshl_add_u64 v[20:21], v[16:17], 3, s[8:9]
	s_mov_b32 s7, 0
	s_delay_alu instid0(VALU_DEP_1)
	v_add_nc_u64_e32 v[20:21], 0x200, v[20:21]
.LBB118_23:                             ; =>This Inner Loop Header: Depth=1
	s_clause 0x3
	global_load_b64 v[48:49], v[20:21], off offset:-512
	global_load_b64 v[50:51], v[20:21], off offset:-256
	global_load_b64 v[52:53], v[20:21], off
	global_load_b64 v[54:55], v[20:21], off offset:256
	s_clause 0x5
	global_load_b128 v[24:27], v[18:19], off
	global_load_b128 v[28:31], v[18:19], off offset:16
	global_load_b128 v[32:35], v[18:19], off offset:1024
	;; [unrolled: 1-line block ×5, first 2 shown]
	v_add_nc_u64_e32 v[16:17], 0x80, v[16:17]
	s_wait_xcnt 0x6
	v_add_nc_u64_e32 v[20:21], 0x400, v[20:21]
	s_delay_alu instid0(VALU_DEP_2)
	v_cmp_ge_i64_e32 vcc_lo, v[16:17], v[8:9]
	s_or_b32 s7, vcc_lo, s7
	s_wait_loadcnt 0x9
	v_sub_nc_u64_e32 v[48:49], v[48:49], v[4:5]
	s_wait_loadcnt 0x8
	v_sub_nc_u64_e32 v[50:51], v[50:51], v[4:5]
	;; [unrolled: 2-line block ×4, first 2 shown]
	s_wait_loadcnt 0x5
	v_dual_lshlrev_b32 v67, 16, v26 :: v_dual_lshlrev_b32 v66, 16, v24
	v_and_b32_e32 v69, 0xffff0000, v26
	s_wait_kmcnt 0x0
	v_lshl_add_u64 v[56:57], v[48:49], 3, s[4:5]
	v_lshl_add_u64 v[58:59], v[50:51], 3, s[4:5]
	v_lshl_add_u64 v[52:53], v[52:53], 3, s[4:5]
	v_dual_lshlrev_b32 v71, 16, v27 :: v_dual_lshlrev_b32 v70, 16, v25
	s_clause 0x2
	global_load_b64 v[60:61], v[56:57], off
	global_load_b64 v[62:63], v[58:59], off
	;; [unrolled: 1-line block ×3, first 2 shown]
	global_load_b128 v[48:51], v[18:19], off offset:3072
	s_wait_xcnt 0x3
	v_lshl_add_u64 v[56:57], v[54:55], 3, s[4:5]
	v_and_b32_e32 v68, 0xffff0000, v24
	s_wait_loadcnt 0x8
	v_and_b32_e32 v73, 0xffff0000, v30
	global_load_b128 v[52:55], v[18:19], off offset:3088
	global_load_b64 v[58:59], v[56:57], off
	s_wait_xcnt 0x0
	v_and_b32_e32 v57, 0xffff0000, v27
	v_dual_lshlrev_b32 v27, 16, v30 :: v_dual_lshlrev_b32 v26, 16, v28
	v_and_b32_e32 v72, 0xffff0000, v28
	s_wait_loadcnt 0x9
	v_dual_lshlrev_b32 v30, 16, v32 :: v_dual_lshlrev_b32 v79, 16, v35
	v_and_b32_e32 v76, 0xffff0000, v32
	s_wait_loadcnt 0x7
	v_dual_lshlrev_b32 v32, 16, v40 :: v_dual_lshlrev_b32 v83, 16, v43
	v_and_b32_e32 v80, 0xffff0000, v40
	v_dual_lshlrev_b32 v75, 16, v31 :: v_dual_lshlrev_b32 v74, 16, v29
	v_and_b32_e32 v56, 0xffff0000, v25
	v_and_b32_e32 v24, 0xffff0000, v29
	;; [unrolled: 1-line block ×4, first 2 shown]
	v_lshlrev_b32_e32 v78, 16, v33
	v_and_b32_e32 v81, 0xffff0000, v42
	v_lshlrev_b32_e32 v82, 16, v41
	v_and_b32_e32 v35, 0xffff0000, v35
	v_and_b32_e32 v43, 0xffff0000, v43
	v_add_nc_u64_e32 v[18:19], 0x1000, v[18:19]
	v_lshlrev_b32_e32 v31, 16, v34
	v_and_b32_e32 v34, 0xffff0000, v33
	v_lshlrev_b32_e32 v33, 16, v42
	v_and_b32_e32 v42, 0xffff0000, v41
	s_wait_loadcnt 0x5
	v_lshlrev_b32_e32 v84, 16, v60
	s_wait_loadcnt 0x2
	v_dual_lshlrev_b32 v40, 16, v48 :: v_dual_lshlrev_b32 v29, 16, v51
	s_delay_alu instid0(VALU_DEP_2)
	v_pk_fma_f32 v[12:13], v[66:67], v[84:85], v[12:13] op_sel_hi:[1,0,1]
	v_and_b32_e32 v66, 0xffff0000, v48
	v_lshlrev_b32_e32 v48, 16, v61
	v_pk_fma_f32 v[22:23], v[26:27], v[84:85], v[22:23] op_sel_hi:[1,0,1]
	v_and_b32_e32 v26, 0xffff0000, v60
	v_dual_lshlrev_b32 v28, 16, v49 :: v_dual_lshlrev_b32 v41, 16, v50
	v_and_b32_e32 v67, 0xffff0000, v50
	v_and_b32_e32 v50, 0xffff0000, v61
	s_delay_alu instid0(VALU_DEP_4)
	v_pk_fma_f32 v[12:13], v[68:69], v[26:27], v[12:13] op_sel_hi:[1,0,1]
	v_pk_fma_f32 v[22:23], v[72:73], v[26:27], v[22:23] op_sel_hi:[1,0,1]
	v_and_b32_e32 v26, 0xffff0000, v49
	v_lshlrev_b32_e32 v60, 16, v62
	v_and_b32_e32 v27, 0xffff0000, v51
	v_pk_fma_f32 v[12:13], v[70:71], v[48:49], v[12:13] op_sel_hi:[1,0,1]
	v_pk_fma_f32 v[22:23], v[74:75], v[48:49], v[22:23] op_sel_hi:[1,0,1]
	v_dual_lshlrev_b32 v49, 16, v38 :: v_dual_lshlrev_b32 v48, 16, v36
	s_delay_alu instid0(VALU_DEP_3) | instskip(NEXT) | instid1(VALU_DEP_3)
	v_pk_fma_f32 v[12:13], v[56:57], v[50:51], v[12:13] op_sel_hi:[1,0,1]
	v_pk_fma_f32 v[22:23], v[24:25], v[50:51], v[22:23] op_sel_hi:[1,0,1]
	v_and_b32_e32 v25, 0xffff0000, v38
	v_and_b32_e32 v24, 0xffff0000, v36
	;; [unrolled: 1-line block ×3, first 2 shown]
	v_pk_fma_f32 v[12:13], v[30:31], v[60:61], v[12:13] op_sel_hi:[1,0,1]
	v_lshlrev_b32_e32 v31, 16, v39
	v_pk_fma_f32 v[22:23], v[48:49], v[60:61], v[22:23] op_sel_hi:[1,0,1]
	v_dual_lshlrev_b32 v30, 16, v37 :: v_dual_lshlrev_b32 v38, 16, v63
	s_delay_alu instid0(VALU_DEP_4) | instskip(NEXT) | instid1(VALU_DEP_3)
	v_pk_fma_f32 v[12:13], v[76:77], v[36:37], v[12:13] op_sel_hi:[1,0,1]
	v_pk_fma_f32 v[22:23], v[24:25], v[36:37], v[22:23] op_sel_hi:[1,0,1]
	v_and_b32_e32 v25, 0xffff0000, v39
	v_and_b32_e32 v24, 0xffff0000, v37
	;; [unrolled: 1-line block ×3, first 2 shown]
	v_pk_fma_f32 v[12:13], v[78:79], v[38:39], v[12:13] op_sel_hi:[1,0,1]
	v_pk_fma_f32 v[22:23], v[30:31], v[38:39], v[22:23] op_sel_hi:[1,0,1]
	v_dual_lshlrev_b32 v31, 16, v46 :: v_dual_lshlrev_b32 v30, 16, v44
	v_lshlrev_b32_e32 v38, 16, v64
	s_delay_alu instid0(VALU_DEP_4) | instskip(NEXT) | instid1(VALU_DEP_4)
	v_pk_fma_f32 v[12:13], v[34:35], v[36:37], v[12:13] op_sel_hi:[1,0,1]
	v_pk_fma_f32 v[22:23], v[24:25], v[36:37], v[22:23] op_sel_hi:[1,0,1]
	v_and_b32_e32 v25, 0xffff0000, v46
	v_and_b32_e32 v24, 0xffff0000, v44
	;; [unrolled: 1-line block ×3, first 2 shown]
	s_delay_alu instid0(VALU_DEP_4)
	v_pk_fma_f32 v[22:23], v[30:31], v[38:39], v[22:23] op_sel_hi:[1,0,1]
	v_lshlrev_b32_e32 v31, 16, v47
	v_pk_fma_f32 v[12:13], v[32:33], v[38:39], v[12:13] op_sel_hi:[1,0,1]
	v_lshlrev_b32_e32 v30, 16, v45
	v_lshlrev_b32_e32 v32, 16, v65
	v_pk_fma_f32 v[22:23], v[24:25], v[34:35], v[22:23] op_sel_hi:[1,0,1]
	v_and_b32_e32 v25, 0xffff0000, v47
	v_pk_fma_f32 v[12:13], v[80:81], v[34:35], v[12:13] op_sel_hi:[1,0,1]
	v_and_b32_e32 v24, 0xffff0000, v45
	v_and_b32_e32 v34, 0xffff0000, v65
	v_pk_fma_f32 v[22:23], v[30:31], v[32:33], v[22:23] op_sel_hi:[1,0,1]
	s_wait_loadcnt 0x1
	v_lshlrev_b32_e32 v30, 16, v52
	v_pk_fma_f32 v[12:13], v[82:83], v[32:33], v[12:13] op_sel_hi:[1,0,1]
	v_lshlrev_b32_e32 v31, 16, v54
	s_wait_loadcnt 0x0
	v_lshlrev_b32_e32 v32, 16, v58
	v_pk_fma_f32 v[22:23], v[24:25], v[34:35], v[22:23] op_sel_hi:[1,0,1]
	v_and_b32_e32 v25, 0xffff0000, v54
	v_pk_fma_f32 v[12:13], v[42:43], v[34:35], v[12:13] op_sel_hi:[1,0,1]
	v_and_b32_e32 v24, 0xffff0000, v52
	v_and_b32_e32 v34, 0xffff0000, v58
	v_pk_fma_f32 v[22:23], v[30:31], v[32:33], v[22:23] op_sel_hi:[1,0,1]
	v_lshlrev_b32_e32 v30, 16, v53
	v_pk_fma_f32 v[12:13], v[40:41], v[32:33], v[12:13] op_sel_hi:[1,0,1]
	v_lshlrev_b32_e32 v31, 16, v55
	v_lshlrev_b32_e32 v32, 16, v59
	v_pk_fma_f32 v[22:23], v[24:25], v[34:35], v[22:23] op_sel_hi:[1,0,1]
	v_and_b32_e32 v25, 0xffff0000, v55
	v_pk_fma_f32 v[12:13], v[66:67], v[34:35], v[12:13] op_sel_hi:[1,0,1]
	v_and_b32_e32 v24, 0xffff0000, v53
	v_and_b32_e32 v34, 0xffff0000, v59
	v_pk_fma_f32 v[22:23], v[30:31], v[32:33], v[22:23] op_sel_hi:[1,0,1]
	s_delay_alu instid0(VALU_DEP_4) | instskip(NEXT) | instid1(VALU_DEP_2)
	v_pk_fma_f32 v[12:13], v[28:29], v[32:33], v[12:13] op_sel_hi:[1,0,1]
	v_pk_fma_f32 v[22:23], v[24:25], v[34:35], v[22:23] op_sel_hi:[1,0,1]
	s_delay_alu instid0(VALU_DEP_2)
	v_pk_fma_f32 v[12:13], v[26:27], v[34:35], v[12:13] op_sel_hi:[1,0,1]
	s_and_not1_b32 exec_lo, exec_lo, s7
	s_cbranch_execnz .LBB118_23
; %bb.24:
	s_or_b32 exec_lo, exec_lo, s7
	v_dual_mov_b32 v21, v23 :: v_dual_mov_b32 v20, v22
.LBB118_25:
	s_or_b32 exec_lo, exec_lo, s6
.LBB118_26:
	s_delay_alu instid0(SALU_CYCLE_1)
	s_or_b32 exec_lo, exec_lo, s3
	s_cbranch_execz .LBB118_28
	s_branch .LBB118_39
.LBB118_27:
                                        ; implicit-def: $vgpr21
                                        ; implicit-def: $vgpr13
.LBB118_28:
	v_dual_mov_b32 v21, 0 :: v_dual_mov_b32 v20, 0
	v_dual_mov_b32 v13, 0 :: v_dual_mov_b32 v12, 0
	s_and_saveexec_b32 s3, s2
	s_cbranch_execz .LBB118_38
; %bb.29:
	v_dual_mov_b32 v13, v1 :: v_dual_bitop2_b32 v12, 32, v0 bitop3:0x54
	v_sub_nc_u64_e32 v[16:17], v[4:5], v[0:1]
	v_mov_b32_e32 v20, 0
	s_delay_alu instid0(VALU_DEP_3) | instskip(NEXT) | instid1(VALU_DEP_1)
	v_sub_nc_u64_e32 v[12:13], v[12:13], v[4:5]
	v_add_nc_u64_e32 v[12:13], v[12:13], v[14:15]
	v_not_b32_e32 v15, v15
	v_not_b32_e32 v14, v14
	s_delay_alu instid0(VALU_DEP_1) | instskip(NEXT) | instid1(VALU_DEP_4)
	v_add_nc_u64_e32 v[14:15], v[16:17], v[14:15]
	v_max_i64 v[12:13], v[12:13], v[8:9]
	v_mov_b32_e32 v17, v20
	s_delay_alu instid0(VALU_DEP_2) | instskip(SKIP_1) | instid1(VALU_DEP_2)
	v_add_nc_u64_e32 v[14:15], v[14:15], v[12:13]
	v_mov_b64_e32 v[12:13], 0
	v_and_b32_e32 v16, 0x60, v14
	s_delay_alu instid0(VALU_DEP_1)
	v_cmp_ne_u64_e32 vcc_lo, 0x60, v[16:17]
	v_mov_b64_e32 v[16:17], 0
	s_and_saveexec_b32 s2, vcc_lo
	s_cbranch_execz .LBB118_33
; %bb.30:
	v_dual_lshrrev_b32 v1, 5, v14 :: v_dual_mov_b32 v13, v20
	v_lshl_add_u64 v[16:17], v[6:7], 3, s[8:9]
	s_mov_b32 s6, 0
	s_delay_alu instid0(VALU_DEP_2) | instskip(NEXT) | instid1(VALU_DEP_1)
	v_dual_mov_b32 v21, v20 :: v_dual_add_nc_u32 v1, 1, v1
	v_and_b32_e32 v12, 3, v1
	s_delay_alu instid0(VALU_DEP_1)
	v_sub_nc_u64_e32 v[18:19], 0, v[12:13]
	v_mov_b32_e32 v12, v20
.LBB118_31:                             ; =>This Inner Loop Header: Depth=1
	global_load_b64 v[22:23], v[16:17], off
	v_add_nc_u64_e32 v[18:19], 1, v[18:19]
	v_add_nc_u64_e32 v[6:7], 32, v[6:7]
	s_wait_xcnt 0x0
	v_add_nc_u64_e32 v[16:17], 0x100, v[16:17]
	s_delay_alu instid0(VALU_DEP_3)
	v_cmp_eq_u64_e32 vcc_lo, 0, v[18:19]
	s_or_b32 s6, vcc_lo, s6
	s_wait_loadcnt 0x0
	v_sub_nc_u64_e32 v[26:27], v[22:23], v[4:5]
	global_load_b128 v[22:25], v[10:11], off
	s_wait_kmcnt 0x0
	v_lshl_add_u64 v[30:31], v[26:27], 3, s[4:5]
	global_load_b64 v[32:33], v[30:31], off
	global_load_b128 v[26:29], v[10:11], off offset:16
	s_wait_xcnt 0x0
	v_add_nc_u64_e32 v[10:11], 0x400, v[10:11]
	s_wait_loadcnt 0x2
	v_and_b32_e32 v31, 0xffff0000, v22
	v_dual_lshlrev_b32 v30, 16, v22 :: v_dual_lshlrev_b32 v34, 16, v24
	v_and_b32_e32 v35, 0xffff0000, v24
	v_and_b32_e32 v37, 0xffff0000, v23
	v_dual_lshlrev_b32 v36, 16, v23 :: v_dual_lshlrev_b32 v22, 16, v25
	v_and_b32_e32 v23, 0xffff0000, v25
	s_wait_loadcnt 0x0
	v_and_b32_e32 v25, 0xffff0000, v26
	v_dual_lshlrev_b32 v24, 16, v26 :: v_dual_lshlrev_b32 v26, 16, v32
	v_and_b32_e32 v32, 0xffff0000, v32
	v_and_b32_e32 v39, 0xffff0000, v27
	v_lshlrev_b32_e32 v38, 16, v27
	s_delay_alu instid0(VALU_DEP_4) | instskip(SKIP_3) | instid1(VALU_DEP_4)
	v_pk_fma_f32 v[12:13], v[30:31], v[26:27], v[12:13] op_sel_hi:[1,0,1]
	v_pk_fma_f32 v[20:21], v[36:37], v[26:27], v[20:21] op_sel_hi:[1,0,1]
	v_and_b32_e32 v27, 0xffff0000, v28
	v_dual_lshlrev_b32 v26, 16, v28 :: v_dual_lshlrev_b32 v28, 16, v33
	v_pk_fma_f32 v[12:13], v[34:35], v[32:33], v[12:13] op_sel_hi:[1,0,1]
	s_delay_alu instid0(VALU_DEP_4)
	v_pk_fma_f32 v[20:21], v[22:23], v[32:33], v[20:21] op_sel_hi:[1,0,1]
	v_and_b32_e32 v23, 0xffff0000, v29
	v_lshlrev_b32_e32 v22, 16, v29
	v_and_b32_e32 v30, 0xffff0000, v33
	v_pk_fma_f32 v[12:13], v[24:25], v[28:29], v[12:13] op_sel_hi:[1,0,1]
	v_pk_fma_f32 v[20:21], v[38:39], v[28:29], v[20:21] op_sel_hi:[1,0,1]
	s_delay_alu instid0(VALU_DEP_2) | instskip(NEXT) | instid1(VALU_DEP_2)
	v_pk_fma_f32 v[12:13], v[26:27], v[30:31], v[12:13] op_sel_hi:[1,0,1]
	v_pk_fma_f32 v[20:21], v[22:23], v[30:31], v[20:21] op_sel_hi:[1,0,1]
	s_and_not1_b32 exec_lo, exec_lo, s6
	s_cbranch_execnz .LBB118_31
; %bb.32:
	s_or_b32 exec_lo, exec_lo, s6
	s_delay_alu instid0(VALU_DEP_1)
	v_mov_b64_e32 v[16:17], v[20:21]
.LBB118_33:
	s_or_b32 exec_lo, exec_lo, s2
	s_delay_alu instid0(SALU_CYCLE_1)
	s_mov_b32 s2, exec_lo
	v_cmpx_lt_u64_e32 0x5f, v[14:15]
	s_cbranch_execz .LBB118_37
; %bb.34:
	v_lshl_add_u64 v[14:15], v[6:7], 3, s[8:9]
	s_mov_b32 s6, 0
	s_delay_alu instid0(VALU_DEP_1)
	v_add_nc_u64_e32 v[14:15], 0x200, v[14:15]
.LBB118_35:                             ; =>This Inner Loop Header: Depth=1
	s_clause 0x3
	global_load_b64 v[34:35], v[14:15], off offset:-512
	global_load_b64 v[36:37], v[14:15], off offset:-256
	global_load_b64 v[42:43], v[14:15], off
	global_load_b64 v[44:45], v[14:15], off offset:256
	s_clause 0x3
	global_load_b128 v[18:21], v[10:11], off
	global_load_b128 v[22:25], v[10:11], off offset:16
	global_load_b128 v[26:29], v[10:11], off offset:1024
	;; [unrolled: 1-line block ×3, first 2 shown]
	v_add_nc_u64_e32 v[6:7], 0x80, v[6:7]
	s_wait_xcnt 0x4
	v_add_nc_u64_e32 v[14:15], 0x400, v[14:15]
	s_delay_alu instid0(VALU_DEP_2)
	v_cmp_ge_i64_e32 vcc_lo, v[6:7], v[8:9]
	s_or_b32 s6, vcc_lo, s6
	s_wait_loadcnt 0x7
	v_sub_nc_u64_e32 v[34:35], v[34:35], v[4:5]
	s_wait_loadcnt 0x6
	v_sub_nc_u64_e32 v[46:47], v[36:37], v[4:5]
	;; [unrolled: 2-line block ×3, first 2 shown]
	s_wait_loadcnt 0x3
	v_and_b32_e32 v63, 0xffff0000, v19
	v_lshlrev_b32_e32 v62, 16, v19
	v_and_b32_e32 v61, 0xffff0000, v20
	s_wait_kmcnt 0x0
	v_lshl_add_u64 v[48:49], v[34:35], 3, s[4:5]
	v_lshl_add_u64 v[46:47], v[46:47], 3, s[4:5]
	s_wait_loadcnt 0x0
	v_and_b32_e32 v71, 0xffff0000, v30
	v_dual_lshlrev_b32 v70, 16, v30 :: v_dual_lshlrev_b32 v72, 16, v32
	global_load_b64 v[50:51], v[48:49], off
	s_clause 0x1
	global_load_b128 v[34:37], v[10:11], off offset:2048
	global_load_b128 v[38:41], v[10:11], off offset:2064
	global_load_b64 v[52:53], v[46:47], off
	s_wait_xcnt 0x0
	v_lshl_add_u64 v[46:47], v[42:43], 3, s[4:5]
	v_sub_nc_u64_e32 v[48:49], v[44:45], v[4:5]
	v_and_b32_e32 v73, 0xffff0000, v32
	v_lshlrev_b32_e32 v30, 16, v33
	global_load_b64 v[54:55], v[46:47], off
	global_load_b128 v[42:45], v[10:11], off offset:3072
	v_and_b32_e32 v19, 0xffff0000, v21
	v_and_b32_e32 v65, 0xffff0000, v23
	v_lshl_add_u64 v[56:57], v[48:49], 3, s[4:5]
	v_and_b32_e32 v67, 0xffff0000, v25
	global_load_b64 v[58:59], v[56:57], off
	global_load_b128 v[46:49], v[10:11], off offset:3088
	s_wait_xcnt 0x1
	v_and_b32_e32 v57, 0xffff0000, v18
	v_dual_lshlrev_b32 v56, 16, v18 :: v_dual_lshlrev_b32 v60, 16, v20
	v_lshlrev_b32_e32 v18, 16, v21
	v_and_b32_e32 v21, 0xffff0000, v22
	v_dual_lshlrev_b32 v20, 16, v22 :: v_dual_lshlrev_b32 v64, 16, v23
	v_and_b32_e32 v23, 0xffff0000, v24
	v_dual_lshlrev_b32 v22, 16, v24 :: v_dual_lshlrev_b32 v66, 16, v25
	v_and_b32_e32 v25, 0xffff0000, v26
	v_dual_lshlrev_b32 v24, 16, v26 :: v_dual_lshlrev_b32 v68, 16, v28
	v_and_b32_e32 v77, 0xffff0000, v27
	v_and_b32_e32 v69, 0xffff0000, v28
	v_dual_lshlrev_b32 v26, 16, v29 :: v_dual_lshlrev_b32 v28, 16, v31
	s_wait_xcnt 0x0
	v_add_nc_u64_e32 v[10:11], 0x1000, v[10:11]
	v_lshlrev_b32_e32 v76, 16, v27
	v_and_b32_e32 v27, 0xffff0000, v29
	v_and_b32_e32 v29, 0xffff0000, v31
	;; [unrolled: 1-line block ×3, first 2 shown]
	s_wait_loadcnt 0x7
	v_lshlrev_b32_e32 v32, 16, v50
	s_wait_loadcnt 0x6
	v_and_b32_e32 v75, 0xffff0000, v34
	v_lshlrev_b32_e32 v74, 16, v34
	v_and_b32_e32 v34, 0xffff0000, v50
	v_and_b32_e32 v79, 0xffff0000, v36
	v_pk_fma_f32 v[12:13], v[56:57], v[32:33], v[12:13] op_sel_hi:[1,0,1]
	v_pk_fma_f32 v[16:17], v[62:63], v[32:33], v[16:17] op_sel_hi:[1,0,1]
	v_dual_lshlrev_b32 v78, 16, v36 :: v_dual_lshlrev_b32 v32, 16, v35
	v_lshlrev_b32_e32 v36, 16, v51
	s_delay_alu instid0(VALU_DEP_4) | instskip(NEXT) | instid1(VALU_DEP_4)
	v_pk_fma_f32 v[12:13], v[60:61], v[34:35], v[12:13] op_sel_hi:[1,0,1]
	v_pk_fma_f32 v[16:17], v[18:19], v[34:35], v[16:17] op_sel_hi:[1,0,1]
	v_lshlrev_b32_e32 v18, 16, v37
	v_and_b32_e32 v34, 0xffff0000, v51
	v_and_b32_e32 v33, 0xffff0000, v35
	v_pk_fma_f32 v[12:13], v[20:21], v[36:37], v[12:13] op_sel_hi:[1,0,1]
	v_pk_fma_f32 v[16:17], v[64:65], v[36:37], v[16:17] op_sel_hi:[1,0,1]
	s_wait_loadcnt 0x4
	v_dual_lshlrev_b32 v20, 16, v38 :: v_dual_lshlrev_b32 v36, 16, v52
	v_and_b32_e32 v19, 0xffff0000, v37
	v_pk_fma_f32 v[12:13], v[22:23], v[34:35], v[12:13] op_sel_hi:[1,0,1]
	v_pk_fma_f32 v[16:17], v[66:67], v[34:35], v[16:17] op_sel_hi:[1,0,1]
	v_and_b32_e32 v34, 0xffff0000, v52
	v_and_b32_e32 v21, 0xffff0000, v38
	;; [unrolled: 1-line block ×3, first 2 shown]
	v_pk_fma_f32 v[12:13], v[24:25], v[36:37], v[12:13] op_sel_hi:[1,0,1]
	v_pk_fma_f32 v[16:17], v[76:77], v[36:37], v[16:17] op_sel_hi:[1,0,1]
	v_dual_lshlrev_b32 v36, 16, v53 :: v_dual_lshlrev_b32 v22, 16, v40
	s_wait_loadcnt 0x2
	v_lshlrev_b32_e32 v24, 16, v42
	v_pk_fma_f32 v[12:13], v[68:69], v[34:35], v[12:13] op_sel_hi:[1,0,1]
	v_pk_fma_f32 v[16:17], v[26:27], v[34:35], v[16:17] op_sel_hi:[1,0,1]
	v_lshlrev_b32_e32 v26, 16, v39
	v_and_b32_e32 v34, 0xffff0000, v53
	v_and_b32_e32 v27, 0xffff0000, v39
	v_pk_fma_f32 v[12:13], v[70:71], v[36:37], v[12:13] op_sel_hi:[1,0,1]
	v_pk_fma_f32 v[16:17], v[28:29], v[36:37], v[16:17] op_sel_hi:[1,0,1]
	v_dual_lshlrev_b32 v28, 16, v41 :: v_dual_lshlrev_b32 v36, 16, v54
	v_and_b32_e32 v29, 0xffff0000, v41
	s_delay_alu instid0(VALU_DEP_4) | instskip(NEXT) | instid1(VALU_DEP_4)
	v_pk_fma_f32 v[12:13], v[72:73], v[34:35], v[12:13] op_sel_hi:[1,0,1]
	v_pk_fma_f32 v[16:17], v[30:31], v[34:35], v[16:17] op_sel_hi:[1,0,1]
	v_and_b32_e32 v34, 0xffff0000, v54
	v_and_b32_e32 v25, 0xffff0000, v42
	v_and_b32_e32 v31, 0xffff0000, v43
	v_pk_fma_f32 v[12:13], v[74:75], v[36:37], v[12:13] op_sel_hi:[1,0,1]
	v_pk_fma_f32 v[16:17], v[32:33], v[36:37], v[16:17] op_sel_hi:[1,0,1]
	v_lshlrev_b32_e32 v36, 16, v55
	v_dual_lshlrev_b32 v30, 16, v43 :: v_dual_lshlrev_b32 v32, 16, v44
	s_delay_alu instid0(VALU_DEP_4) | instskip(NEXT) | instid1(VALU_DEP_4)
	v_pk_fma_f32 v[12:13], v[78:79], v[34:35], v[12:13] op_sel_hi:[1,0,1]
	v_pk_fma_f32 v[16:17], v[18:19], v[34:35], v[16:17] op_sel_hi:[1,0,1]
	v_lshlrev_b32_e32 v18, 16, v45
	v_and_b32_e32 v34, 0xffff0000, v55
	v_and_b32_e32 v33, 0xffff0000, v44
	v_pk_fma_f32 v[12:13], v[20:21], v[36:37], v[12:13] op_sel_hi:[1,0,1]
	v_pk_fma_f32 v[16:17], v[26:27], v[36:37], v[16:17] op_sel_hi:[1,0,1]
	s_wait_loadcnt 0x1
	v_lshlrev_b32_e32 v26, 16, v58
	v_and_b32_e32 v19, 0xffff0000, v45
	s_wait_loadcnt 0x0
	v_and_b32_e32 v21, 0xffff0000, v46
	v_pk_fma_f32 v[12:13], v[22:23], v[34:35], v[12:13] op_sel_hi:[1,0,1]
	v_pk_fma_f32 v[16:17], v[28:29], v[34:35], v[16:17] op_sel_hi:[1,0,1]
	v_and_b32_e32 v28, 0xffff0000, v58
	v_dual_lshlrev_b32 v20, 16, v46 :: v_dual_lshlrev_b32 v22, 16, v47
	s_delay_alu instid0(VALU_DEP_4)
	v_pk_fma_f32 v[12:13], v[24:25], v[26:27], v[12:13] op_sel_hi:[1,0,1]
	v_lshlrev_b32_e32 v24, 16, v48
	v_pk_fma_f32 v[16:17], v[30:31], v[26:27], v[16:17] op_sel_hi:[1,0,1]
	v_and_b32_e32 v23, 0xffff0000, v47
	v_lshlrev_b32_e32 v26, 16, v59
	v_pk_fma_f32 v[12:13], v[32:33], v[28:29], v[12:13] op_sel_hi:[1,0,1]
	v_and_b32_e32 v25, 0xffff0000, v48
	v_pk_fma_f32 v[16:17], v[18:19], v[28:29], v[16:17] op_sel_hi:[1,0,1]
	v_and_b32_e32 v19, 0xffff0000, v49
	v_lshlrev_b32_e32 v18, 16, v49
	v_and_b32_e32 v28, 0xffff0000, v59
	v_pk_fma_f32 v[12:13], v[20:21], v[26:27], v[12:13] op_sel_hi:[1,0,1]
	v_pk_fma_f32 v[16:17], v[22:23], v[26:27], v[16:17] op_sel_hi:[1,0,1]
	s_delay_alu instid0(VALU_DEP_2) | instskip(NEXT) | instid1(VALU_DEP_2)
	v_pk_fma_f32 v[12:13], v[24:25], v[28:29], v[12:13] op_sel_hi:[1,0,1]
	v_pk_fma_f32 v[16:17], v[18:19], v[28:29], v[16:17] op_sel_hi:[1,0,1]
	s_and_not1_b32 exec_lo, exec_lo, s6
	s_cbranch_execnz .LBB118_35
; %bb.36:
	s_or_b32 exec_lo, exec_lo, s6
	s_delay_alu instid0(VALU_DEP_1)
	v_dual_mov_b32 v21, v17 :: v_dual_mov_b32 v20, v16
.LBB118_37:
	s_or_b32 exec_lo, exec_lo, s2
.LBB118_38:
	s_delay_alu instid0(SALU_CYCLE_1)
	s_or_b32 exec_lo, exec_lo, s3
.LBB118_39:
	v_mbcnt_lo_u32_b32 v1, -1, 0
	s_mov_b32 s2, -1
	s_delay_alu instid0(VALU_DEP_1) | instskip(SKIP_1) | instid1(VALU_DEP_1)
	v_xor_b32_e32 v8, 8, v1
	v_xor_b32_e32 v4, 16, v1
	v_cmp_gt_i32_e32 vcc_lo, 32, v4
	v_cndmask_b32_e32 v4, v1, v4, vcc_lo
	s_delay_alu instid0(VALU_DEP_4) | instskip(NEXT) | instid1(VALU_DEP_2)
	v_cmp_gt_i32_e32 vcc_lo, 32, v8
	v_lshlrev_b32_e32 v7, 2, v4
	v_cndmask_b32_e32 v8, v1, v8, vcc_lo
	ds_bpermute_b32 v4, v7, v12
	ds_bpermute_b32 v5, v7, v13
	ds_bpermute_b32 v6, v7, v20
	ds_bpermute_b32 v7, v7, v21
	v_lshlrev_b32_e32 v11, 2, v8
	s_wait_dscnt 0x2
	v_pk_add_f32 v[4:5], v[12:13], v[4:5]
	v_xor_b32_e32 v12, 4, v1
	s_wait_dscnt 0x0
	v_pk_add_f32 v[6:7], v[20:21], v[6:7]
	ds_bpermute_b32 v8, v11, v4
	ds_bpermute_b32 v9, v11, v5
	;; [unrolled: 1-line block ×4, first 2 shown]
	v_cmp_gt_i32_e32 vcc_lo, 32, v12
	v_cndmask_b32_e32 v12, v1, v12, vcc_lo
	s_delay_alu instid0(VALU_DEP_1)
	v_lshlrev_b32_e32 v12, 2, v12
	s_wait_dscnt 0x2
	v_pk_add_f32 v[4:5], v[4:5], v[8:9]
	s_wait_dscnt 0x0
	v_pk_add_f32 v[6:7], v[6:7], v[10:11]
	ds_bpermute_b32 v8, v12, v4
	ds_bpermute_b32 v9, v12, v5
	;; [unrolled: 1-line block ×4, first 2 shown]
	v_xor_b32_e32 v12, 2, v1
	s_delay_alu instid0(VALU_DEP_1) | instskip(SKIP_1) | instid1(VALU_DEP_1)
	v_cmp_gt_i32_e32 vcc_lo, 32, v12
	v_cndmask_b32_e32 v12, v1, v12, vcc_lo
	v_lshlrev_b32_e32 v12, 2, v12
	s_wait_dscnt 0x2
	v_pk_add_f32 v[4:5], v[4:5], v[8:9]
	s_wait_dscnt 0x0
	v_pk_add_f32 v[6:7], v[6:7], v[10:11]
	ds_bpermute_b32 v8, v12, v4
	ds_bpermute_b32 v9, v12, v5
	;; [unrolled: 1-line block ×4, first 2 shown]
	v_xor_b32_e32 v12, 1, v1
	s_delay_alu instid0(VALU_DEP_1) | instskip(SKIP_2) | instid1(VALU_DEP_2)
	v_cmp_gt_i32_e32 vcc_lo, 32, v12
	v_cndmask_b32_e32 v1, v1, v12, vcc_lo
	v_cmp_eq_u32_e32 vcc_lo, 31, v0
	v_lshlrev_b32_e32 v1, 2, v1
	s_wait_dscnt 0x2
	v_pk_add_f32 v[4:5], v[4:5], v[8:9]
	s_wait_dscnt 0x0
	v_pk_add_f32 v[8:9], v[6:7], v[10:11]
	ds_bpermute_b32 v6, v1, v4
	ds_bpermute_b32 v7, v1, v5
	;; [unrolled: 1-line block ×4, first 2 shown]
	s_and_b32 exec_lo, exec_lo, vcc_lo
	s_cbranch_execz .LBB118_10
; %bb.40:
	s_load_b64 s[0:1], s[0:1], 0x58
	s_wait_dscnt 0x2
	v_pk_add_f32 v[6:7], v[4:5], v[6:7]
	s_wait_dscnt 0x0
	v_pk_add_f32 v[4:5], v[8:9], v[10:11]
	s_cmp_eq_f32 s16, 0
	s_wait_kmcnt 0x0
	v_lshl_add_u64 v[0:1], v[2:3], 4, s[0:1]
	s_cbranch_scc0 .LBB118_42
; %bb.41:
	v_pk_mul_f32 v[8:9], s[12:13], v[6:7] op_sel_hi:[0,1]
	v_pk_mul_f32 v[10:11], s[12:13], v[4:5] op_sel_hi:[0,1]
	s_mov_b32 s2, 0
	global_store_b128 v[0:1], v[8:11], off
.LBB118_42:
	s_and_not1_b32 vcc_lo, exec_lo, s2
	s_cbranch_vccnz .LBB118_10
; %bb.43:
	global_load_b128 v[8:11], v[0:1], off
	v_pk_mul_f32 v[2:3], s[12:13], v[6:7] op_sel_hi:[0,1]
	v_pk_mul_f32 v[4:5], s[12:13], v[4:5] op_sel_hi:[0,1]
	s_wait_loadcnt 0x0
	s_delay_alu instid0(VALU_DEP_2) | instskip(NEXT) | instid1(VALU_DEP_2)
	v_pk_fma_f32 v[2:3], s[16:17], v[8:9], v[2:3] op_sel_hi:[0,1,1]
	v_pk_fma_f32 v[4:5], s[16:17], v[10:11], v[4:5] op_sel_hi:[0,1,1]
	global_store_b128 v[0:1], v[2:5], off
	s_sendmsg sendmsg(MSG_DEALLOC_VGPRS)
	s_endpgm
	.section	.rodata,"a",@progbits
	.p2align	6, 0x0
	.amdhsa_kernel _ZN9rocsparseL18bsrxmvn_4x4_kernelILj128ELj32Efll18rocsparse_bfloat16S1_fEEvT3_20rocsparse_direction_NS_24const_host_device_scalarIT1_EES2_PKS2_PKT2_SB_S8_PKT4_PKT5_S6_PT6_21rocsparse_index_base_b
		.amdhsa_group_segment_fixed_size 0
		.amdhsa_private_segment_fixed_size 0
		.amdhsa_kernarg_size 104
		.amdhsa_user_sgpr_count 2
		.amdhsa_user_sgpr_dispatch_ptr 0
		.amdhsa_user_sgpr_queue_ptr 0
		.amdhsa_user_sgpr_kernarg_segment_ptr 1
		.amdhsa_user_sgpr_dispatch_id 0
		.amdhsa_user_sgpr_kernarg_preload_length 0
		.amdhsa_user_sgpr_kernarg_preload_offset 0
		.amdhsa_user_sgpr_private_segment_size 0
		.amdhsa_wavefront_size32 1
		.amdhsa_uses_dynamic_stack 0
		.amdhsa_enable_private_segment 0
		.amdhsa_system_sgpr_workgroup_id_x 1
		.amdhsa_system_sgpr_workgroup_id_y 0
		.amdhsa_system_sgpr_workgroup_id_z 0
		.amdhsa_system_sgpr_workgroup_info 0
		.amdhsa_system_vgpr_workitem_id 0
		.amdhsa_next_free_vgpr 86
		.amdhsa_next_free_sgpr 18
		.amdhsa_named_barrier_count 0
		.amdhsa_reserve_vcc 1
		.amdhsa_float_round_mode_32 0
		.amdhsa_float_round_mode_16_64 0
		.amdhsa_float_denorm_mode_32 3
		.amdhsa_float_denorm_mode_16_64 3
		.amdhsa_fp16_overflow 0
		.amdhsa_memory_ordered 1
		.amdhsa_forward_progress 1
		.amdhsa_inst_pref_size 37
		.amdhsa_round_robin_scheduling 0
		.amdhsa_exception_fp_ieee_invalid_op 0
		.amdhsa_exception_fp_denorm_src 0
		.amdhsa_exception_fp_ieee_div_zero 0
		.amdhsa_exception_fp_ieee_overflow 0
		.amdhsa_exception_fp_ieee_underflow 0
		.amdhsa_exception_fp_ieee_inexact 0
		.amdhsa_exception_int_div_zero 0
	.end_amdhsa_kernel
	.section	.text._ZN9rocsparseL18bsrxmvn_4x4_kernelILj128ELj32Efll18rocsparse_bfloat16S1_fEEvT3_20rocsparse_direction_NS_24const_host_device_scalarIT1_EES2_PKS2_PKT2_SB_S8_PKT4_PKT5_S6_PT6_21rocsparse_index_base_b,"axG",@progbits,_ZN9rocsparseL18bsrxmvn_4x4_kernelILj128ELj32Efll18rocsparse_bfloat16S1_fEEvT3_20rocsparse_direction_NS_24const_host_device_scalarIT1_EES2_PKS2_PKT2_SB_S8_PKT4_PKT5_S6_PT6_21rocsparse_index_base_b,comdat
.Lfunc_end118:
	.size	_ZN9rocsparseL18bsrxmvn_4x4_kernelILj128ELj32Efll18rocsparse_bfloat16S1_fEEvT3_20rocsparse_direction_NS_24const_host_device_scalarIT1_EES2_PKS2_PKT2_SB_S8_PKT4_PKT5_S6_PT6_21rocsparse_index_base_b, .Lfunc_end118-_ZN9rocsparseL18bsrxmvn_4x4_kernelILj128ELj32Efll18rocsparse_bfloat16S1_fEEvT3_20rocsparse_direction_NS_24const_host_device_scalarIT1_EES2_PKS2_PKT2_SB_S8_PKT4_PKT5_S6_PT6_21rocsparse_index_base_b
                                        ; -- End function
	.set _ZN9rocsparseL18bsrxmvn_4x4_kernelILj128ELj32Efll18rocsparse_bfloat16S1_fEEvT3_20rocsparse_direction_NS_24const_host_device_scalarIT1_EES2_PKS2_PKT2_SB_S8_PKT4_PKT5_S6_PT6_21rocsparse_index_base_b.num_vgpr, 86
	.set _ZN9rocsparseL18bsrxmvn_4x4_kernelILj128ELj32Efll18rocsparse_bfloat16S1_fEEvT3_20rocsparse_direction_NS_24const_host_device_scalarIT1_EES2_PKS2_PKT2_SB_S8_PKT4_PKT5_S6_PT6_21rocsparse_index_base_b.num_agpr, 0
	.set _ZN9rocsparseL18bsrxmvn_4x4_kernelILj128ELj32Efll18rocsparse_bfloat16S1_fEEvT3_20rocsparse_direction_NS_24const_host_device_scalarIT1_EES2_PKS2_PKT2_SB_S8_PKT4_PKT5_S6_PT6_21rocsparse_index_base_b.numbered_sgpr, 18
	.set _ZN9rocsparseL18bsrxmvn_4x4_kernelILj128ELj32Efll18rocsparse_bfloat16S1_fEEvT3_20rocsparse_direction_NS_24const_host_device_scalarIT1_EES2_PKS2_PKT2_SB_S8_PKT4_PKT5_S6_PT6_21rocsparse_index_base_b.num_named_barrier, 0
	.set _ZN9rocsparseL18bsrxmvn_4x4_kernelILj128ELj32Efll18rocsparse_bfloat16S1_fEEvT3_20rocsparse_direction_NS_24const_host_device_scalarIT1_EES2_PKS2_PKT2_SB_S8_PKT4_PKT5_S6_PT6_21rocsparse_index_base_b.private_seg_size, 0
	.set _ZN9rocsparseL18bsrxmvn_4x4_kernelILj128ELj32Efll18rocsparse_bfloat16S1_fEEvT3_20rocsparse_direction_NS_24const_host_device_scalarIT1_EES2_PKS2_PKT2_SB_S8_PKT4_PKT5_S6_PT6_21rocsparse_index_base_b.uses_vcc, 1
	.set _ZN9rocsparseL18bsrxmvn_4x4_kernelILj128ELj32Efll18rocsparse_bfloat16S1_fEEvT3_20rocsparse_direction_NS_24const_host_device_scalarIT1_EES2_PKS2_PKT2_SB_S8_PKT4_PKT5_S6_PT6_21rocsparse_index_base_b.uses_flat_scratch, 0
	.set _ZN9rocsparseL18bsrxmvn_4x4_kernelILj128ELj32Efll18rocsparse_bfloat16S1_fEEvT3_20rocsparse_direction_NS_24const_host_device_scalarIT1_EES2_PKS2_PKT2_SB_S8_PKT4_PKT5_S6_PT6_21rocsparse_index_base_b.has_dyn_sized_stack, 0
	.set _ZN9rocsparseL18bsrxmvn_4x4_kernelILj128ELj32Efll18rocsparse_bfloat16S1_fEEvT3_20rocsparse_direction_NS_24const_host_device_scalarIT1_EES2_PKS2_PKT2_SB_S8_PKT4_PKT5_S6_PT6_21rocsparse_index_base_b.has_recursion, 0
	.set _ZN9rocsparseL18bsrxmvn_4x4_kernelILj128ELj32Efll18rocsparse_bfloat16S1_fEEvT3_20rocsparse_direction_NS_24const_host_device_scalarIT1_EES2_PKS2_PKT2_SB_S8_PKT4_PKT5_S6_PT6_21rocsparse_index_base_b.has_indirect_call, 0
	.section	.AMDGPU.csdata,"",@progbits
; Kernel info:
; codeLenInByte = 4636
; TotalNumSgprs: 20
; NumVgprs: 86
; ScratchSize: 0
; MemoryBound: 0
; FloatMode: 240
; IeeeMode: 1
; LDSByteSize: 0 bytes/workgroup (compile time only)
; SGPRBlocks: 0
; VGPRBlocks: 5
; NumSGPRsForWavesPerEU: 20
; NumVGPRsForWavesPerEU: 86
; NamedBarCnt: 0
; Occupancy: 10
; WaveLimiterHint : 1
; COMPUTE_PGM_RSRC2:SCRATCH_EN: 0
; COMPUTE_PGM_RSRC2:USER_SGPR: 2
; COMPUTE_PGM_RSRC2:TRAP_HANDLER: 0
; COMPUTE_PGM_RSRC2:TGID_X_EN: 1
; COMPUTE_PGM_RSRC2:TGID_Y_EN: 0
; COMPUTE_PGM_RSRC2:TGID_Z_EN: 0
; COMPUTE_PGM_RSRC2:TIDIG_COMP_CNT: 0
	.section	.text._ZN9rocsparseL18bsrxmvn_4x4_kernelILj128ELj64Efll18rocsparse_bfloat16S1_fEEvT3_20rocsparse_direction_NS_24const_host_device_scalarIT1_EES2_PKS2_PKT2_SB_S8_PKT4_PKT5_S6_PT6_21rocsparse_index_base_b,"axG",@progbits,_ZN9rocsparseL18bsrxmvn_4x4_kernelILj128ELj64Efll18rocsparse_bfloat16S1_fEEvT3_20rocsparse_direction_NS_24const_host_device_scalarIT1_EES2_PKS2_PKT2_SB_S8_PKT4_PKT5_S6_PT6_21rocsparse_index_base_b,comdat
	.globl	_ZN9rocsparseL18bsrxmvn_4x4_kernelILj128ELj64Efll18rocsparse_bfloat16S1_fEEvT3_20rocsparse_direction_NS_24const_host_device_scalarIT1_EES2_PKS2_PKT2_SB_S8_PKT4_PKT5_S6_PT6_21rocsparse_index_base_b ; -- Begin function _ZN9rocsparseL18bsrxmvn_4x4_kernelILj128ELj64Efll18rocsparse_bfloat16S1_fEEvT3_20rocsparse_direction_NS_24const_host_device_scalarIT1_EES2_PKS2_PKT2_SB_S8_PKT4_PKT5_S6_PT6_21rocsparse_index_base_b
	.p2align	8
	.type	_ZN9rocsparseL18bsrxmvn_4x4_kernelILj128ELj64Efll18rocsparse_bfloat16S1_fEEvT3_20rocsparse_direction_NS_24const_host_device_scalarIT1_EES2_PKS2_PKT2_SB_S8_PKT4_PKT5_S6_PT6_21rocsparse_index_base_b,@function
_ZN9rocsparseL18bsrxmvn_4x4_kernelILj128ELj64Efll18rocsparse_bfloat16S1_fEEvT3_20rocsparse_direction_NS_24const_host_device_scalarIT1_EES2_PKS2_PKT2_SB_S8_PKT4_PKT5_S6_PT6_21rocsparse_index_base_b: ; @_ZN9rocsparseL18bsrxmvn_4x4_kernelILj128ELj64Efll18rocsparse_bfloat16S1_fEEvT3_20rocsparse_direction_NS_24const_host_device_scalarIT1_EES2_PKS2_PKT2_SB_S8_PKT4_PKT5_S6_PT6_21rocsparse_index_base_b
; %bb.0:
	s_clause 0x2
	s_load_b64 s[2:3], s[0:1], 0x60
	s_load_b128 s[12:15], s[0:1], 0x10
	s_load_b64 s[16:17], s[0:1], 0x50
	s_wait_kmcnt 0x0
	s_bitcmp1_b32 s3, 0
	s_cselect_b32 s3, -1, 0
	s_delay_alu instid0(SALU_CYCLE_1)
	s_and_b32 vcc_lo, exec_lo, s3
	s_xor_b32 s3, s3, -1
	s_cbranch_vccnz .LBB119_2
; %bb.1:
	s_load_b32 s12, s[12:13], 0x0
.LBB119_2:
	s_and_not1_b32 vcc_lo, exec_lo, s3
	s_cbranch_vccnz .LBB119_4
; %bb.3:
	s_load_b32 s16, s[16:17], 0x0
.LBB119_4:
	s_wait_kmcnt 0x0
	s_cmp_neq_f32 s12, 0
	s_mov_b32 s6, 0
	s_cselect_b32 s3, -1, 0
	s_cmp_neq_f32 s16, 1.0
	s_cselect_b32 s4, -1, 0
	s_delay_alu instid0(SALU_CYCLE_1) | instskip(NEXT) | instid1(SALU_CYCLE_1)
	s_or_b32 s3, s3, s4
	s_and_not1_b32 vcc_lo, exec_lo, s3
	s_cbranch_vccnz .LBB119_10
; %bb.5:
	s_load_b64 s[4:5], s[0:1], 0x20
	s_bfe_u32 s3, ttmp6, 0x4000c
	s_and_b32 s7, ttmp6, 15
	s_add_co_i32 s3, s3, 1
	s_getreg_b32 s8, hwreg(HW_REG_IB_STS2, 6, 4)
	s_mul_i32 s3, ttmp9, s3
	v_dual_lshrrev_b32 v1, 6, v0 :: v_dual_mov_b32 v7, 0
	s_add_co_i32 s7, s7, s3
	s_cmp_eq_u32 s8, 0
	s_cselect_b32 s3, ttmp9, s7
	s_delay_alu instid0(VALU_DEP_1) | instid1(SALU_CYCLE_1)
	v_lshl_or_b32 v6, s3, 1, v1
	s_wait_kmcnt 0x0
	s_cmp_lg_u64 s[4:5], 0
	s_cbranch_scc0 .LBB119_11
; %bb.6:
	s_mov_b32 s7, 0
                                        ; implicit-def: $vgpr2_vgpr3
                                        ; implicit-def: $vgpr4_vgpr5
	s_mov_b32 s3, exec_lo
	v_cmpx_gt_i64_e64 s[14:15], v[6:7]
	s_xor_b32 s8, exec_lo, s3
	s_cbranch_execz .LBB119_8
; %bb.7:
	v_lshl_add_u64 v[2:3], v[6:7], 3, s[4:5]
	s_mov_b32 s3, 0
	s_mov_b32 s6, exec_lo
	v_mov_b64_e32 v[4:5], s[2:3]
	global_load_b64 v[2:3], v[2:3], off
	s_wait_loadcnt 0x0
	v_sub_nc_u64_e64 v[2:3], v[2:3], s[2:3]
.LBB119_8:
	s_or_b32 exec_lo, exec_lo, s8
	s_delay_alu instid0(SALU_CYCLE_1)
	s_and_b32 vcc_lo, exec_lo, s7
	s_cbranch_vccnz .LBB119_12
.LBB119_9:
	s_and_saveexec_b32 s2, s6
	s_cbranch_execnz .LBB119_15
.LBB119_10:
	s_sendmsg sendmsg(MSG_DEALLOC_VGPRS)
	s_endpgm
.LBB119_11:
                                        ; implicit-def: $vgpr2_vgpr3
                                        ; implicit-def: $vgpr4_vgpr5
	s_cbranch_execz .LBB119_9
.LBB119_12:
	s_load_b64 s[4:5], s[0:1], 0x0
	s_wait_kmcnt 0x0
	v_cmp_gt_i64_e32 vcc_lo, s[4:5], v[6:7]
	s_and_saveexec_b32 s4, vcc_lo
; %bb.13:
	s_mov_b32 s3, 0
	s_or_b32 s6, s6, exec_lo
; %bb.14:
	s_or_b32 exec_lo, exec_lo, s4
	v_mov_b64_e32 v[4:5], s[2:3]
	v_mov_b64_e32 v[2:3], v[6:7]
	s_and_saveexec_b32 s2, s6
	s_cbranch_execz .LBB119_10
.LBB119_15:
	s_load_b256 s[4:11], s[0:1], 0x28
	s_delay_alu instid0(VALU_DEP_1) | instskip(SKIP_3) | instid1(VALU_DEP_2)
	v_lshlrev_b64_e32 v[6:7], 3, v[2:3]
	v_dual_mov_b32 v1, 0 :: v_dual_bitop2_b32 v0, 63, v0 bitop3:0x40
	s_load_b32 s3, s[0:1], 0x8
	s_wait_kmcnt 0x0
	v_add_nc_u64_e32 v[8:9], s[4:5], v[6:7]
	v_add_nc_u64_e32 v[6:7], s[6:7], v[6:7]
	s_cmp_eq_u64 s[6:7], 0
	s_load_b64 s[4:5], s[0:1], 0x48
	s_cselect_b32 vcc_lo, -1, 0
	s_cmp_eq_u32 s3, 1
	global_load_b64 v[14:15], v[8:9], off
	s_wait_xcnt 0x0
	v_add_nc_u64_e32 v[8:9], 8, v[8:9]
	s_delay_alu instid0(VALU_DEP_1) | instskip(SKIP_4) | instid1(VALU_DEP_1)
	v_dual_cndmask_b32 v7, v7, v9 :: v_dual_cndmask_b32 v6, v6, v8
	global_load_b64 v[8:9], v[6:7], off
	s_wait_loadcnt 0x1
	s_wait_xcnt 0x0
	v_sub_nc_u64_e32 v[6:7], v[14:15], v[4:5]
	v_add_nc_u64_e32 v[6:7], v[6:7], v[0:1]
	s_wait_loadcnt 0x0
	v_sub_nc_u64_e32 v[8:9], v[8:9], v[4:5]
	s_delay_alu instid0(VALU_DEP_2) | instskip(NEXT) | instid1(VALU_DEP_2)
	v_lshlrev_b64_e32 v[10:11], 5, v[6:7]
	v_cmp_lt_i64_e64 s2, v[6:7], v[8:9]
	s_delay_alu instid0(VALU_DEP_2)
	v_add_nc_u64_e32 v[10:11], s[10:11], v[10:11]
	s_cbranch_scc1 .LBB119_27
; %bb.16:
	v_dual_mov_b32 v21, v1 :: v_dual_mov_b32 v20, v1
	v_dual_mov_b32 v13, v1 :: v_dual_mov_b32 v12, v1
	s_and_saveexec_b32 s3, s2
	s_cbranch_execz .LBB119_26
; %bb.17:
	v_dual_mov_b32 v13, v1 :: v_dual_bitop2_b32 v12, 64, v0 bitop3:0x54
	v_sub_nc_u64_e32 v[16:17], v[4:5], v[0:1]
	v_not_b32_e32 v19, v15
	v_not_b32_e32 v18, v14
	v_mov_b32_e32 v20, 0
	v_sub_nc_u64_e32 v[12:13], v[12:13], v[4:5]
	v_mov_b64_e32 v[22:23], 0
	s_delay_alu instid0(VALU_DEP_4) | instskip(SKIP_1) | instid1(VALU_DEP_4)
	v_add_nc_u64_e32 v[16:17], v[16:17], v[18:19]
	v_mov_b64_e32 v[18:19], v[10:11]
	v_add_nc_u64_e32 v[12:13], v[12:13], v[14:15]
	s_delay_alu instid0(VALU_DEP_1) | instskip(NEXT) | instid1(VALU_DEP_1)
	v_max_i64 v[12:13], v[12:13], v[8:9]
	v_add_nc_u64_e32 v[24:25], v[16:17], v[12:13]
	v_mov_b32_e32 v17, v20
	v_mov_b64_e32 v[12:13], 0
	s_delay_alu instid0(VALU_DEP_3) | instskip(NEXT) | instid1(VALU_DEP_1)
	v_and_b32_e32 v16, 0xc0, v24
	v_cmp_ne_u64_e32 vcc_lo, 0xc0, v[16:17]
	v_mov_b64_e32 v[16:17], v[6:7]
	s_and_saveexec_b32 s6, vcc_lo
	s_cbranch_execz .LBB119_21
; %bb.18:
	v_dual_mov_b32 v13, v20 :: v_dual_lshrrev_b32 v12, 6, v24
	v_mov_b64_e32 v[18:19], v[10:11]
	v_mov_b64_e32 v[16:17], v[6:7]
	v_lshl_add_u64 v[22:23], v[6:7], 3, s[8:9]
	s_delay_alu instid0(VALU_DEP_4) | instskip(SKIP_1) | instid1(VALU_DEP_1)
	v_dual_mov_b32 v21, v20 :: v_dual_add_nc_u32 v12, 1, v12
	s_mov_b32 s7, 0
	v_and_b32_e32 v12, 3, v12
	s_delay_alu instid0(VALU_DEP_1)
	v_sub_nc_u64_e32 v[26:27], 0, v[12:13]
	v_mov_b32_e32 v12, v20
.LBB119_19:                             ; =>This Inner Loop Header: Depth=1
	global_load_b64 v[28:29], v[22:23], off
	v_add_nc_u64_e32 v[26:27], 1, v[26:27]
	v_add_nc_u64_e32 v[16:17], 64, v[16:17]
	s_wait_xcnt 0x0
	v_add_nc_u64_e32 v[22:23], 0x200, v[22:23]
	s_delay_alu instid0(VALU_DEP_3) | instskip(SKIP_4) | instid1(VALU_DEP_1)
	v_cmp_eq_u64_e32 vcc_lo, 0, v[26:27]
	s_or_b32 s7, vcc_lo, s7
	s_wait_loadcnt 0x0
	v_sub_nc_u64_e32 v[28:29], v[28:29], v[4:5]
	s_wait_kmcnt 0x0
	v_lshl_add_u64 v[36:37], v[28:29], 3, s[4:5]
	s_clause 0x1
	global_load_b128 v[28:31], v[18:19], off
	global_load_b128 v[32:35], v[18:19], off offset:16
	global_load_b64 v[38:39], v[36:37], off
	s_wait_xcnt 0x1
	v_add_nc_u64_e32 v[18:19], 0x800, v[18:19]
	s_wait_loadcnt 0x2
	s_wait_xcnt 0x0
	v_dual_lshlrev_b32 v37, 16, v30 :: v_dual_lshlrev_b32 v36, 16, v28
	v_and_b32_e32 v41, 0xffff0000, v30
	v_and_b32_e32 v40, 0xffff0000, v28
	v_dual_lshlrev_b32 v43, 16, v31 :: v_dual_lshlrev_b32 v42, 16, v29
	v_and_b32_e32 v30, 0xffff0000, v29
	s_wait_loadcnt 0x1
	v_dual_lshlrev_b32 v29, 16, v34 :: v_dual_lshlrev_b32 v28, 16, v32
	s_wait_loadcnt 0x0
	v_lshlrev_b32_e32 v44, 16, v38
	v_and_b32_e32 v47, 0xffff0000, v34
	v_and_b32_e32 v46, 0xffff0000, v32
	;; [unrolled: 1-line block ×3, first 2 shown]
	v_lshlrev_b32_e32 v34, 16, v39
	v_pk_fma_f32 v[20:21], v[28:29], v[44:45], v[20:21] op_sel_hi:[1,0,1]
	v_lshlrev_b32_e32 v29, 16, v35
	v_pk_fma_f32 v[12:13], v[36:37], v[44:45], v[12:13] op_sel_hi:[1,0,1]
	v_lshlrev_b32_e32 v28, 16, v33
	v_and_b32_e32 v31, 0xffff0000, v31
	v_pk_fma_f32 v[20:21], v[46:47], v[32:33], v[20:21] op_sel_hi:[1,0,1]
	v_and_b32_e32 v37, 0xffff0000, v35
	v_pk_fma_f32 v[12:13], v[40:41], v[32:33], v[12:13] op_sel_hi:[1,0,1]
	v_and_b32_e32 v36, 0xffff0000, v33
	v_and_b32_e32 v32, 0xffff0000, v39
	v_pk_fma_f32 v[20:21], v[28:29], v[34:35], v[20:21] op_sel_hi:[1,0,1]
	s_delay_alu instid0(VALU_DEP_4) | instskip(NEXT) | instid1(VALU_DEP_2)
	v_pk_fma_f32 v[12:13], v[42:43], v[34:35], v[12:13] op_sel_hi:[1,0,1]
	v_pk_fma_f32 v[20:21], v[36:37], v[32:33], v[20:21] op_sel_hi:[1,0,1]
	s_delay_alu instid0(VALU_DEP_2)
	v_pk_fma_f32 v[12:13], v[30:31], v[32:33], v[12:13] op_sel_hi:[1,0,1]
	s_and_not1_b32 exec_lo, exec_lo, s7
	s_cbranch_execnz .LBB119_19
; %bb.20:
	s_or_b32 exec_lo, exec_lo, s7
	v_mov_b64_e32 v[22:23], v[20:21]
.LBB119_21:
	s_or_b32 exec_lo, exec_lo, s6
	s_delay_alu instid0(SALU_CYCLE_1)
	s_mov_b32 s6, exec_lo
	v_cmpx_lt_u64_e32 0xbf, v[24:25]
	s_cbranch_execz .LBB119_25
; %bb.22:
	v_lshl_add_u64 v[20:21], v[16:17], 3, s[8:9]
	s_mov_b32 s7, 0
	s_delay_alu instid0(VALU_DEP_1)
	v_add_nc_u64_e32 v[20:21], 0x400, v[20:21]
.LBB119_23:                             ; =>This Inner Loop Header: Depth=1
	s_clause 0x3
	global_load_b64 v[48:49], v[20:21], off offset:-1024
	global_load_b64 v[50:51], v[20:21], off offset:-512
	global_load_b64 v[52:53], v[20:21], off
	global_load_b64 v[54:55], v[20:21], off offset:512
	s_clause 0x5
	global_load_b128 v[24:27], v[18:19], off
	global_load_b128 v[28:31], v[18:19], off offset:16
	global_load_b128 v[32:35], v[18:19], off offset:2048
	;; [unrolled: 1-line block ×5, first 2 shown]
	v_add_nc_u64_e32 v[16:17], 0x100, v[16:17]
	s_wait_xcnt 0x6
	v_add_nc_u64_e32 v[20:21], 0x800, v[20:21]
	s_delay_alu instid0(VALU_DEP_2)
	v_cmp_ge_i64_e32 vcc_lo, v[16:17], v[8:9]
	s_or_b32 s7, vcc_lo, s7
	s_wait_loadcnt 0x9
	v_sub_nc_u64_e32 v[48:49], v[48:49], v[4:5]
	s_wait_loadcnt 0x8
	v_sub_nc_u64_e32 v[50:51], v[50:51], v[4:5]
	;; [unrolled: 2-line block ×4, first 2 shown]
	s_wait_loadcnt 0x5
	v_and_b32_e32 v67, 0xffff0000, v26
	v_and_b32_e32 v66, 0xffff0000, v24
	v_dual_lshlrev_b32 v69, 16, v27 :: v_dual_lshlrev_b32 v68, 16, v25
	s_wait_kmcnt 0x0
	v_lshl_add_u64 v[56:57], v[48:49], 3, s[4:5]
	v_lshl_add_u64 v[58:59], v[50:51], 3, s[4:5]
	;; [unrolled: 1-line block ×3, first 2 shown]
	s_wait_loadcnt 0x4
	v_and_b32_e32 v71, 0xffff0000, v30
	s_clause 0x2
	global_load_b64 v[60:61], v[56:57], off
	global_load_b64 v[62:63], v[58:59], off
	;; [unrolled: 1-line block ×3, first 2 shown]
	global_load_b128 v[48:51], v[18:19], off offset:6144
	s_wait_xcnt 0x3
	v_lshl_add_u64 v[56:57], v[54:55], 3, s[4:5]
	v_and_b32_e32 v70, 0xffff0000, v28
	global_load_b128 v[52:55], v[18:19], off offset:6160
	global_load_b64 v[58:59], v[56:57], off
	s_wait_xcnt 0x0
	v_dual_lshlrev_b32 v57, 16, v26 :: v_dual_lshlrev_b32 v56, 16, v24
	v_and_b32_e32 v26, 0xffff0000, v25
	v_dual_lshlrev_b32 v25, 16, v30 :: v_dual_lshlrev_b32 v24, 16, v28
	v_dual_lshlrev_b32 v73, 16, v31 :: v_dual_lshlrev_b32 v72, 16, v29
	v_and_b32_e32 v27, 0xffff0000, v27
	v_and_b32_e32 v31, 0xffff0000, v31
	;; [unrolled: 1-line block ×3, first 2 shown]
	s_wait_loadcnt 0x9
	v_dual_lshlrev_b32 v28, 16, v32 :: v_dual_lshlrev_b32 v29, 16, v34
	v_and_b32_e32 v75, 0xffff0000, v34
	v_and_b32_e32 v74, 0xffff0000, v32
	v_dual_lshlrev_b32 v77, 16, v35 :: v_dual_lshlrev_b32 v76, 16, v33
	v_and_b32_e32 v34, 0xffff0000, v33
	s_wait_loadcnt 0x7
	v_dual_lshlrev_b32 v33, 16, v42 :: v_dual_lshlrev_b32 v32, 16, v40
	v_and_b32_e32 v79, 0xffff0000, v42
	v_and_b32_e32 v78, 0xffff0000, v40
	v_dual_lshlrev_b32 v81, 16, v43 :: v_dual_lshlrev_b32 v80, 16, v41
	v_and_b32_e32 v42, 0xffff0000, v41
	v_dual_lshlrev_b32 v40, 16, v36 :: v_dual_lshlrev_b32 v41, 16, v38
	v_and_b32_e32 v35, 0xffff0000, v35
	v_and_b32_e32 v43, 0xffff0000, v43
	v_add_nc_u64_e32 v[18:19], 0x2000, v[18:19]
	s_wait_loadcnt 0x5
	v_lshlrev_b32_e32 v84, 16, v60
	s_wait_loadcnt 0x2
	v_and_b32_e32 v82, 0xffff0000, v49
	v_and_b32_e32 v83, 0xffff0000, v51
	s_delay_alu instid0(VALU_DEP_3)
	v_pk_fma_f32 v[12:13], v[56:57], v[84:85], v[12:13] op_sel_hi:[1,0,1]
	v_lshlrev_b32_e32 v57, 16, v50
	v_pk_fma_f32 v[22:23], v[24:25], v[84:85], v[22:23] op_sel_hi:[1,0,1]
	v_and_b32_e32 v24, 0xffff0000, v60
	v_and_b32_e32 v25, 0xffff0000, v50
	v_dual_lshlrev_b32 v56, 16, v48 :: v_dual_lshlrev_b32 v50, 16, v61
	s_delay_alu instid0(VALU_DEP_2)
	v_pk_fma_f32 v[12:13], v[66:67], v[24:25], v[12:13] op_sel_hi:[1,0,1]
	v_pk_fma_f32 v[22:23], v[70:71], v[24:25], v[22:23] op_sel_hi:[1,0,1]
	v_and_b32_e32 v24, 0xffff0000, v48
	v_and_b32_e32 v48, 0xffff0000, v61
	v_dual_lshlrev_b32 v67, 16, v51 :: v_dual_lshlrev_b32 v66, 16, v49
	v_pk_fma_f32 v[12:13], v[68:69], v[50:51], v[12:13] op_sel_hi:[1,0,1]
	v_pk_fma_f32 v[22:23], v[72:73], v[50:51], v[22:23] op_sel_hi:[1,0,1]
	v_lshlrev_b32_e32 v50, 16, v62
	s_delay_alu instid0(VALU_DEP_3) | instskip(NEXT) | instid1(VALU_DEP_3)
	v_pk_fma_f32 v[12:13], v[26:27], v[48:49], v[12:13] op_sel_hi:[1,0,1]
	v_pk_fma_f32 v[22:23], v[30:31], v[48:49], v[22:23] op_sel_hi:[1,0,1]
	v_and_b32_e32 v27, 0xffff0000, v38
	v_and_b32_e32 v26, 0xffff0000, v36
	;; [unrolled: 1-line block ×3, first 2 shown]
	v_pk_fma_f32 v[12:13], v[28:29], v[50:51], v[12:13] op_sel_hi:[1,0,1]
	v_lshlrev_b32_e32 v29, 16, v39
	v_pk_fma_f32 v[22:23], v[40:41], v[50:51], v[22:23] op_sel_hi:[1,0,1]
	v_dual_lshlrev_b32 v28, 16, v37 :: v_dual_lshlrev_b32 v36, 16, v63
	s_delay_alu instid0(VALU_DEP_4) | instskip(NEXT) | instid1(VALU_DEP_3)
	v_pk_fma_f32 v[12:13], v[74:75], v[30:31], v[12:13] op_sel_hi:[1,0,1]
	v_pk_fma_f32 v[22:23], v[26:27], v[30:31], v[22:23] op_sel_hi:[1,0,1]
	v_and_b32_e32 v27, 0xffff0000, v39
	v_and_b32_e32 v26, 0xffff0000, v37
	;; [unrolled: 1-line block ×3, first 2 shown]
	v_pk_fma_f32 v[12:13], v[76:77], v[36:37], v[12:13] op_sel_hi:[1,0,1]
	v_pk_fma_f32 v[22:23], v[28:29], v[36:37], v[22:23] op_sel_hi:[1,0,1]
	v_dual_lshlrev_b32 v29, 16, v46 :: v_dual_lshlrev_b32 v28, 16, v44
	v_lshlrev_b32_e32 v36, 16, v64
	s_delay_alu instid0(VALU_DEP_4) | instskip(NEXT) | instid1(VALU_DEP_4)
	v_pk_fma_f32 v[12:13], v[34:35], v[30:31], v[12:13] op_sel_hi:[1,0,1]
	v_pk_fma_f32 v[22:23], v[26:27], v[30:31], v[22:23] op_sel_hi:[1,0,1]
	v_and_b32_e32 v27, 0xffff0000, v46
	v_and_b32_e32 v26, 0xffff0000, v44
	;; [unrolled: 1-line block ×3, first 2 shown]
	s_delay_alu instid0(VALU_DEP_4)
	v_pk_fma_f32 v[22:23], v[28:29], v[36:37], v[22:23] op_sel_hi:[1,0,1]
	v_lshlrev_b32_e32 v29, 16, v47
	v_pk_fma_f32 v[12:13], v[32:33], v[36:37], v[12:13] op_sel_hi:[1,0,1]
	v_lshlrev_b32_e32 v28, 16, v45
	v_lshlrev_b32_e32 v32, 16, v65
	v_pk_fma_f32 v[22:23], v[26:27], v[30:31], v[22:23] op_sel_hi:[1,0,1]
	v_and_b32_e32 v27, 0xffff0000, v47
	v_pk_fma_f32 v[12:13], v[78:79], v[30:31], v[12:13] op_sel_hi:[1,0,1]
	v_and_b32_e32 v26, 0xffff0000, v45
	v_and_b32_e32 v30, 0xffff0000, v65
	v_pk_fma_f32 v[22:23], v[28:29], v[32:33], v[22:23] op_sel_hi:[1,0,1]
	s_wait_loadcnt 0x1
	v_lshlrev_b32_e32 v28, 16, v52
	v_pk_fma_f32 v[12:13], v[80:81], v[32:33], v[12:13] op_sel_hi:[1,0,1]
	v_lshlrev_b32_e32 v29, 16, v54
	s_wait_loadcnt 0x0
	v_lshlrev_b32_e32 v32, 16, v58
	v_pk_fma_f32 v[22:23], v[26:27], v[30:31], v[22:23] op_sel_hi:[1,0,1]
	v_and_b32_e32 v27, 0xffff0000, v54
	v_pk_fma_f32 v[12:13], v[42:43], v[30:31], v[12:13] op_sel_hi:[1,0,1]
	v_and_b32_e32 v26, 0xffff0000, v52
	v_and_b32_e32 v30, 0xffff0000, v58
	v_pk_fma_f32 v[22:23], v[28:29], v[32:33], v[22:23] op_sel_hi:[1,0,1]
	v_lshlrev_b32_e32 v29, 16, v55
	v_pk_fma_f32 v[12:13], v[56:57], v[32:33], v[12:13] op_sel_hi:[1,0,1]
	v_dual_lshlrev_b32 v28, 16, v53 :: v_dual_lshlrev_b32 v32, 16, v59
	s_delay_alu instid0(VALU_DEP_4) | instskip(SKIP_1) | instid1(VALU_DEP_4)
	v_pk_fma_f32 v[22:23], v[26:27], v[30:31], v[22:23] op_sel_hi:[1,0,1]
	v_and_b32_e32 v26, 0xffff0000, v59
	v_pk_fma_f32 v[12:13], v[24:25], v[30:31], v[12:13] op_sel_hi:[1,0,1]
	v_and_b32_e32 v24, 0xffff0000, v53
	v_and_b32_e32 v25, 0xffff0000, v55
	v_pk_fma_f32 v[22:23], v[28:29], v[32:33], v[22:23] op_sel_hi:[1,0,1]
	s_delay_alu instid0(VALU_DEP_4) | instskip(NEXT) | instid1(VALU_DEP_2)
	v_pk_fma_f32 v[12:13], v[66:67], v[32:33], v[12:13] op_sel_hi:[1,0,1]
	v_pk_fma_f32 v[22:23], v[24:25], v[26:27], v[22:23] op_sel_hi:[1,0,1]
	s_delay_alu instid0(VALU_DEP_2)
	v_pk_fma_f32 v[12:13], v[82:83], v[26:27], v[12:13] op_sel_hi:[1,0,1]
	s_and_not1_b32 exec_lo, exec_lo, s7
	s_cbranch_execnz .LBB119_23
; %bb.24:
	s_or_b32 exec_lo, exec_lo, s7
	v_dual_mov_b32 v21, v23 :: v_dual_mov_b32 v20, v22
.LBB119_25:
	s_or_b32 exec_lo, exec_lo, s6
.LBB119_26:
	s_delay_alu instid0(SALU_CYCLE_1)
	s_or_b32 exec_lo, exec_lo, s3
	s_cbranch_execz .LBB119_28
	s_branch .LBB119_39
.LBB119_27:
                                        ; implicit-def: $vgpr21
                                        ; implicit-def: $vgpr13
.LBB119_28:
	v_dual_mov_b32 v21, 0 :: v_dual_mov_b32 v20, 0
	v_dual_mov_b32 v13, 0 :: v_dual_mov_b32 v12, 0
	s_and_saveexec_b32 s3, s2
	s_cbranch_execz .LBB119_38
; %bb.29:
	v_dual_mov_b32 v13, v1 :: v_dual_bitop2_b32 v12, 64, v0 bitop3:0x54
	v_sub_nc_u64_e32 v[16:17], v[4:5], v[0:1]
	v_mov_b32_e32 v20, 0
	s_delay_alu instid0(VALU_DEP_3) | instskip(NEXT) | instid1(VALU_DEP_1)
	v_sub_nc_u64_e32 v[12:13], v[12:13], v[4:5]
	v_add_nc_u64_e32 v[12:13], v[12:13], v[14:15]
	v_not_b32_e32 v15, v15
	v_not_b32_e32 v14, v14
	s_delay_alu instid0(VALU_DEP_1) | instskip(NEXT) | instid1(VALU_DEP_4)
	v_add_nc_u64_e32 v[14:15], v[16:17], v[14:15]
	v_max_i64 v[12:13], v[12:13], v[8:9]
	v_mov_b32_e32 v17, v20
	s_delay_alu instid0(VALU_DEP_2) | instskip(SKIP_1) | instid1(VALU_DEP_2)
	v_add_nc_u64_e32 v[14:15], v[14:15], v[12:13]
	v_mov_b64_e32 v[12:13], 0
	v_and_b32_e32 v16, 0xc0, v14
	s_delay_alu instid0(VALU_DEP_1)
	v_cmp_ne_u64_e32 vcc_lo, 0xc0, v[16:17]
	v_mov_b64_e32 v[16:17], 0
	s_and_saveexec_b32 s2, vcc_lo
	s_cbranch_execz .LBB119_33
; %bb.30:
	v_dual_lshrrev_b32 v1, 6, v14 :: v_dual_mov_b32 v13, v20
	v_lshl_add_u64 v[16:17], v[6:7], 3, s[8:9]
	s_mov_b32 s6, 0
	s_delay_alu instid0(VALU_DEP_2) | instskip(NEXT) | instid1(VALU_DEP_1)
	v_dual_mov_b32 v21, v20 :: v_dual_add_nc_u32 v1, 1, v1
	v_and_b32_e32 v12, 3, v1
	s_delay_alu instid0(VALU_DEP_1)
	v_sub_nc_u64_e32 v[18:19], 0, v[12:13]
	v_mov_b32_e32 v12, v20
.LBB119_31:                             ; =>This Inner Loop Header: Depth=1
	global_load_b64 v[26:27], v[16:17], off
	global_load_b128 v[22:25], v[10:11], off
	v_add_nc_u64_e32 v[18:19], 1, v[18:19]
	v_add_nc_u64_e32 v[6:7], 64, v[6:7]
	s_wait_xcnt 0x1
	v_add_nc_u64_e32 v[16:17], 0x200, v[16:17]
	s_delay_alu instid0(VALU_DEP_3)
	v_cmp_eq_u64_e32 vcc_lo, 0, v[18:19]
	s_or_b32 s6, vcc_lo, s6
	s_wait_loadcnt 0x1
	v_sub_nc_u64_e32 v[26:27], v[26:27], v[4:5]
	s_wait_loadcnt 0x0
	v_and_b32_e32 v35, 0xffff0000, v24
	v_and_b32_e32 v39, 0xffff0000, v23
	v_dual_lshlrev_b32 v34, 16, v24 :: v_dual_lshlrev_b32 v38, 16, v23
	v_and_b32_e32 v23, 0xffff0000, v25
	s_wait_kmcnt 0x0
	v_lshl_add_u64 v[30:31], v[26:27], 3, s[4:5]
	global_load_b64 v[32:33], v[30:31], off
	global_load_b128 v[26:29], v[10:11], off offset:16
	s_wait_xcnt 0x1
	v_and_b32_e32 v31, 0xffff0000, v22
	v_dual_lshlrev_b32 v30, 16, v22 :: v_dual_lshlrev_b32 v22, 16, v25
	s_wait_xcnt 0x0
	v_add_nc_u64_e32 v[10:11], 0x800, v[10:11]
	s_wait_loadcnt 0x0
	v_dual_lshlrev_b32 v24, 16, v32 :: v_dual_lshlrev_b32 v36, 16, v26
	v_and_b32_e32 v37, 0xffff0000, v26
	v_and_b32_e32 v26, 0xffff0000, v32
	;; [unrolled: 1-line block ×3, first 2 shown]
	s_delay_alu instid0(VALU_DEP_4)
	v_pk_fma_f32 v[12:13], v[30:31], v[24:25], v[12:13] op_sel_hi:[1,0,1]
	v_pk_fma_f32 v[20:21], v[38:39], v[24:25], v[20:21] op_sel_hi:[1,0,1]
	v_dual_lshlrev_b32 v40, 16, v27 :: v_dual_lshlrev_b32 v24, 16, v28
	v_and_b32_e32 v25, 0xffff0000, v28
	v_lshlrev_b32_e32 v28, 16, v33
	v_pk_fma_f32 v[12:13], v[34:35], v[26:27], v[12:13] op_sel_hi:[1,0,1]
	v_pk_fma_f32 v[20:21], v[22:23], v[26:27], v[20:21] op_sel_hi:[1,0,1]
	v_and_b32_e32 v23, 0xffff0000, v29
	v_lshlrev_b32_e32 v22, 16, v29
	v_and_b32_e32 v26, 0xffff0000, v33
	v_pk_fma_f32 v[12:13], v[36:37], v[28:29], v[12:13] op_sel_hi:[1,0,1]
	v_pk_fma_f32 v[20:21], v[40:41], v[28:29], v[20:21] op_sel_hi:[1,0,1]
	s_delay_alu instid0(VALU_DEP_2) | instskip(NEXT) | instid1(VALU_DEP_2)
	v_pk_fma_f32 v[12:13], v[24:25], v[26:27], v[12:13] op_sel_hi:[1,0,1]
	v_pk_fma_f32 v[20:21], v[22:23], v[26:27], v[20:21] op_sel_hi:[1,0,1]
	s_and_not1_b32 exec_lo, exec_lo, s6
	s_cbranch_execnz .LBB119_31
; %bb.32:
	s_or_b32 exec_lo, exec_lo, s6
	s_delay_alu instid0(VALU_DEP_1)
	v_mov_b64_e32 v[16:17], v[20:21]
.LBB119_33:
	s_or_b32 exec_lo, exec_lo, s2
	s_delay_alu instid0(SALU_CYCLE_1)
	s_mov_b32 s2, exec_lo
	v_cmpx_lt_u64_e32 0xbf, v[14:15]
	s_cbranch_execz .LBB119_37
; %bb.34:
	v_lshl_add_u64 v[14:15], v[6:7], 3, s[8:9]
	s_mov_b32 s6, 0
	s_delay_alu instid0(VALU_DEP_1)
	v_add_nc_u64_e32 v[14:15], 0x400, v[14:15]
.LBB119_35:                             ; =>This Inner Loop Header: Depth=1
	s_clause 0x3
	global_load_b64 v[34:35], v[14:15], off offset:-1024
	global_load_b64 v[36:37], v[14:15], off offset:-512
	global_load_b64 v[42:43], v[14:15], off
	global_load_b64 v[44:45], v[14:15], off offset:512
	s_clause 0x3
	global_load_b128 v[18:21], v[10:11], off
	global_load_b128 v[22:25], v[10:11], off offset:16
	global_load_b128 v[26:29], v[10:11], off offset:2048
	;; [unrolled: 1-line block ×3, first 2 shown]
	v_add_nc_u64_e32 v[6:7], 0x100, v[6:7]
	s_wait_xcnt 0x4
	v_add_nc_u64_e32 v[14:15], 0x800, v[14:15]
	s_delay_alu instid0(VALU_DEP_2)
	v_cmp_ge_i64_e32 vcc_lo, v[6:7], v[8:9]
	s_or_b32 s6, vcc_lo, s6
	s_wait_loadcnt 0x7
	v_sub_nc_u64_e32 v[34:35], v[34:35], v[4:5]
	s_wait_loadcnt 0x6
	v_sub_nc_u64_e32 v[46:47], v[36:37], v[4:5]
	;; [unrolled: 2-line block ×3, first 2 shown]
	s_wait_loadcnt 0x3
	v_and_b32_e32 v61, 0xffff0000, v20
	s_wait_loadcnt 0x2
	v_and_b32_e32 v63, 0xffff0000, v22
	v_dual_lshlrev_b32 v62, 16, v22 :: v_dual_lshlrev_b32 v64, 16, v19
	s_wait_kmcnt 0x0
	v_lshl_add_u64 v[48:49], v[34:35], 3, s[4:5]
	v_lshl_add_u64 v[46:47], v[46:47], 3, s[4:5]
	v_and_b32_e32 v65, 0xffff0000, v19
	v_and_b32_e32 v19, 0xffff0000, v21
	global_load_b64 v[50:51], v[48:49], off
	s_clause 0x1
	global_load_b128 v[34:37], v[10:11], off offset:4096
	global_load_b128 v[38:41], v[10:11], off offset:4112
	global_load_b64 v[52:53], v[46:47], off
	s_wait_xcnt 0x0
	v_lshl_add_u64 v[46:47], v[42:43], 3, s[4:5]
	v_sub_nc_u64_e32 v[48:49], v[44:45], v[4:5]
	v_dual_lshlrev_b32 v22, 16, v24 :: v_dual_lshlrev_b32 v66, 16, v25
	global_load_b64 v[54:55], v[46:47], off
	global_load_b128 v[42:45], v[10:11], off offset:6144
	v_and_b32_e32 v67, 0xffff0000, v25
	s_wait_loadcnt 0x7
	v_and_b32_e32 v25, 0xffff0000, v26
	v_lshl_add_u64 v[56:57], v[48:49], 3, s[4:5]
	global_load_b64 v[58:59], v[56:57], off
	global_load_b128 v[46:49], v[10:11], off offset:6160
	s_wait_xcnt 0x1
	v_and_b32_e32 v57, 0xffff0000, v18
	v_dual_lshlrev_b32 v56, 16, v18 :: v_dual_lshlrev_b32 v60, 16, v20
	v_dual_lshlrev_b32 v18, 16, v21 :: v_dual_lshlrev_b32 v20, 16, v23
	v_and_b32_e32 v21, 0xffff0000, v23
	v_and_b32_e32 v23, 0xffff0000, v24
	v_dual_lshlrev_b32 v24, 16, v26 :: v_dual_lshlrev_b32 v68, 16, v27
	s_wait_loadcnt 0x8
	v_dual_lshlrev_b32 v26, 16, v28 :: v_dual_lshlrev_b32 v70, 16, v30
	v_and_b32_e32 v71, 0xffff0000, v30
	v_and_b32_e32 v73, 0xffff0000, v32
	v_dual_lshlrev_b32 v72, 16, v32 :: v_dual_lshlrev_b32 v30, 16, v33
	v_and_b32_e32 v69, 0xffff0000, v27
	v_and_b32_e32 v27, 0xffff0000, v28
	;; [unrolled: 1-line block ×3, first 2 shown]
	v_dual_lshlrev_b32 v76, 16, v29 :: v_dual_lshlrev_b32 v28, 16, v31
	v_and_b32_e32 v29, 0xffff0000, v31
	v_and_b32_e32 v31, 0xffff0000, v33
	s_wait_xcnt 0x0
	v_add_nc_u64_e32 v[10:11], 0x2000, v[10:11]
	s_wait_loadcnt 0x7
	v_lshlrev_b32_e32 v32, 16, v50
	s_wait_loadcnt 0x6
	v_and_b32_e32 v75, 0xffff0000, v34
	v_lshlrev_b32_e32 v74, 16, v34
	v_and_b32_e32 v34, 0xffff0000, v50
	v_and_b32_e32 v79, 0xffff0000, v36
	v_pk_fma_f32 v[12:13], v[56:57], v[32:33], v[12:13] op_sel_hi:[1,0,1]
	v_pk_fma_f32 v[16:17], v[64:65], v[32:33], v[16:17] op_sel_hi:[1,0,1]
	v_dual_lshlrev_b32 v78, 16, v36 :: v_dual_lshlrev_b32 v32, 16, v35
	v_lshlrev_b32_e32 v36, 16, v51
	s_delay_alu instid0(VALU_DEP_4) | instskip(NEXT) | instid1(VALU_DEP_4)
	v_pk_fma_f32 v[12:13], v[60:61], v[34:35], v[12:13] op_sel_hi:[1,0,1]
	v_pk_fma_f32 v[16:17], v[18:19], v[34:35], v[16:17] op_sel_hi:[1,0,1]
	v_lshlrev_b32_e32 v18, 16, v37
	v_and_b32_e32 v34, 0xffff0000, v51
	v_and_b32_e32 v33, 0xffff0000, v35
	v_pk_fma_f32 v[12:13], v[62:63], v[36:37], v[12:13] op_sel_hi:[1,0,1]
	v_pk_fma_f32 v[16:17], v[20:21], v[36:37], v[16:17] op_sel_hi:[1,0,1]
	s_wait_loadcnt 0x4
	v_dual_lshlrev_b32 v20, 16, v38 :: v_dual_lshlrev_b32 v36, 16, v52
	v_and_b32_e32 v19, 0xffff0000, v37
	v_pk_fma_f32 v[12:13], v[22:23], v[34:35], v[12:13] op_sel_hi:[1,0,1]
	v_pk_fma_f32 v[16:17], v[66:67], v[34:35], v[16:17] op_sel_hi:[1,0,1]
	v_and_b32_e32 v34, 0xffff0000, v52
	v_and_b32_e32 v21, 0xffff0000, v38
	;; [unrolled: 1-line block ×3, first 2 shown]
	v_pk_fma_f32 v[12:13], v[24:25], v[36:37], v[12:13] op_sel_hi:[1,0,1]
	v_pk_fma_f32 v[16:17], v[68:69], v[36:37], v[16:17] op_sel_hi:[1,0,1]
	v_dual_lshlrev_b32 v36, 16, v53 :: v_dual_lshlrev_b32 v22, 16, v40
	s_wait_loadcnt 0x2
	v_lshlrev_b32_e32 v24, 16, v42
	v_pk_fma_f32 v[12:13], v[26:27], v[34:35], v[12:13] op_sel_hi:[1,0,1]
	v_pk_fma_f32 v[16:17], v[76:77], v[34:35], v[16:17] op_sel_hi:[1,0,1]
	v_lshlrev_b32_e32 v26, 16, v44
	v_and_b32_e32 v34, 0xffff0000, v53
	v_and_b32_e32 v25, 0xffff0000, v42
	v_pk_fma_f32 v[12:13], v[70:71], v[36:37], v[12:13] op_sel_hi:[1,0,1]
	v_pk_fma_f32 v[16:17], v[28:29], v[36:37], v[16:17] op_sel_hi:[1,0,1]
	v_dual_lshlrev_b32 v28, 16, v39 :: v_dual_lshlrev_b32 v36, 16, v54
	v_and_b32_e32 v29, 0xffff0000, v39
	s_delay_alu instid0(VALU_DEP_4) | instskip(NEXT) | instid1(VALU_DEP_4)
	v_pk_fma_f32 v[12:13], v[72:73], v[34:35], v[12:13] op_sel_hi:[1,0,1]
	v_pk_fma_f32 v[16:17], v[30:31], v[34:35], v[16:17] op_sel_hi:[1,0,1]
	v_and_b32_e32 v34, 0xffff0000, v54
	v_and_b32_e32 v31, 0xffff0000, v41
	v_lshlrev_b32_e32 v30, 16, v41
	v_pk_fma_f32 v[12:13], v[74:75], v[36:37], v[12:13] op_sel_hi:[1,0,1]
	v_pk_fma_f32 v[16:17], v[32:33], v[36:37], v[16:17] op_sel_hi:[1,0,1]
	v_lshlrev_b32_e32 v36, 16, v55
	v_and_b32_e32 v33, 0xffff0000, v43
	v_lshlrev_b32_e32 v32, 16, v43
	v_pk_fma_f32 v[12:13], v[78:79], v[34:35], v[12:13] op_sel_hi:[1,0,1]
	v_pk_fma_f32 v[16:17], v[18:19], v[34:35], v[16:17] op_sel_hi:[1,0,1]
	v_lshlrev_b32_e32 v18, 16, v45
	v_and_b32_e32 v34, 0xffff0000, v55
	v_and_b32_e32 v27, 0xffff0000, v44
	v_pk_fma_f32 v[12:13], v[20:21], v[36:37], v[12:13] op_sel_hi:[1,0,1]
	v_pk_fma_f32 v[16:17], v[28:29], v[36:37], v[16:17] op_sel_hi:[1,0,1]
	s_wait_loadcnt 0x1
	v_lshlrev_b32_e32 v28, 16, v58
	v_and_b32_e32 v19, 0xffff0000, v45
	s_wait_loadcnt 0x0
	v_and_b32_e32 v21, 0xffff0000, v46
	v_pk_fma_f32 v[12:13], v[22:23], v[34:35], v[12:13] op_sel_hi:[1,0,1]
	v_pk_fma_f32 v[16:17], v[30:31], v[34:35], v[16:17] op_sel_hi:[1,0,1]
	v_and_b32_e32 v30, 0xffff0000, v58
	v_dual_lshlrev_b32 v20, 16, v46 :: v_dual_lshlrev_b32 v22, 16, v47
	s_delay_alu instid0(VALU_DEP_4)
	v_pk_fma_f32 v[12:13], v[24:25], v[28:29], v[12:13] op_sel_hi:[1,0,1]
	v_lshlrev_b32_e32 v24, 16, v48
	v_pk_fma_f32 v[16:17], v[32:33], v[28:29], v[16:17] op_sel_hi:[1,0,1]
	v_and_b32_e32 v23, 0xffff0000, v47
	v_lshlrev_b32_e32 v28, 16, v59
	v_pk_fma_f32 v[12:13], v[26:27], v[30:31], v[12:13] op_sel_hi:[1,0,1]
	v_and_b32_e32 v25, 0xffff0000, v48
	v_pk_fma_f32 v[16:17], v[18:19], v[30:31], v[16:17] op_sel_hi:[1,0,1]
	v_and_b32_e32 v19, 0xffff0000, v49
	v_lshlrev_b32_e32 v18, 16, v49
	v_and_b32_e32 v26, 0xffff0000, v59
	v_pk_fma_f32 v[12:13], v[20:21], v[28:29], v[12:13] op_sel_hi:[1,0,1]
	v_pk_fma_f32 v[16:17], v[22:23], v[28:29], v[16:17] op_sel_hi:[1,0,1]
	s_delay_alu instid0(VALU_DEP_2) | instskip(NEXT) | instid1(VALU_DEP_2)
	v_pk_fma_f32 v[12:13], v[24:25], v[26:27], v[12:13] op_sel_hi:[1,0,1]
	v_pk_fma_f32 v[16:17], v[18:19], v[26:27], v[16:17] op_sel_hi:[1,0,1]
	s_and_not1_b32 exec_lo, exec_lo, s6
	s_cbranch_execnz .LBB119_35
; %bb.36:
	s_or_b32 exec_lo, exec_lo, s6
	s_delay_alu instid0(VALU_DEP_1)
	v_dual_mov_b32 v21, v17 :: v_dual_mov_b32 v20, v16
.LBB119_37:
	s_or_b32 exec_lo, exec_lo, s2
.LBB119_38:
	s_delay_alu instid0(SALU_CYCLE_1)
	s_or_b32 exec_lo, exec_lo, s3
.LBB119_39:
	v_mbcnt_lo_u32_b32 v1, -1, 0
	s_mov_b32 s2, -1
	s_delay_alu instid0(VALU_DEP_1) | instskip(SKIP_1) | instid1(VALU_DEP_1)
	v_xor_b32_e32 v8, 16, v1
	v_or_b32_e32 v4, 32, v1
	v_cmp_gt_i32_e32 vcc_lo, 32, v4
	v_cndmask_b32_e32 v4, v1, v4, vcc_lo
	s_delay_alu instid0(VALU_DEP_4) | instskip(NEXT) | instid1(VALU_DEP_2)
	v_cmp_gt_i32_e32 vcc_lo, 32, v8
	v_lshlrev_b32_e32 v7, 2, v4
	v_cndmask_b32_e32 v8, v1, v8, vcc_lo
	ds_bpermute_b32 v4, v7, v12
	ds_bpermute_b32 v5, v7, v13
	;; [unrolled: 1-line block ×4, first 2 shown]
	v_lshlrev_b32_e32 v11, 2, v8
	s_wait_dscnt 0x2
	v_pk_add_f32 v[4:5], v[12:13], v[4:5]
	v_xor_b32_e32 v12, 8, v1
	s_wait_dscnt 0x0
	v_pk_add_f32 v[6:7], v[20:21], v[6:7]
	ds_bpermute_b32 v8, v11, v4
	ds_bpermute_b32 v9, v11, v5
	;; [unrolled: 1-line block ×4, first 2 shown]
	v_cmp_gt_i32_e32 vcc_lo, 32, v12
	v_cndmask_b32_e32 v12, v1, v12, vcc_lo
	s_delay_alu instid0(VALU_DEP_1)
	v_lshlrev_b32_e32 v12, 2, v12
	s_wait_dscnt 0x2
	v_pk_add_f32 v[4:5], v[4:5], v[8:9]
	s_wait_dscnt 0x0
	v_pk_add_f32 v[6:7], v[6:7], v[10:11]
	ds_bpermute_b32 v8, v12, v4
	ds_bpermute_b32 v9, v12, v5
	;; [unrolled: 1-line block ×4, first 2 shown]
	v_xor_b32_e32 v12, 4, v1
	s_delay_alu instid0(VALU_DEP_1) | instskip(SKIP_1) | instid1(VALU_DEP_1)
	v_cmp_gt_i32_e32 vcc_lo, 32, v12
	v_cndmask_b32_e32 v12, v1, v12, vcc_lo
	v_lshlrev_b32_e32 v12, 2, v12
	s_wait_dscnt 0x2
	v_pk_add_f32 v[4:5], v[4:5], v[8:9]
	s_wait_dscnt 0x0
	v_pk_add_f32 v[6:7], v[6:7], v[10:11]
	ds_bpermute_b32 v8, v12, v4
	ds_bpermute_b32 v9, v12, v5
	;; [unrolled: 1-line block ×4, first 2 shown]
	v_xor_b32_e32 v12, 2, v1
	s_delay_alu instid0(VALU_DEP_1) | instskip(SKIP_1) | instid1(VALU_DEP_1)
	v_cmp_gt_i32_e32 vcc_lo, 32, v12
	v_cndmask_b32_e32 v12, v1, v12, vcc_lo
	v_lshlrev_b32_e32 v12, 2, v12
	s_wait_dscnt 0x2
	v_pk_add_f32 v[4:5], v[4:5], v[8:9]
	s_wait_dscnt 0x0
	v_pk_add_f32 v[6:7], v[6:7], v[10:11]
	ds_bpermute_b32 v8, v12, v4
	ds_bpermute_b32 v9, v12, v5
	;; [unrolled: 1-line block ×4, first 2 shown]
	v_xor_b32_e32 v12, 1, v1
	s_delay_alu instid0(VALU_DEP_1) | instskip(SKIP_2) | instid1(VALU_DEP_2)
	v_cmp_gt_i32_e32 vcc_lo, 32, v12
	v_cndmask_b32_e32 v1, v1, v12, vcc_lo
	v_cmp_eq_u32_e32 vcc_lo, 63, v0
	v_lshlrev_b32_e32 v1, 2, v1
	s_wait_dscnt 0x2
	v_pk_add_f32 v[4:5], v[4:5], v[8:9]
	s_wait_dscnt 0x0
	v_pk_add_f32 v[8:9], v[6:7], v[10:11]
	ds_bpermute_b32 v6, v1, v4
	ds_bpermute_b32 v7, v1, v5
	;; [unrolled: 1-line block ×4, first 2 shown]
	s_and_b32 exec_lo, exec_lo, vcc_lo
	s_cbranch_execz .LBB119_10
; %bb.40:
	s_load_b64 s[0:1], s[0:1], 0x58
	s_wait_dscnt 0x2
	v_pk_add_f32 v[6:7], v[4:5], v[6:7]
	s_wait_dscnt 0x0
	v_pk_add_f32 v[4:5], v[8:9], v[10:11]
	s_cmp_eq_f32 s16, 0
	s_wait_kmcnt 0x0
	v_lshl_add_u64 v[0:1], v[2:3], 4, s[0:1]
	s_cbranch_scc0 .LBB119_42
; %bb.41:
	v_pk_mul_f32 v[8:9], s[12:13], v[6:7] op_sel_hi:[0,1]
	v_pk_mul_f32 v[10:11], s[12:13], v[4:5] op_sel_hi:[0,1]
	s_mov_b32 s2, 0
	global_store_b128 v[0:1], v[8:11], off
.LBB119_42:
	s_and_not1_b32 vcc_lo, exec_lo, s2
	s_cbranch_vccnz .LBB119_10
; %bb.43:
	global_load_b128 v[8:11], v[0:1], off
	v_pk_mul_f32 v[2:3], s[12:13], v[6:7] op_sel_hi:[0,1]
	v_pk_mul_f32 v[4:5], s[12:13], v[4:5] op_sel_hi:[0,1]
	s_wait_loadcnt 0x0
	s_delay_alu instid0(VALU_DEP_2) | instskip(NEXT) | instid1(VALU_DEP_2)
	v_pk_fma_f32 v[2:3], s[16:17], v[8:9], v[2:3] op_sel_hi:[0,1,1]
	v_pk_fma_f32 v[4:5], s[16:17], v[10:11], v[4:5] op_sel_hi:[0,1,1]
	global_store_b128 v[0:1], v[2:5], off
	s_sendmsg sendmsg(MSG_DEALLOC_VGPRS)
	s_endpgm
	.section	.rodata,"a",@progbits
	.p2align	6, 0x0
	.amdhsa_kernel _ZN9rocsparseL18bsrxmvn_4x4_kernelILj128ELj64Efll18rocsparse_bfloat16S1_fEEvT3_20rocsparse_direction_NS_24const_host_device_scalarIT1_EES2_PKS2_PKT2_SB_S8_PKT4_PKT5_S6_PT6_21rocsparse_index_base_b
		.amdhsa_group_segment_fixed_size 0
		.amdhsa_private_segment_fixed_size 0
		.amdhsa_kernarg_size 104
		.amdhsa_user_sgpr_count 2
		.amdhsa_user_sgpr_dispatch_ptr 0
		.amdhsa_user_sgpr_queue_ptr 0
		.amdhsa_user_sgpr_kernarg_segment_ptr 1
		.amdhsa_user_sgpr_dispatch_id 0
		.amdhsa_user_sgpr_kernarg_preload_length 0
		.amdhsa_user_sgpr_kernarg_preload_offset 0
		.amdhsa_user_sgpr_private_segment_size 0
		.amdhsa_wavefront_size32 1
		.amdhsa_uses_dynamic_stack 0
		.amdhsa_enable_private_segment 0
		.amdhsa_system_sgpr_workgroup_id_x 1
		.amdhsa_system_sgpr_workgroup_id_y 0
		.amdhsa_system_sgpr_workgroup_id_z 0
		.amdhsa_system_sgpr_workgroup_info 0
		.amdhsa_system_vgpr_workitem_id 0
		.amdhsa_next_free_vgpr 86
		.amdhsa_next_free_sgpr 18
		.amdhsa_named_barrier_count 0
		.amdhsa_reserve_vcc 1
		.amdhsa_float_round_mode_32 0
		.amdhsa_float_round_mode_16_64 0
		.amdhsa_float_denorm_mode_32 3
		.amdhsa_float_denorm_mode_16_64 3
		.amdhsa_fp16_overflow 0
		.amdhsa_memory_ordered 1
		.amdhsa_forward_progress 1
		.amdhsa_inst_pref_size 37
		.amdhsa_round_robin_scheduling 0
		.amdhsa_exception_fp_ieee_invalid_op 0
		.amdhsa_exception_fp_denorm_src 0
		.amdhsa_exception_fp_ieee_div_zero 0
		.amdhsa_exception_fp_ieee_overflow 0
		.amdhsa_exception_fp_ieee_underflow 0
		.amdhsa_exception_fp_ieee_inexact 0
		.amdhsa_exception_int_div_zero 0
	.end_amdhsa_kernel
	.section	.text._ZN9rocsparseL18bsrxmvn_4x4_kernelILj128ELj64Efll18rocsparse_bfloat16S1_fEEvT3_20rocsparse_direction_NS_24const_host_device_scalarIT1_EES2_PKS2_PKT2_SB_S8_PKT4_PKT5_S6_PT6_21rocsparse_index_base_b,"axG",@progbits,_ZN9rocsparseL18bsrxmvn_4x4_kernelILj128ELj64Efll18rocsparse_bfloat16S1_fEEvT3_20rocsparse_direction_NS_24const_host_device_scalarIT1_EES2_PKS2_PKT2_SB_S8_PKT4_PKT5_S6_PT6_21rocsparse_index_base_b,comdat
.Lfunc_end119:
	.size	_ZN9rocsparseL18bsrxmvn_4x4_kernelILj128ELj64Efll18rocsparse_bfloat16S1_fEEvT3_20rocsparse_direction_NS_24const_host_device_scalarIT1_EES2_PKS2_PKT2_SB_S8_PKT4_PKT5_S6_PT6_21rocsparse_index_base_b, .Lfunc_end119-_ZN9rocsparseL18bsrxmvn_4x4_kernelILj128ELj64Efll18rocsparse_bfloat16S1_fEEvT3_20rocsparse_direction_NS_24const_host_device_scalarIT1_EES2_PKS2_PKT2_SB_S8_PKT4_PKT5_S6_PT6_21rocsparse_index_base_b
                                        ; -- End function
	.set _ZN9rocsparseL18bsrxmvn_4x4_kernelILj128ELj64Efll18rocsparse_bfloat16S1_fEEvT3_20rocsparse_direction_NS_24const_host_device_scalarIT1_EES2_PKS2_PKT2_SB_S8_PKT4_PKT5_S6_PT6_21rocsparse_index_base_b.num_vgpr, 86
	.set _ZN9rocsparseL18bsrxmvn_4x4_kernelILj128ELj64Efll18rocsparse_bfloat16S1_fEEvT3_20rocsparse_direction_NS_24const_host_device_scalarIT1_EES2_PKS2_PKT2_SB_S8_PKT4_PKT5_S6_PT6_21rocsparse_index_base_b.num_agpr, 0
	.set _ZN9rocsparseL18bsrxmvn_4x4_kernelILj128ELj64Efll18rocsparse_bfloat16S1_fEEvT3_20rocsparse_direction_NS_24const_host_device_scalarIT1_EES2_PKS2_PKT2_SB_S8_PKT4_PKT5_S6_PT6_21rocsparse_index_base_b.numbered_sgpr, 18
	.set _ZN9rocsparseL18bsrxmvn_4x4_kernelILj128ELj64Efll18rocsparse_bfloat16S1_fEEvT3_20rocsparse_direction_NS_24const_host_device_scalarIT1_EES2_PKS2_PKT2_SB_S8_PKT4_PKT5_S6_PT6_21rocsparse_index_base_b.num_named_barrier, 0
	.set _ZN9rocsparseL18bsrxmvn_4x4_kernelILj128ELj64Efll18rocsparse_bfloat16S1_fEEvT3_20rocsparse_direction_NS_24const_host_device_scalarIT1_EES2_PKS2_PKT2_SB_S8_PKT4_PKT5_S6_PT6_21rocsparse_index_base_b.private_seg_size, 0
	.set _ZN9rocsparseL18bsrxmvn_4x4_kernelILj128ELj64Efll18rocsparse_bfloat16S1_fEEvT3_20rocsparse_direction_NS_24const_host_device_scalarIT1_EES2_PKS2_PKT2_SB_S8_PKT4_PKT5_S6_PT6_21rocsparse_index_base_b.uses_vcc, 1
	.set _ZN9rocsparseL18bsrxmvn_4x4_kernelILj128ELj64Efll18rocsparse_bfloat16S1_fEEvT3_20rocsparse_direction_NS_24const_host_device_scalarIT1_EES2_PKS2_PKT2_SB_S8_PKT4_PKT5_S6_PT6_21rocsparse_index_base_b.uses_flat_scratch, 0
	.set _ZN9rocsparseL18bsrxmvn_4x4_kernelILj128ELj64Efll18rocsparse_bfloat16S1_fEEvT3_20rocsparse_direction_NS_24const_host_device_scalarIT1_EES2_PKS2_PKT2_SB_S8_PKT4_PKT5_S6_PT6_21rocsparse_index_base_b.has_dyn_sized_stack, 0
	.set _ZN9rocsparseL18bsrxmvn_4x4_kernelILj128ELj64Efll18rocsparse_bfloat16S1_fEEvT3_20rocsparse_direction_NS_24const_host_device_scalarIT1_EES2_PKS2_PKT2_SB_S8_PKT4_PKT5_S6_PT6_21rocsparse_index_base_b.has_recursion, 0
	.set _ZN9rocsparseL18bsrxmvn_4x4_kernelILj128ELj64Efll18rocsparse_bfloat16S1_fEEvT3_20rocsparse_direction_NS_24const_host_device_scalarIT1_EES2_PKS2_PKT2_SB_S8_PKT4_PKT5_S6_PT6_21rocsparse_index_base_b.has_indirect_call, 0
	.section	.AMDGPU.csdata,"",@progbits
; Kernel info:
; codeLenInByte = 4728
; TotalNumSgprs: 20
; NumVgprs: 86
; ScratchSize: 0
; MemoryBound: 0
; FloatMode: 240
; IeeeMode: 1
; LDSByteSize: 0 bytes/workgroup (compile time only)
; SGPRBlocks: 0
; VGPRBlocks: 5
; NumSGPRsForWavesPerEU: 20
; NumVGPRsForWavesPerEU: 86
; NamedBarCnt: 0
; Occupancy: 10
; WaveLimiterHint : 1
; COMPUTE_PGM_RSRC2:SCRATCH_EN: 0
; COMPUTE_PGM_RSRC2:USER_SGPR: 2
; COMPUTE_PGM_RSRC2:TRAP_HANDLER: 0
; COMPUTE_PGM_RSRC2:TGID_X_EN: 1
; COMPUTE_PGM_RSRC2:TGID_Y_EN: 0
; COMPUTE_PGM_RSRC2:TGID_Z_EN: 0
; COMPUTE_PGM_RSRC2:TIDIG_COMP_CNT: 0
	.section	.text._ZN9rocsparseL18bsrxmvn_4x4_kernelILj128ELj4E21rocsparse_complex_numIfEiifS2_S2_EEvT3_20rocsparse_direction_NS_24const_host_device_scalarIT1_EES3_PKS3_PKT2_SC_S9_PKT4_PKT5_S7_PT6_21rocsparse_index_base_b,"axG",@progbits,_ZN9rocsparseL18bsrxmvn_4x4_kernelILj128ELj4E21rocsparse_complex_numIfEiifS2_S2_EEvT3_20rocsparse_direction_NS_24const_host_device_scalarIT1_EES3_PKS3_PKT2_SC_S9_PKT4_PKT5_S7_PT6_21rocsparse_index_base_b,comdat
	.globl	_ZN9rocsparseL18bsrxmvn_4x4_kernelILj128ELj4E21rocsparse_complex_numIfEiifS2_S2_EEvT3_20rocsparse_direction_NS_24const_host_device_scalarIT1_EES3_PKS3_PKT2_SC_S9_PKT4_PKT5_S7_PT6_21rocsparse_index_base_b ; -- Begin function _ZN9rocsparseL18bsrxmvn_4x4_kernelILj128ELj4E21rocsparse_complex_numIfEiifS2_S2_EEvT3_20rocsparse_direction_NS_24const_host_device_scalarIT1_EES3_PKS3_PKT2_SC_S9_PKT4_PKT5_S7_PT6_21rocsparse_index_base_b
	.p2align	8
	.type	_ZN9rocsparseL18bsrxmvn_4x4_kernelILj128ELj4E21rocsparse_complex_numIfEiifS2_S2_EEvT3_20rocsparse_direction_NS_24const_host_device_scalarIT1_EES3_PKS3_PKT2_SC_S9_PKT4_PKT5_S7_PT6_21rocsparse_index_base_b,@function
_ZN9rocsparseL18bsrxmvn_4x4_kernelILj128ELj4E21rocsparse_complex_numIfEiifS2_S2_EEvT3_20rocsparse_direction_NS_24const_host_device_scalarIT1_EES3_PKS3_PKT2_SC_S9_PKT4_PKT5_S7_PT6_21rocsparse_index_base_b: ; @_ZN9rocsparseL18bsrxmvn_4x4_kernelILj128ELj4E21rocsparse_complex_numIfEiifS2_S2_EEvT3_20rocsparse_direction_NS_24const_host_device_scalarIT1_EES3_PKS3_PKT2_SC_S9_PKT4_PKT5_S7_PT6_21rocsparse_index_base_b
; %bb.0:
	s_clause 0x2
	s_load_b64 s[12:13], s[0:1], 0x58
	s_load_b64 s[2:3], s[0:1], 0x8
	s_load_b64 s[4:5], s[0:1], 0x48
	v_mov_b32_e32 v1, 0
	s_add_nc_u64 s[6:7], s[0:1], 8
	s_add_nc_u64 s[8:9], s[0:1], 0x48
	s_wait_kmcnt 0x0
	s_bitcmp1_b32 s13, 0
	s_cselect_b32 s3, s7, s3
	s_cselect_b32 s2, s6, s2
	s_cselect_b32 s5, s9, s5
	s_cselect_b32 s4, s8, s4
	s_clause 0x1
	flat_load_b64 v[2:3], v1, s[2:3]
	flat_load_b64 v[4:5], v1, s[4:5]
	s_wait_loadcnt_dscnt 0x101
	v_cmp_neq_f32_e32 vcc_lo, 0, v2
	v_cmp_neq_f32_e64 s3, 0, v3
	s_wait_loadcnt_dscnt 0x0
	v_cmp_neq_f32_e64 s4, 1.0, v4
	v_cmp_neq_f32_e64 s2, 0, v5
	s_or_b32 s5, vcc_lo, s3
	s_mov_b32 s3, 0
	s_or_b32 s4, s4, s2
	s_delay_alu instid0(SALU_CYCLE_1) | instskip(NEXT) | instid1(SALU_CYCLE_1)
	s_or_b32 s4, s5, s4
	s_and_saveexec_b32 s5, s4
	s_cbranch_execz .LBB120_6
; %bb.1:
	s_clause 0x1
	s_load_b64 s[4:5], s[0:1], 0x18
	s_load_b64 s[14:15], s[0:1], 0x0
	s_bfe_u32 s6, ttmp6, 0x4000c
	s_and_b32 s7, ttmp6, 15
	s_add_co_i32 s6, s6, 1
	s_getreg_b32 s8, hwreg(HW_REG_IB_STS2, 6, 4)
	s_mul_i32 s6, ttmp9, s6
	v_lshrrev_b32_e32 v1, 2, v0
	s_add_co_i32 s7, s7, s6
	s_cmp_eq_u32 s8, 0
	s_cselect_b32 s6, ttmp9, s7
	s_delay_alu instid0(VALU_DEP_1) | instid1(SALU_CYCLE_1)
	v_lshl_or_b32 v6, s6, 5, v1
	s_wait_kmcnt 0x0
	s_cmp_lg_u64 s[4:5], 0
	s_cbranch_scc0 .LBB120_7
; %bb.2:
	s_load_b32 s3, s[0:1], 0x10
	s_mov_b32 s6, 0
                                        ; implicit-def: $vgpr1
	s_wait_kmcnt 0x0
	v_cmp_gt_i32_e32 vcc_lo, s3, v6
	s_mov_b32 s3, 0
	s_and_saveexec_b32 s7, vcc_lo
	s_delay_alu instid0(SALU_CYCLE_1)
	s_xor_b32 s7, exec_lo, s7
	s_cbranch_execz .LBB120_4
; %bb.3:
	global_load_b32 v1, v6, s[4:5] scale_offset
	s_mov_b32 s3, exec_lo
	s_wait_loadcnt 0x0
	v_subrev_nc_u32_e32 v1, s12, v1
.LBB120_4:
	s_or_b32 exec_lo, exec_lo, s7
	s_delay_alu instid0(SALU_CYCLE_1)
	s_and_b32 vcc_lo, exec_lo, s6
	s_cbranch_vccz .LBB120_8
.LBB120_5:
	v_cmp_gt_i32_e32 vcc_lo, s14, v6
	s_and_not1_b32 s3, s3, exec_lo
	s_and_b32 s4, vcc_lo, exec_lo
	s_delay_alu instid0(SALU_CYCLE_1) | instskip(NEXT) | instid1(SALU_CYCLE_1)
	s_or_b32 s3, s3, s4
	s_and_b32 exec_lo, exec_lo, s3
	s_cbranch_execnz .LBB120_9
.LBB120_6:
	s_sendmsg sendmsg(MSG_DEALLOC_VGPRS)
	s_endpgm
.LBB120_7:
                                        ; implicit-def: $vgpr1
	s_cbranch_execnz .LBB120_5
.LBB120_8:
	s_delay_alu instid0(VALU_DEP_1)
	v_mov_b32_e32 v6, v1
	s_and_b32 exec_lo, exec_lo, s3
	s_cbranch_execz .LBB120_6
.LBB120_9:
	s_load_b256 s[4:11], s[0:1], 0x20
	s_wait_kmcnt 0x0
	s_cmp_eq_u64 s[6:7], 0
	global_load_b32 v24, v6, s[4:5] scale_offset
	s_cselect_b32 vcc_lo, -1, 0
	v_ashrrev_i32_e32 v7, 31, v6
	s_cmp_eq_u32 s15, 1
	s_delay_alu instid0(VALU_DEP_1) | instskip(SKIP_1) | instid1(VALU_DEP_2)
	v_lshlrev_b64_e32 v[8:9], 2, v[6:7]
	v_and_b32_e32 v7, 3, v0
	v_add_nc_u64_e32 v[10:11], s[4:5], v[8:9]
	v_add_nc_u64_e32 v[8:9], s[6:7], v[8:9]
	s_wait_xcnt 0x0
	s_load_b64 s[4:5], s[0:1], 0x40
	s_delay_alu instid0(VALU_DEP_2) | instskip(NEXT) | instid1(VALU_DEP_1)
	v_add_nc_u64_e32 v[10:11], 4, v[10:11]
	v_dual_cndmask_b32 v9, v9, v11 :: v_dual_cndmask_b32 v8, v8, v10
	global_load_b32 v10, v[8:9], off
	s_wait_loadcnt 0x1
	v_subrev_nc_u32_e32 v0, s12, v24
	s_delay_alu instid0(VALU_DEP_1) | instskip(NEXT) | instid1(VALU_DEP_1)
	v_add_nc_u32_e32 v0, v0, v7
	v_ashrrev_i32_e32 v1, 31, v0
	s_wait_xcnt 0x0
	s_delay_alu instid0(VALU_DEP_1) | instskip(NEXT) | instid1(VALU_DEP_1)
	v_lshlrev_b64_e32 v[8:9], 6, v[0:1]
	v_add_nc_u64_e32 v[8:9], s[10:11], v[8:9]
	s_wait_loadcnt 0x0
	v_subrev_nc_u32_e32 v1, s12, v10
	s_delay_alu instid0(VALU_DEP_1)
	v_cmp_lt_i32_e64 s3, v0, v1
	s_cbranch_scc1 .LBB120_21
; %bb.10:
	v_dual_mov_b32 v11, 0 :: v_dual_mov_b32 v10, 0
	v_dual_mov_b32 v13, 0 :: v_dual_mov_b32 v12, 0
	;; [unrolled: 1-line block ×4, first 2 shown]
	s_and_saveexec_b32 s6, s3
	s_cbranch_execz .LBB120_20
; %bb.11:
	v_add_nc_u32_e32 v10, v24, v7
	v_not_b32_e32 v11, v24
	v_mov_b64_e32 v[12:13], 0
	v_mov_b64_e32 v[14:15], 0
	;; [unrolled: 1-line block ×3, first 2 shown]
	v_subrev_nc_u32_e32 v10, s12, v10
	v_mov_b64_e32 v[18:19], v[8:9]
	s_mov_b32 s7, exec_lo
	v_mov_b32_e32 v25, v0
	s_delay_alu instid0(VALU_DEP_3) | instskip(NEXT) | instid1(VALU_DEP_1)
	v_add_max_i32_e64 v10, v10, 4, v1
	v_add3_u32 v10, s12, v10, v11
	s_delay_alu instid0(VALU_DEP_1) | instskip(SKIP_1) | instid1(VALU_DEP_2)
	v_sub_nc_u32_e32 v26, v10, v7
	v_mov_b64_e32 v[10:11], 0
	v_and_b32_e32 v20, 12, v26
	s_delay_alu instid0(VALU_DEP_1)
	v_cmpx_ne_u32_e32 12, v20
	s_cbranch_execz .LBB120_15
; %bb.12:
	v_dual_mov_b32 v21, 0 :: v_dual_lshrrev_b32 v10, 2, v26
	v_mov_b32_e32 v25, v0
	v_mov_b64_e32 v[18:19], v[8:9]
	v_bfrev_b32_e32 v22, 1
	s_delay_alu instid0(VALU_DEP_4) | instskip(SKIP_2) | instid1(VALU_DEP_3)
	v_dual_add_nc_u32 v10, 1, v10 :: v_dual_mov_b32 v14, v21
	v_dual_mov_b32 v16, v21 :: v_dual_mov_b32 v17, v21
	v_dual_mov_b32 v15, v21 :: v_dual_mov_b32 v12, v21
	v_dual_mov_b32 v13, v21 :: v_dual_bitop2_b32 v11, 3, v10 bitop3:0x40
	v_mov_b32_e32 v10, v21
	s_mov_b32 s10, 0
	s_delay_alu instid0(VALU_DEP_2)
	v_dual_sub_nc_u32 v27, 0, v11 :: v_dual_mov_b32 v11, v21
.LBB120_13:                             ; =>This Inner Loop Header: Depth=1
	global_load_b32 v20, v25, s[8:9] scale_offset
	s_clause 0x1
	global_load_b128 v[28:31], v[18:19], off offset:16
	global_load_b128 v[32:35], v[18:19], off
	s_wait_xcnt 0x2
	v_add_nc_u32_e32 v25, 4, v25
	v_add_co_u32 v27, s11, v27, 1
	s_or_b32 s10, s11, s10
	s_wait_loadcnt 0x2
	v_subrev_nc_u32_e32 v20, s12, v20
	s_wait_loadcnt 0x0
	s_delay_alu instid0(VALU_DEP_1) | instskip(NEXT) | instid1(VALU_DEP_1)
	v_dual_mov_b32 v23, v32 :: v_dual_lshlrev_b32 v36, 2, v20
	v_dual_mov_b32 v20, v32 :: v_dual_ashrrev_i32 v37, 31, v36
	s_wait_kmcnt 0x0
	s_delay_alu instid0(VALU_DEP_1)
	v_lshl_add_u64 v[52:53], v[36:37], 3, s[4:5]
	s_clause 0x1
	global_load_b128 v[36:39], v[52:53], off
	global_load_b128 v[40:43], v[52:53], off offset:16
	s_clause 0x1
	global_load_b128 v[44:47], v[18:19], off offset:32
	global_load_b128 v[48:51], v[18:19], off offset:48
	s_wait_xcnt 0x0
	v_add_nc_u64_e32 v[18:19], 0x100, v[18:19]
	s_wait_loadcnt 0x3
	v_pk_fma_f32 v[10:11], v[36:37], v[20:21], v[10:11] op_sel_hi:[0,1,1]
	v_dual_mov_b32 v20, v33 :: v_dual_mov_b32 v32, v39
	s_wait_loadcnt 0x2
	v_mov_b32_e32 v52, v43
	s_delay_alu instid0(VALU_DEP_3) | instskip(SKIP_1) | instid1(VALU_DEP_2)
	v_pk_fma_f32 v[10:11], v[36:37], v[22:23], v[10:11] op_sel:[1,0,0]
	v_mov_b32_e32 v23, v33
	v_pk_fma_f32 v[10:11], v[38:39], v[20:21], v[10:11] op_sel_hi:[0,1,1]
	v_mov_b32_e32 v20, v34
	s_delay_alu instid0(VALU_DEP_2) | instskip(SKIP_1) | instid1(VALU_DEP_2)
	v_pk_fma_f32 v[10:11], v[32:33], v[22:23], v[10:11] op_sel_hi:[0,1,1]
	v_mov_b32_e32 v23, v34
	v_pk_fma_f32 v[10:11], v[40:41], v[20:21], v[10:11] op_sel_hi:[0,1,1]
	v_mov_b32_e32 v20, v35
	s_delay_alu instid0(VALU_DEP_2) | instskip(SKIP_1) | instid1(VALU_DEP_2)
	v_pk_fma_f32 v[10:11], v[40:41], v[22:23], v[10:11] op_sel:[1,0,0]
	v_mov_b32_e32 v23, v35
	v_pk_fma_f32 v[10:11], v[42:43], v[20:21], v[10:11] op_sel_hi:[0,1,1]
	v_mov_b32_e32 v20, v28
	s_delay_alu instid0(VALU_DEP_2) | instskip(SKIP_1) | instid1(VALU_DEP_3)
	v_pk_fma_f32 v[10:11], v[52:53], v[22:23], v[10:11] op_sel_hi:[0,1,1]
	v_mov_b32_e32 v23, v28
	v_pk_fma_f32 v[12:13], v[36:37], v[20:21], v[12:13] op_sel_hi:[0,1,1]
	v_mov_b32_e32 v20, v29
	s_delay_alu instid0(VALU_DEP_2) | instskip(SKIP_1) | instid1(VALU_DEP_2)
	v_pk_fma_f32 v[12:13], v[36:37], v[22:23], v[12:13] op_sel:[1,0,0]
	v_mov_b32_e32 v23, v29
	v_pk_fma_f32 v[12:13], v[38:39], v[20:21], v[12:13] op_sel_hi:[0,1,1]
	v_mov_b32_e32 v20, v30
	s_delay_alu instid0(VALU_DEP_2) | instskip(SKIP_1) | instid1(VALU_DEP_2)
	v_pk_fma_f32 v[12:13], v[32:33], v[22:23], v[12:13] op_sel_hi:[0,1,1]
	v_mov_b32_e32 v23, v30
	v_pk_fma_f32 v[12:13], v[40:41], v[20:21], v[12:13] op_sel_hi:[0,1,1]
	v_mov_b32_e32 v20, v31
	s_delay_alu instid0(VALU_DEP_2) | instskip(SKIP_1) | instid1(VALU_DEP_2)
	v_pk_fma_f32 v[12:13], v[40:41], v[22:23], v[12:13] op_sel:[1,0,0]
	v_mov_b32_e32 v23, v31
	v_pk_fma_f32 v[12:13], v[42:43], v[20:21], v[12:13] op_sel_hi:[0,1,1]
	s_wait_loadcnt 0x1
	v_mov_b32_e32 v20, v44
	s_delay_alu instid0(VALU_DEP_2) | instskip(SKIP_1) | instid1(VALU_DEP_3)
	v_pk_fma_f32 v[12:13], v[52:53], v[22:23], v[12:13] op_sel_hi:[0,1,1]
	v_mov_b32_e32 v23, v44
	v_pk_fma_f32 v[14:15], v[36:37], v[20:21], v[14:15] op_sel_hi:[0,1,1]
	v_mov_b32_e32 v20, v45
	s_delay_alu instid0(VALU_DEP_2) | instskip(SKIP_1) | instid1(VALU_DEP_2)
	v_pk_fma_f32 v[14:15], v[36:37], v[22:23], v[14:15] op_sel:[1,0,0]
	v_mov_b32_e32 v23, v45
	v_pk_fma_f32 v[14:15], v[38:39], v[20:21], v[14:15] op_sel_hi:[0,1,1]
	v_mov_b32_e32 v20, v46
	s_delay_alu instid0(VALU_DEP_2) | instskip(SKIP_1) | instid1(VALU_DEP_2)
	v_pk_fma_f32 v[14:15], v[32:33], v[22:23], v[14:15] op_sel_hi:[0,1,1]
	v_mov_b32_e32 v23, v46
	v_pk_fma_f32 v[14:15], v[40:41], v[20:21], v[14:15] op_sel_hi:[0,1,1]
	v_mov_b32_e32 v20, v47
	s_delay_alu instid0(VALU_DEP_2) | instskip(SKIP_1) | instid1(VALU_DEP_2)
	v_pk_fma_f32 v[14:15], v[40:41], v[22:23], v[14:15] op_sel:[1,0,0]
	v_mov_b32_e32 v23, v47
	v_pk_fma_f32 v[14:15], v[42:43], v[20:21], v[14:15] op_sel_hi:[0,1,1]
	s_wait_loadcnt 0x0
	v_mov_b32_e32 v20, v48
	s_delay_alu instid0(VALU_DEP_2) | instskip(SKIP_1) | instid1(VALU_DEP_3)
	v_pk_fma_f32 v[14:15], v[52:53], v[22:23], v[14:15] op_sel_hi:[0,1,1]
	v_mov_b32_e32 v23, v48
	v_pk_fma_f32 v[16:17], v[36:37], v[20:21], v[16:17] op_sel_hi:[0,1,1]
	v_mov_b32_e32 v20, v49
	s_delay_alu instid0(VALU_DEP_2) | instskip(SKIP_1) | instid1(VALU_DEP_2)
	v_pk_fma_f32 v[16:17], v[36:37], v[22:23], v[16:17] op_sel:[1,0,0]
	v_mov_b32_e32 v23, v49
	v_pk_fma_f32 v[16:17], v[38:39], v[20:21], v[16:17] op_sel_hi:[0,1,1]
	v_mov_b32_e32 v20, v50
	s_delay_alu instid0(VALU_DEP_2) | instskip(SKIP_1) | instid1(VALU_DEP_2)
	v_pk_fma_f32 v[16:17], v[32:33], v[22:23], v[16:17] op_sel_hi:[0,1,1]
	v_mov_b32_e32 v23, v50
	v_pk_fma_f32 v[16:17], v[40:41], v[20:21], v[16:17] op_sel_hi:[0,1,1]
	v_mov_b32_e32 v20, v51
	s_delay_alu instid0(VALU_DEP_2) | instskip(SKIP_1) | instid1(VALU_DEP_2)
	v_pk_fma_f32 v[16:17], v[40:41], v[22:23], v[16:17] op_sel:[1,0,0]
	v_mov_b32_e32 v23, v51
	v_pk_fma_f32 v[16:17], v[42:43], v[20:21], v[16:17] op_sel_hi:[0,1,1]
	s_delay_alu instid0(VALU_DEP_1)
	v_pk_fma_f32 v[16:17], v[52:53], v[22:23], v[16:17] op_sel_hi:[0,1,1]
	s_and_not1_b32 exec_lo, exec_lo, s10
	s_cbranch_execnz .LBB120_13
; %bb.14:
	s_or_b32 exec_lo, exec_lo, s10
.LBB120_15:
	s_delay_alu instid0(SALU_CYCLE_1) | instskip(NEXT) | instid1(SALU_CYCLE_1)
	s_or_b32 exec_lo, exec_lo, s7
	s_mov_b32 s7, exec_lo
	v_cmpx_lt_u32_e32 11, v26
	s_cbranch_execz .LBB120_19
; %bb.16:
	v_mov_b32_e32 v21, 0
	v_bfrev_b32_e32 v22, 1
	s_mov_b32 s10, 0
.LBB120_17:                             ; =>This Inner Loop Header: Depth=1
	global_load_b32 v20, v25, s[8:9] scale_offset
	s_clause 0x6
	global_load_b128 v[26:29], v[18:19], off
	global_load_b128 v[30:33], v[18:19], off offset:16
	global_load_b128 v[34:37], v[18:19], off offset:48
	;; [unrolled: 1-line block ×6, first 2 shown]
	s_clause 0x2
	global_load_b32 v65, v25, s[8:9] offset:16 scale_offset
	global_load_b32 v72, v25, s[8:9] offset:32 scale_offset
	;; [unrolled: 1-line block ×3, first 2 shown]
	s_wait_xcnt 0x0
	v_add_nc_u32_e32 v25, 16, v25
	s_delay_alu instid0(VALU_DEP_1)
	v_cmp_ge_i32_e32 vcc_lo, v25, v1
	s_or_b32 s10, vcc_lo, s10
	s_wait_loadcnt 0xa
	v_subrev_nc_u32_e32 v54, s12, v20
	s_wait_loadcnt 0x9
	v_dual_mov_b32 v20, v26 :: v_dual_mov_b32 v23, v26
	s_delay_alu instid0(VALU_DEP_2) | instskip(NEXT) | instid1(VALU_DEP_1)
	v_lshlrev_b32_e32 v54, 2, v54
	v_ashrrev_i32_e32 v55, 31, v54
	s_wait_kmcnt 0x0
	s_delay_alu instid0(VALU_DEP_1)
	v_lshl_add_u64 v[62:63], v[54:55], 3, s[4:5]
	s_clause 0x1
	global_load_b128 v[54:57], v[62:63], off
	global_load_b128 v[58:61], v[62:63], off offset:16
	s_wait_loadcnt 0x1
	v_pk_fma_f32 v[10:11], v[54:55], v[20:21], v[10:11] op_sel_hi:[0,1,1]
	s_wait_xcnt 0x0
	v_dual_mov_b32 v20, v27 :: v_dual_mov_b32 v62, v57
	s_wait_loadcnt 0x0
	v_mov_b32_e32 v64, v61
	v_pk_fma_f32 v[10:11], v[54:55], v[22:23], v[10:11] op_sel:[1,0,0]
	v_mov_b32_e32 v23, v27
	s_delay_alu instid0(VALU_DEP_2) | instskip(SKIP_1) | instid1(VALU_DEP_2)
	v_pk_fma_f32 v[10:11], v[56:57], v[20:21], v[10:11] op_sel_hi:[0,1,1]
	v_mov_b32_e32 v20, v28
	v_pk_fma_f32 v[10:11], v[62:63], v[22:23], v[10:11] op_sel_hi:[0,1,1]
	v_mov_b32_e32 v23, v28
	s_delay_alu instid0(VALU_DEP_2) | instskip(SKIP_1) | instid1(VALU_DEP_2)
	v_pk_fma_f32 v[10:11], v[58:59], v[20:21], v[10:11] op_sel_hi:[0,1,1]
	v_mov_b32_e32 v20, v29
	v_pk_fma_f32 v[10:11], v[58:59], v[22:23], v[10:11] op_sel:[1,0,0]
	v_mov_b32_e32 v23, v29
	global_load_b128 v[26:29], v[18:19], off offset:256
	v_pk_fma_f32 v[10:11], v[60:61], v[20:21], v[10:11] op_sel_hi:[0,1,1]
	v_mov_b32_e32 v20, v30
	s_delay_alu instid0(VALU_DEP_2) | instskip(SKIP_1) | instid1(VALU_DEP_3)
	v_pk_fma_f32 v[66:67], v[64:65], v[22:23], v[10:11] op_sel_hi:[0,1,1]
	v_mov_b32_e32 v23, v30
	v_pk_fma_f32 v[10:11], v[54:55], v[20:21], v[12:13] op_sel_hi:[0,1,1]
	v_mov_b32_e32 v20, v31
	s_delay_alu instid0(VALU_DEP_2) | instskip(SKIP_1) | instid1(VALU_DEP_2)
	v_pk_fma_f32 v[10:11], v[54:55], v[22:23], v[10:11] op_sel:[1,0,0]
	v_mov_b32_e32 v23, v31
	v_pk_fma_f32 v[10:11], v[56:57], v[20:21], v[10:11] op_sel_hi:[0,1,1]
	v_mov_b32_e32 v20, v32
	s_delay_alu instid0(VALU_DEP_2) | instskip(SKIP_1) | instid1(VALU_DEP_2)
	v_pk_fma_f32 v[10:11], v[62:63], v[22:23], v[10:11] op_sel_hi:[0,1,1]
	v_mov_b32_e32 v23, v32
	v_pk_fma_f32 v[10:11], v[58:59], v[20:21], v[10:11] op_sel_hi:[0,1,1]
	v_mov_b32_e32 v20, v33
	s_delay_alu instid0(VALU_DEP_2) | instskip(SKIP_4) | instid1(VALU_DEP_2)
	v_pk_fma_f32 v[30:31], v[58:59], v[22:23], v[10:11] op_sel:[1,0,0]
	v_mov_b32_e32 v23, v33
	global_load_b128 v[10:13], v[18:19], off offset:528
	v_pk_fma_f32 v[30:31], v[60:61], v[20:21], v[30:31] op_sel_hi:[0,1,1]
	v_mov_b32_e32 v20, v38
	v_pk_fma_f32 v[68:69], v[64:65], v[22:23], v[30:31] op_sel_hi:[0,1,1]
	v_mov_b32_e32 v23, v38
	s_delay_alu instid0(VALU_DEP_3) | instskip(SKIP_4) | instid1(VALU_DEP_2)
	v_pk_fma_f32 v[14:15], v[54:55], v[20:21], v[14:15] op_sel_hi:[0,1,1]
	v_mov_b32_e32 v20, v39
	global_load_b128 v[30:33], v[18:19], off offset:512
	v_pk_fma_f32 v[14:15], v[54:55], v[22:23], v[14:15] op_sel:[1,0,0]
	v_mov_b32_e32 v23, v39
	v_pk_fma_f32 v[14:15], v[56:57], v[20:21], v[14:15] op_sel_hi:[0,1,1]
	v_mov_b32_e32 v20, v40
	s_delay_alu instid0(VALU_DEP_2) | instskip(SKIP_2) | instid1(VALU_DEP_3)
	v_pk_fma_f32 v[14:15], v[62:63], v[22:23], v[14:15] op_sel_hi:[0,1,1]
	v_mov_b32_e32 v23, v40
	v_subrev_nc_u32_e32 v40, s12, v72
	v_pk_fma_f32 v[14:15], v[58:59], v[20:21], v[14:15] op_sel_hi:[0,1,1]
	v_mov_b32_e32 v20, v41
	s_delay_alu instid0(VALU_DEP_2) | instskip(SKIP_1) | instid1(VALU_DEP_2)
	v_pk_fma_f32 v[14:15], v[58:59], v[22:23], v[14:15] op_sel:[1,0,0]
	v_mov_b32_e32 v23, v41
	v_pk_fma_f32 v[14:15], v[60:61], v[20:21], v[14:15] op_sel_hi:[0,1,1]
	v_mov_b32_e32 v20, v34
	s_delay_alu instid0(VALU_DEP_2) | instskip(SKIP_1) | instid1(VALU_DEP_3)
	v_pk_fma_f32 v[70:71], v[64:65], v[22:23], v[14:15] op_sel_hi:[0,1,1]
	v_mov_b32_e32 v23, v34
	v_pk_fma_f32 v[14:15], v[54:55], v[20:21], v[16:17] op_sel_hi:[0,1,1]
	v_mov_b32_e32 v20, v35
	s_delay_alu instid0(VALU_DEP_2) | instskip(SKIP_1) | instid1(VALU_DEP_2)
	v_pk_fma_f32 v[14:15], v[54:55], v[22:23], v[14:15] op_sel:[1,0,0]
	v_mov_b32_e32 v23, v35
	v_pk_fma_f32 v[38:39], v[56:57], v[20:21], v[14:15] op_sel_hi:[0,1,1]
	v_subrev_nc_u32_e32 v20, s12, v65
	global_load_b128 v[14:17], v[18:19], off offset:544
	v_pk_fma_f32 v[38:39], v[62:63], v[22:23], v[38:39] op_sel_hi:[0,1,1]
	v_dual_lshlrev_b32 v34, 2, v20 :: v_dual_mov_b32 v20, v36
	v_dual_mov_b32 v23, v36 :: v_dual_lshlrev_b32 v40, 2, v40
	s_delay_alu instid0(VALU_DEP_1) | instskip(NEXT) | instid1(VALU_DEP_1)
	v_dual_ashrrev_i32 v35, 31, v34 :: v_dual_ashrrev_i32 v41, 31, v40
	v_lshl_add_u64 v[54:55], v[34:35], 3, s[4:5]
	s_delay_alu instid0(VALU_DEP_4) | instskip(SKIP_1) | instid1(VALU_DEP_4)
	v_pk_fma_f32 v[34:35], v[58:59], v[20:21], v[38:39] op_sel_hi:[0,1,1]
	v_mov_b32_e32 v20, v37
	v_lshl_add_u64 v[56:57], v[40:41], 3, s[4:5]
	s_delay_alu instid0(VALU_DEP_3)
	v_pk_fma_f32 v[38:39], v[58:59], v[22:23], v[34:35] op_sel:[1,0,0]
	v_mov_b32_e32 v23, v37
	global_load_b128 v[34:37], v[54:55], off
	v_pk_fma_f32 v[58:59], v[60:61], v[20:21], v[38:39] op_sel_hi:[0,1,1]
	global_load_b128 v[38:41], v[54:55], off offset:16
	v_pk_fma_f32 v[58:59], v[64:65], v[22:23], v[58:59] op_sel_hi:[0,1,1]
	s_wait_loadcnt 0x5
	v_dual_mov_b32 v20, v26 :: v_dual_mov_b32 v23, v26
	s_wait_loadcnt 0x1
	s_wait_xcnt 0x0
	v_mov_b32_e32 v54, v37
	s_delay_alu instid0(VALU_DEP_2) | instskip(SKIP_2) | instid1(VALU_DEP_2)
	v_pk_fma_f32 v[60:61], v[34:35], v[20:21], v[66:67] op_sel_hi:[0,1,1]
	s_wait_loadcnt 0x0
	v_dual_mov_b32 v20, v27 :: v_dual_mov_b32 v62, v41
	v_pk_fma_f32 v[60:61], v[34:35], v[22:23], v[60:61] op_sel:[1,0,0]
	v_mov_b32_e32 v23, v27
	s_delay_alu instid0(VALU_DEP_2) | instskip(SKIP_1) | instid1(VALU_DEP_2)
	v_pk_fma_f32 v[26:27], v[36:37], v[20:21], v[60:61] op_sel_hi:[0,1,1]
	v_mov_b32_e32 v20, v28
	v_pk_fma_f32 v[26:27], v[54:55], v[22:23], v[26:27] op_sel_hi:[0,1,1]
	v_mov_b32_e32 v23, v28
	s_delay_alu instid0(VALU_DEP_2) | instskip(SKIP_1) | instid1(VALU_DEP_2)
	v_pk_fma_f32 v[26:27], v[38:39], v[20:21], v[26:27] op_sel_hi:[0,1,1]
	v_mov_b32_e32 v20, v29
	v_pk_fma_f32 v[60:61], v[38:39], v[22:23], v[26:27] op_sel:[1,0,0]
	v_mov_b32_e32 v23, v29
	global_load_b128 v[26:29], v[56:57], off
	v_pk_fma_f32 v[60:61], v[40:41], v[20:21], v[60:61] op_sel_hi:[0,1,1]
	v_mov_b32_e32 v20, v50
	s_delay_alu instid0(VALU_DEP_2) | instskip(SKIP_1) | instid1(VALU_DEP_3)
	v_pk_fma_f32 v[60:61], v[62:63], v[22:23], v[60:61] op_sel_hi:[0,1,1]
	v_mov_b32_e32 v23, v50
	v_pk_fma_f32 v[64:65], v[34:35], v[20:21], v[68:69] op_sel_hi:[0,1,1]
	v_mov_b32_e32 v20, v51
	s_delay_alu instid0(VALU_DEP_2) | instskip(SKIP_1) | instid1(VALU_DEP_2)
	v_pk_fma_f32 v[64:65], v[34:35], v[22:23], v[64:65] op_sel:[1,0,0]
	v_mov_b32_e32 v23, v51
	v_pk_fma_f32 v[50:51], v[36:37], v[20:21], v[64:65] op_sel_hi:[0,1,1]
	v_mov_b32_e32 v20, v52
	s_delay_alu instid0(VALU_DEP_2) | instskip(SKIP_1) | instid1(VALU_DEP_2)
	v_pk_fma_f32 v[50:51], v[54:55], v[22:23], v[50:51] op_sel_hi:[0,1,1]
	v_mov_b32_e32 v23, v52
	v_pk_fma_f32 v[50:51], v[38:39], v[20:21], v[50:51] op_sel_hi:[0,1,1]
	v_mov_b32_e32 v20, v53
	s_delay_alu instid0(VALU_DEP_2)
	v_pk_fma_f32 v[64:65], v[38:39], v[22:23], v[50:51] op_sel:[1,0,0]
	v_mov_b32_e32 v23, v53
	global_load_b128 v[50:53], v[56:57], off offset:16
	s_wait_xcnt 0x0
	v_pk_fma_f32 v[56:57], v[40:41], v[20:21], v[64:65] op_sel_hi:[0,1,1]
	v_mov_b32_e32 v20, v46
	s_delay_alu instid0(VALU_DEP_2) | instskip(SKIP_1) | instid1(VALU_DEP_3)
	v_pk_fma_f32 v[64:65], v[62:63], v[22:23], v[56:57] op_sel_hi:[0,1,1]
	v_mov_b32_e32 v23, v46
	v_pk_fma_f32 v[56:57], v[34:35], v[20:21], v[70:71] op_sel_hi:[0,1,1]
	v_mov_b32_e32 v20, v47
	s_delay_alu instid0(VALU_DEP_2) | instskip(SKIP_1) | instid1(VALU_DEP_2)
	v_pk_fma_f32 v[56:57], v[34:35], v[22:23], v[56:57] op_sel:[1,0,0]
	v_mov_b32_e32 v23, v47
	v_pk_fma_f32 v[46:47], v[36:37], v[20:21], v[56:57] op_sel_hi:[0,1,1]
	v_mov_b32_e32 v20, v48
	s_delay_alu instid0(VALU_DEP_2) | instskip(SKIP_1) | instid1(VALU_DEP_2)
	v_pk_fma_f32 v[46:47], v[54:55], v[22:23], v[46:47] op_sel_hi:[0,1,1]
	v_mov_b32_e32 v23, v48
	v_pk_fma_f32 v[46:47], v[38:39], v[20:21], v[46:47] op_sel_hi:[0,1,1]
	v_mov_b32_e32 v20, v49
	s_delay_alu instid0(VALU_DEP_2) | instskip(SKIP_4) | instid1(VALU_DEP_2)
	v_pk_fma_f32 v[56:57], v[38:39], v[22:23], v[46:47] op_sel:[1,0,0]
	v_mov_b32_e32 v23, v49
	global_load_b128 v[46:49], v[18:19], off offset:560
	v_pk_fma_f32 v[56:57], v[40:41], v[20:21], v[56:57] op_sel_hi:[0,1,1]
	v_mov_b32_e32 v20, v42
	v_pk_fma_f32 v[66:67], v[62:63], v[22:23], v[56:57] op_sel_hi:[0,1,1]
	v_mov_b32_e32 v23, v42
	s_delay_alu instid0(VALU_DEP_3) | instskip(SKIP_1) | instid1(VALU_DEP_2)
	v_pk_fma_f32 v[56:57], v[34:35], v[20:21], v[58:59] op_sel_hi:[0,1,1]
	v_mov_b32_e32 v20, v43
	v_pk_fma_f32 v[34:35], v[34:35], v[22:23], v[56:57] op_sel:[1,0,0]
	v_mov_b32_e32 v23, v43
	s_delay_alu instid0(VALU_DEP_2) | instskip(SKIP_4) | instid1(VALU_DEP_1)
	v_pk_fma_f32 v[56:57], v[36:37], v[20:21], v[34:35] op_sel_hi:[0,1,1]
	v_subrev_nc_u32_e32 v20, s12, v73
	global_load_b128 v[34:37], v[18:19], off offset:768
	v_pk_fma_f32 v[42:43], v[54:55], v[22:23], v[56:57] op_sel_hi:[0,1,1]
	v_dual_lshlrev_b32 v58, 2, v20 :: v_dual_mov_b32 v20, v44
	v_dual_mov_b32 v23, v44 :: v_dual_ashrrev_i32 v59, 31, v58
	s_delay_alu instid0(VALU_DEP_2) | instskip(SKIP_1) | instid1(VALU_DEP_3)
	v_pk_fma_f32 v[42:43], v[38:39], v[20:21], v[42:43] op_sel_hi:[0,1,1]
	v_mov_b32_e32 v20, v45
	v_lshl_add_u64 v[58:59], v[58:59], 3, s[4:5]
	s_delay_alu instid0(VALU_DEP_3)
	v_pk_fma_f32 v[38:39], v[38:39], v[22:23], v[42:43] op_sel:[1,0,0]
	v_mov_b32_e32 v23, v45
	s_clause 0x1
	global_load_b128 v[54:57], v[58:59], off
	global_load_b128 v[42:45], v[58:59], off offset:16
	s_wait_xcnt 0x0
	v_pk_fma_f32 v[58:59], v[40:41], v[20:21], v[38:39] op_sel_hi:[0,1,1]
	global_load_b128 v[38:41], v[18:19], off offset:784
	v_mov_b32_e32 v20, v30
	v_pk_fma_f32 v[62:63], v[62:63], v[22:23], v[58:59] op_sel_hi:[0,1,1]
	s_wait_loadcnt 0x6
	v_dual_mov_b32 v23, v30 :: v_dual_mov_b32 v68, v29
	s_delay_alu instid0(VALU_DEP_3) | instskip(SKIP_1) | instid1(VALU_DEP_2)
	v_pk_fma_f32 v[58:59], v[26:27], v[20:21], v[60:61] op_sel_hi:[0,1,1]
	v_mov_b32_e32 v20, v31
	v_pk_fma_f32 v[58:59], v[26:27], v[22:23], v[58:59] op_sel:[1,0,0]
	v_mov_b32_e32 v23, v31
	s_delay_alu instid0(VALU_DEP_2) | instskip(SKIP_1) | instid1(VALU_DEP_2)
	v_pk_fma_f32 v[30:31], v[28:29], v[20:21], v[58:59] op_sel_hi:[0,1,1]
	v_mov_b32_e32 v20, v32
	v_pk_fma_f32 v[30:31], v[68:69], v[22:23], v[30:31] op_sel_hi:[0,1,1]
	v_mov_b32_e32 v23, v32
	s_wait_loadcnt 0x5
	s_delay_alu instid0(VALU_DEP_2) | instskip(SKIP_1) | instid1(VALU_DEP_2)
	v_pk_fma_f32 v[30:31], v[50:51], v[20:21], v[30:31] op_sel_hi:[0,1,1]
	v_dual_mov_b32 v20, v33 :: v_dual_mov_b32 v70, v53
	v_pk_fma_f32 v[58:59], v[50:51], v[22:23], v[30:31] op_sel:[1,0,0]
	v_mov_b32_e32 v23, v33
	global_load_b128 v[30:33], v[18:19], off offset:800
	v_pk_fma_f32 v[58:59], v[52:53], v[20:21], v[58:59] op_sel_hi:[0,1,1]
	v_mov_b32_e32 v20, v10
	s_delay_alu instid0(VALU_DEP_2) | instskip(SKIP_1) | instid1(VALU_DEP_3)
	v_pk_fma_f32 v[72:73], v[70:71], v[22:23], v[58:59] op_sel_hi:[0,1,1]
	v_mov_b32_e32 v23, v10
	v_pk_fma_f32 v[58:59], v[26:27], v[20:21], v[64:65] op_sel_hi:[0,1,1]
	v_mov_b32_e32 v20, v11
	s_delay_alu instid0(VALU_DEP_2) | instskip(SKIP_1) | instid1(VALU_DEP_2)
	v_pk_fma_f32 v[58:59], v[26:27], v[22:23], v[58:59] op_sel:[1,0,0]
	v_mov_b32_e32 v23, v11
	v_pk_fma_f32 v[10:11], v[28:29], v[20:21], v[58:59] op_sel_hi:[0,1,1]
	global_load_b128 v[58:61], v[18:19], off offset:816
	v_mov_b32_e32 v20, v12
	s_wait_xcnt 0x0
	v_add_nc_u64_e32 v[18:19], 0x400, v[18:19]
	v_pk_fma_f32 v[10:11], v[68:69], v[22:23], v[10:11] op_sel_hi:[0,1,1]
	v_mov_b32_e32 v23, v12
	s_delay_alu instid0(VALU_DEP_2) | instskip(SKIP_1) | instid1(VALU_DEP_2)
	v_pk_fma_f32 v[10:11], v[50:51], v[20:21], v[10:11] op_sel_hi:[0,1,1]
	v_mov_b32_e32 v20, v13
	v_pk_fma_f32 v[10:11], v[50:51], v[22:23], v[10:11] op_sel:[1,0,0]
	v_mov_b32_e32 v23, v13
	s_delay_alu instid0(VALU_DEP_2) | instskip(SKIP_1) | instid1(VALU_DEP_2)
	v_pk_fma_f32 v[10:11], v[52:53], v[20:21], v[10:11] op_sel_hi:[0,1,1]
	v_mov_b32_e32 v20, v14
	v_pk_fma_f32 v[12:13], v[70:71], v[22:23], v[10:11] op_sel_hi:[0,1,1]
	v_mov_b32_e32 v23, v14
	s_delay_alu instid0(VALU_DEP_3) | instskip(SKIP_1) | instid1(VALU_DEP_2)
	v_pk_fma_f32 v[10:11], v[26:27], v[20:21], v[66:67] op_sel_hi:[0,1,1]
	v_mov_b32_e32 v20, v15
	v_pk_fma_f32 v[10:11], v[26:27], v[22:23], v[10:11] op_sel:[1,0,0]
	v_mov_b32_e32 v23, v15
	s_delay_alu instid0(VALU_DEP_2) | instskip(SKIP_1) | instid1(VALU_DEP_2)
	v_pk_fma_f32 v[10:11], v[28:29], v[20:21], v[10:11] op_sel_hi:[0,1,1]
	v_mov_b32_e32 v20, v16
	v_pk_fma_f32 v[10:11], v[68:69], v[22:23], v[10:11] op_sel_hi:[0,1,1]
	v_mov_b32_e32 v23, v16
	s_delay_alu instid0(VALU_DEP_2)
	v_pk_fma_f32 v[10:11], v[50:51], v[20:21], v[10:11] op_sel_hi:[0,1,1]
	s_wait_loadcnt 0x4
	v_dual_mov_b32 v20, v17 :: v_dual_mov_b32 v16, v57
	s_wait_loadcnt 0x3
	v_mov_b32_e32 v64, v45
	v_pk_fma_f32 v[10:11], v[50:51], v[22:23], v[10:11] op_sel:[1,0,0]
	v_mov_b32_e32 v23, v17
	s_delay_alu instid0(VALU_DEP_2) | instskip(SKIP_1) | instid1(VALU_DEP_2)
	v_pk_fma_f32 v[10:11], v[52:53], v[20:21], v[10:11] op_sel_hi:[0,1,1]
	v_mov_b32_e32 v20, v46
	v_pk_fma_f32 v[14:15], v[70:71], v[22:23], v[10:11] op_sel_hi:[0,1,1]
	v_mov_b32_e32 v23, v46
	s_delay_alu instid0(VALU_DEP_3) | instskip(SKIP_1) | instid1(VALU_DEP_2)
	v_pk_fma_f32 v[10:11], v[26:27], v[20:21], v[62:63] op_sel_hi:[0,1,1]
	v_mov_b32_e32 v20, v47
	v_pk_fma_f32 v[10:11], v[26:27], v[22:23], v[10:11] op_sel:[1,0,0]
	v_mov_b32_e32 v23, v47
	s_delay_alu instid0(VALU_DEP_2) | instskip(SKIP_1) | instid1(VALU_DEP_2)
	v_pk_fma_f32 v[10:11], v[28:29], v[20:21], v[10:11] op_sel_hi:[0,1,1]
	v_mov_b32_e32 v20, v48
	v_pk_fma_f32 v[10:11], v[68:69], v[22:23], v[10:11] op_sel_hi:[0,1,1]
	v_mov_b32_e32 v23, v48
	s_delay_alu instid0(VALU_DEP_2) | instskip(SKIP_1) | instid1(VALU_DEP_2)
	v_pk_fma_f32 v[10:11], v[50:51], v[20:21], v[10:11] op_sel_hi:[0,1,1]
	v_mov_b32_e32 v20, v49
	v_pk_fma_f32 v[10:11], v[50:51], v[22:23], v[10:11] op_sel:[1,0,0]
	v_mov_b32_e32 v23, v49
	s_delay_alu instid0(VALU_DEP_2) | instskip(SKIP_1) | instid1(VALU_DEP_2)
	v_pk_fma_f32 v[10:11], v[52:53], v[20:21], v[10:11] op_sel_hi:[0,1,1]
	v_mov_b32_e32 v20, v34
	v_pk_fma_f32 v[26:27], v[70:71], v[22:23], v[10:11] op_sel_hi:[0,1,1]
	v_mov_b32_e32 v23, v34
	s_delay_alu instid0(VALU_DEP_3) | instskip(SKIP_1) | instid1(VALU_DEP_2)
	v_pk_fma_f32 v[10:11], v[54:55], v[20:21], v[72:73] op_sel_hi:[0,1,1]
	v_mov_b32_e32 v20, v35
	v_pk_fma_f32 v[10:11], v[54:55], v[22:23], v[10:11] op_sel:[1,0,0]
	v_mov_b32_e32 v23, v35
	s_delay_alu instid0(VALU_DEP_2) | instskip(SKIP_1) | instid1(VALU_DEP_2)
	v_pk_fma_f32 v[10:11], v[56:57], v[20:21], v[10:11] op_sel_hi:[0,1,1]
	v_mov_b32_e32 v20, v36
	v_pk_fma_f32 v[10:11], v[16:17], v[22:23], v[10:11] op_sel_hi:[0,1,1]
	v_mov_b32_e32 v23, v36
	s_delay_alu instid0(VALU_DEP_2) | instskip(SKIP_1) | instid1(VALU_DEP_2)
	v_pk_fma_f32 v[10:11], v[42:43], v[20:21], v[10:11] op_sel_hi:[0,1,1]
	v_mov_b32_e32 v20, v37
	v_pk_fma_f32 v[10:11], v[42:43], v[22:23], v[10:11] op_sel:[1,0,0]
	v_mov_b32_e32 v23, v37
	s_delay_alu instid0(VALU_DEP_2) | instskip(SKIP_2) | instid1(VALU_DEP_2)
	v_pk_fma_f32 v[10:11], v[44:45], v[20:21], v[10:11] op_sel_hi:[0,1,1]
	s_wait_loadcnt 0x2
	v_mov_b32_e32 v20, v38
	v_pk_fma_f32 v[10:11], v[64:65], v[22:23], v[10:11] op_sel_hi:[0,1,1]
	v_mov_b32_e32 v23, v38
	s_delay_alu instid0(VALU_DEP_3) | instskip(SKIP_1) | instid1(VALU_DEP_2)
	v_pk_fma_f32 v[12:13], v[54:55], v[20:21], v[12:13] op_sel_hi:[0,1,1]
	v_mov_b32_e32 v20, v39
	v_pk_fma_f32 v[12:13], v[54:55], v[22:23], v[12:13] op_sel:[1,0,0]
	v_mov_b32_e32 v23, v39
	s_delay_alu instid0(VALU_DEP_2) | instskip(SKIP_1) | instid1(VALU_DEP_2)
	v_pk_fma_f32 v[12:13], v[56:57], v[20:21], v[12:13] op_sel_hi:[0,1,1]
	v_mov_b32_e32 v20, v40
	v_pk_fma_f32 v[12:13], v[16:17], v[22:23], v[12:13] op_sel_hi:[0,1,1]
	v_mov_b32_e32 v23, v40
	s_delay_alu instid0(VALU_DEP_2) | instskip(SKIP_1) | instid1(VALU_DEP_2)
	v_pk_fma_f32 v[12:13], v[42:43], v[20:21], v[12:13] op_sel_hi:[0,1,1]
	v_mov_b32_e32 v20, v41
	v_pk_fma_f32 v[12:13], v[42:43], v[22:23], v[12:13] op_sel:[1,0,0]
	v_mov_b32_e32 v23, v41
	s_delay_alu instid0(VALU_DEP_2) | instskip(NEXT) | instid1(VALU_DEP_1)
	v_pk_fma_f32 v[12:13], v[44:45], v[20:21], v[12:13] op_sel_hi:[0,1,1]
	v_pk_fma_f32 v[12:13], v[64:65], v[22:23], v[12:13] op_sel_hi:[0,1,1]
	s_wait_loadcnt 0x1
	v_dual_mov_b32 v20, v30 :: v_dual_mov_b32 v23, v30
	s_delay_alu instid0(VALU_DEP_1) | instskip(SKIP_1) | instid1(VALU_DEP_2)
	v_pk_fma_f32 v[14:15], v[54:55], v[20:21], v[14:15] op_sel_hi:[0,1,1]
	v_mov_b32_e32 v20, v31
	v_pk_fma_f32 v[14:15], v[54:55], v[22:23], v[14:15] op_sel:[1,0,0]
	v_mov_b32_e32 v23, v31
	s_delay_alu instid0(VALU_DEP_2) | instskip(SKIP_1) | instid1(VALU_DEP_2)
	v_pk_fma_f32 v[14:15], v[56:57], v[20:21], v[14:15] op_sel_hi:[0,1,1]
	v_mov_b32_e32 v20, v32
	v_pk_fma_f32 v[14:15], v[16:17], v[22:23], v[14:15] op_sel_hi:[0,1,1]
	v_mov_b32_e32 v23, v32
	s_delay_alu instid0(VALU_DEP_2) | instskip(SKIP_1) | instid1(VALU_DEP_2)
	v_pk_fma_f32 v[14:15], v[42:43], v[20:21], v[14:15] op_sel_hi:[0,1,1]
	v_mov_b32_e32 v20, v33
	v_pk_fma_f32 v[14:15], v[42:43], v[22:23], v[14:15] op_sel:[1,0,0]
	v_mov_b32_e32 v23, v33
	s_delay_alu instid0(VALU_DEP_2) | instskip(SKIP_2) | instid1(VALU_DEP_2)
	v_pk_fma_f32 v[14:15], v[44:45], v[20:21], v[14:15] op_sel_hi:[0,1,1]
	s_wait_loadcnt 0x0
	v_mov_b32_e32 v20, v58
	v_pk_fma_f32 v[14:15], v[64:65], v[22:23], v[14:15] op_sel_hi:[0,1,1]
	v_mov_b32_e32 v23, v58
	s_delay_alu instid0(VALU_DEP_3) | instskip(SKIP_1) | instid1(VALU_DEP_2)
	v_pk_fma_f32 v[26:27], v[54:55], v[20:21], v[26:27] op_sel_hi:[0,1,1]
	v_mov_b32_e32 v20, v59
	v_pk_fma_f32 v[26:27], v[54:55], v[22:23], v[26:27] op_sel:[1,0,0]
	v_mov_b32_e32 v23, v59
	s_delay_alu instid0(VALU_DEP_2) | instskip(SKIP_1) | instid1(VALU_DEP_2)
	v_pk_fma_f32 v[26:27], v[56:57], v[20:21], v[26:27] op_sel_hi:[0,1,1]
	v_mov_b32_e32 v20, v60
	v_pk_fma_f32 v[16:17], v[16:17], v[22:23], v[26:27] op_sel_hi:[0,1,1]
	v_mov_b32_e32 v23, v60
	s_delay_alu instid0(VALU_DEP_2) | instskip(SKIP_1) | instid1(VALU_DEP_2)
	v_pk_fma_f32 v[16:17], v[42:43], v[20:21], v[16:17] op_sel_hi:[0,1,1]
	v_mov_b32_e32 v20, v61
	v_pk_fma_f32 v[16:17], v[42:43], v[22:23], v[16:17] op_sel:[1,0,0]
	v_mov_b32_e32 v23, v61
	s_delay_alu instid0(VALU_DEP_2) | instskip(NEXT) | instid1(VALU_DEP_1)
	v_pk_fma_f32 v[16:17], v[44:45], v[20:21], v[16:17] op_sel_hi:[0,1,1]
	v_pk_fma_f32 v[16:17], v[64:65], v[22:23], v[16:17] op_sel_hi:[0,1,1]
	s_and_not1_b32 exec_lo, exec_lo, s10
	s_cbranch_execnz .LBB120_17
; %bb.18:
	s_or_b32 exec_lo, exec_lo, s10
.LBB120_19:
	s_delay_alu instid0(SALU_CYCLE_1)
	s_or_b32 exec_lo, exec_lo, s7
.LBB120_20:
	s_delay_alu instid0(SALU_CYCLE_1)
	s_or_b32 exec_lo, exec_lo, s6
	s_cbranch_execz .LBB120_22
	s_branch .LBB120_33
.LBB120_21:
                                        ; implicit-def: $vgpr11
                                        ; implicit-def: $vgpr13
                                        ; implicit-def: $vgpr15
                                        ; implicit-def: $vgpr17
.LBB120_22:
	v_dual_mov_b32 v11, 0 :: v_dual_mov_b32 v10, 0
	v_dual_mov_b32 v13, 0 :: v_dual_mov_b32 v12, 0
	;; [unrolled: 1-line block ×4, first 2 shown]
	s_and_saveexec_b32 s6, s3
	s_cbranch_execz .LBB120_32
; %bb.23:
	v_add_nc_u32_e32 v10, v24, v7
	v_not_b32_e32 v11, v24
	v_mov_b64_e32 v[12:13], 0
	v_mov_b64_e32 v[14:15], 0
	;; [unrolled: 1-line block ×3, first 2 shown]
	v_subrev_nc_u32_e32 v10, s12, v10
	s_mov_b32 s3, exec_lo
	s_delay_alu instid0(VALU_DEP_1) | instskip(NEXT) | instid1(VALU_DEP_1)
	v_add_max_i32_e64 v10, v10, 4, v1
	v_add3_u32 v10, s12, v10, v11
	s_delay_alu instid0(VALU_DEP_1) | instskip(SKIP_1) | instid1(VALU_DEP_2)
	v_sub_nc_u32_e32 v22, v10, v7
	v_mov_b64_e32 v[10:11], 0
	v_and_b32_e32 v18, 12, v22
	s_delay_alu instid0(VALU_DEP_1)
	v_cmpx_ne_u32_e32 12, v18
	s_cbranch_execz .LBB120_27
; %bb.24:
	v_dual_mov_b32 v19, 0 :: v_dual_lshrrev_b32 v10, 2, v22
	v_bfrev_b32_e32 v20, 1
	s_mov_b32 s7, 0
	s_delay_alu instid0(VALU_DEP_2) | instskip(SKIP_2) | instid1(VALU_DEP_3)
	v_dual_add_nc_u32 v10, 1, v10 :: v_dual_mov_b32 v16, v19
	v_dual_mov_b32 v17, v19 :: v_dual_mov_b32 v14, v19
	v_dual_mov_b32 v12, v19 :: v_dual_mov_b32 v13, v19
	v_dual_mov_b32 v15, v19 :: v_dual_bitop2_b32 v11, 3, v10 bitop3:0x40
	s_delay_alu instid0(VALU_DEP_1)
	v_dual_mov_b32 v10, v19 :: v_dual_sub_nc_u32 v23, 0, v11
	v_mov_b32_e32 v11, v19
.LBB120_25:                             ; =>This Inner Loop Header: Depth=1
	global_load_b32 v18, v0, s[8:9] scale_offset
	s_clause 0x1
	global_load_b128 v[24:27], v[8:9], off offset:16
	global_load_b128 v[28:31], v[8:9], off
	s_wait_xcnt 0x2
	v_add_nc_u32_e32 v0, 4, v0
	v_add_co_u32 v23, s10, v23, 1
	s_or_b32 s7, s10, s7
	s_wait_loadcnt 0x2
	v_subrev_nc_u32_e32 v18, s12, v18
	s_wait_loadcnt 0x0
	s_delay_alu instid0(VALU_DEP_1) | instskip(NEXT) | instid1(VALU_DEP_1)
	v_dual_mov_b32 v21, v28 :: v_dual_lshlrev_b32 v32, 2, v18
	v_dual_mov_b32 v18, v28 :: v_dual_ashrrev_i32 v33, 31, v32
	s_wait_kmcnt 0x0
	s_delay_alu instid0(VALU_DEP_1)
	v_lshl_add_u64 v[48:49], v[32:33], 3, s[4:5]
	s_clause 0x1
	global_load_b128 v[32:35], v[48:49], off
	global_load_b128 v[36:39], v[48:49], off offset:16
	s_clause 0x1
	global_load_b128 v[40:43], v[8:9], off offset:32
	global_load_b128 v[44:47], v[8:9], off offset:48
	s_wait_xcnt 0x0
	v_add_nc_u64_e32 v[8:9], 0x100, v[8:9]
	s_wait_loadcnt 0x3
	v_pk_fma_f32 v[10:11], v[32:33], v[18:19], v[10:11] op_sel_hi:[0,1,1]
	v_dual_mov_b32 v18, v24 :: v_dual_mov_b32 v28, v35
	s_wait_loadcnt 0x2
	v_mov_b32_e32 v48, v39
	s_delay_alu instid0(VALU_DEP_3) | instskip(SKIP_1) | instid1(VALU_DEP_2)
	v_pk_fma_f32 v[10:11], v[32:33], v[20:21], v[10:11] op_sel:[1,0,0]
	v_mov_b32_e32 v21, v24
	v_pk_fma_f32 v[10:11], v[34:35], v[18:19], v[10:11] op_sel_hi:[0,1,1]
	s_wait_loadcnt 0x1
	v_mov_b32_e32 v18, v40
	s_delay_alu instid0(VALU_DEP_2) | instskip(SKIP_1) | instid1(VALU_DEP_2)
	v_pk_fma_f32 v[10:11], v[28:29], v[20:21], v[10:11] op_sel_hi:[0,1,1]
	v_mov_b32_e32 v21, v40
	v_pk_fma_f32 v[10:11], v[36:37], v[18:19], v[10:11] op_sel_hi:[0,1,1]
	s_wait_loadcnt 0x0
	v_mov_b32_e32 v18, v44
	s_delay_alu instid0(VALU_DEP_2) | instskip(SKIP_1) | instid1(VALU_DEP_2)
	v_pk_fma_f32 v[10:11], v[36:37], v[20:21], v[10:11] op_sel:[1,0,0]
	v_mov_b32_e32 v21, v44
	v_pk_fma_f32 v[10:11], v[38:39], v[18:19], v[10:11] op_sel_hi:[0,1,1]
	v_mov_b32_e32 v18, v29
	s_delay_alu instid0(VALU_DEP_2) | instskip(SKIP_1) | instid1(VALU_DEP_3)
	v_pk_fma_f32 v[10:11], v[48:49], v[20:21], v[10:11] op_sel_hi:[0,1,1]
	v_mov_b32_e32 v21, v29
	v_pk_fma_f32 v[12:13], v[32:33], v[18:19], v[12:13] op_sel_hi:[0,1,1]
	v_mov_b32_e32 v18, v25
	s_delay_alu instid0(VALU_DEP_2) | instskip(SKIP_1) | instid1(VALU_DEP_2)
	v_pk_fma_f32 v[12:13], v[32:33], v[20:21], v[12:13] op_sel:[1,0,0]
	v_mov_b32_e32 v21, v25
	v_pk_fma_f32 v[12:13], v[34:35], v[18:19], v[12:13] op_sel_hi:[0,1,1]
	v_mov_b32_e32 v18, v41
	s_delay_alu instid0(VALU_DEP_2) | instskip(SKIP_1) | instid1(VALU_DEP_2)
	v_pk_fma_f32 v[12:13], v[28:29], v[20:21], v[12:13] op_sel_hi:[0,1,1]
	v_mov_b32_e32 v21, v41
	v_pk_fma_f32 v[12:13], v[36:37], v[18:19], v[12:13] op_sel_hi:[0,1,1]
	v_mov_b32_e32 v18, v45
	s_delay_alu instid0(VALU_DEP_2) | instskip(SKIP_1) | instid1(VALU_DEP_2)
	v_pk_fma_f32 v[12:13], v[36:37], v[20:21], v[12:13] op_sel:[1,0,0]
	v_mov_b32_e32 v21, v45
	v_pk_fma_f32 v[12:13], v[38:39], v[18:19], v[12:13] op_sel_hi:[0,1,1]
	v_mov_b32_e32 v18, v30
	s_delay_alu instid0(VALU_DEP_2) | instskip(SKIP_1) | instid1(VALU_DEP_3)
	v_pk_fma_f32 v[12:13], v[48:49], v[20:21], v[12:13] op_sel_hi:[0,1,1]
	v_mov_b32_e32 v21, v30
	v_pk_fma_f32 v[14:15], v[32:33], v[18:19], v[14:15] op_sel_hi:[0,1,1]
	v_mov_b32_e32 v18, v26
	s_delay_alu instid0(VALU_DEP_2) | instskip(SKIP_1) | instid1(VALU_DEP_2)
	v_pk_fma_f32 v[14:15], v[32:33], v[20:21], v[14:15] op_sel:[1,0,0]
	v_mov_b32_e32 v21, v26
	v_pk_fma_f32 v[14:15], v[34:35], v[18:19], v[14:15] op_sel_hi:[0,1,1]
	v_mov_b32_e32 v18, v42
	s_delay_alu instid0(VALU_DEP_2) | instskip(SKIP_1) | instid1(VALU_DEP_2)
	v_pk_fma_f32 v[14:15], v[28:29], v[20:21], v[14:15] op_sel_hi:[0,1,1]
	v_mov_b32_e32 v21, v42
	v_pk_fma_f32 v[14:15], v[36:37], v[18:19], v[14:15] op_sel_hi:[0,1,1]
	;; [unrolled: 20-line block ×3, first 2 shown]
	v_mov_b32_e32 v18, v47
	s_delay_alu instid0(VALU_DEP_2) | instskip(SKIP_1) | instid1(VALU_DEP_2)
	v_pk_fma_f32 v[16:17], v[36:37], v[20:21], v[16:17] op_sel:[1,0,0]
	v_mov_b32_e32 v21, v47
	v_pk_fma_f32 v[16:17], v[38:39], v[18:19], v[16:17] op_sel_hi:[0,1,1]
	s_delay_alu instid0(VALU_DEP_1)
	v_pk_fma_f32 v[16:17], v[48:49], v[20:21], v[16:17] op_sel_hi:[0,1,1]
	s_and_not1_b32 exec_lo, exec_lo, s7
	s_cbranch_execnz .LBB120_25
; %bb.26:
	s_or_b32 exec_lo, exec_lo, s7
.LBB120_27:
	s_delay_alu instid0(SALU_CYCLE_1) | instskip(NEXT) | instid1(SALU_CYCLE_1)
	s_or_b32 exec_lo, exec_lo, s3
	s_mov_b32 s3, exec_lo
	v_cmpx_lt_u32_e32 11, v22
	s_cbranch_execz .LBB120_31
; %bb.28:
	v_mov_b32_e32 v19, 0
	v_bfrev_b32_e32 v20, 1
	s_mov_b32 s7, 0
.LBB120_29:                             ; =>This Inner Loop Header: Depth=1
	global_load_b32 v18, v0, s[8:9] scale_offset
	s_clause 0x6
	global_load_b128 v[22:25], v[8:9], off
	global_load_b128 v[26:29], v[8:9], off offset:16
	global_load_b128 v[30:33], v[8:9], off offset:48
	;; [unrolled: 1-line block ×6, first 2 shown]
	s_clause 0x2
	global_load_b32 v61, v0, s[8:9] offset:16 scale_offset
	global_load_b32 v68, v0, s[8:9] offset:32 scale_offset
	;; [unrolled: 1-line block ×3, first 2 shown]
	s_wait_xcnt 0x0
	v_add_nc_u32_e32 v0, 16, v0
	s_delay_alu instid0(VALU_DEP_1)
	v_cmp_ge_i32_e32 vcc_lo, v0, v1
	s_or_b32 s7, vcc_lo, s7
	s_wait_loadcnt 0xa
	v_subrev_nc_u32_e32 v50, s12, v18
	s_wait_loadcnt 0x9
	v_dual_mov_b32 v18, v22 :: v_dual_mov_b32 v21, v22
	s_delay_alu instid0(VALU_DEP_2) | instskip(NEXT) | instid1(VALU_DEP_1)
	v_lshlrev_b32_e32 v50, 2, v50
	v_ashrrev_i32_e32 v51, 31, v50
	s_wait_kmcnt 0x0
	s_delay_alu instid0(VALU_DEP_1)
	v_lshl_add_u64 v[58:59], v[50:51], 3, s[4:5]
	s_clause 0x1
	global_load_b128 v[50:53], v[58:59], off
	global_load_b128 v[54:57], v[58:59], off offset:16
	s_wait_loadcnt 0x1
	v_pk_fma_f32 v[10:11], v[50:51], v[18:19], v[10:11] op_sel_hi:[0,1,1]
	s_wait_xcnt 0x0
	v_dual_mov_b32 v18, v26 :: v_dual_mov_b32 v58, v53
	s_wait_loadcnt 0x0
	v_mov_b32_e32 v60, v57
	v_pk_fma_f32 v[10:11], v[50:51], v[20:21], v[10:11] op_sel:[1,0,0]
	v_mov_b32_e32 v21, v26
	s_delay_alu instid0(VALU_DEP_2) | instskip(SKIP_1) | instid1(VALU_DEP_2)
	v_pk_fma_f32 v[10:11], v[52:53], v[18:19], v[10:11] op_sel_hi:[0,1,1]
	v_mov_b32_e32 v18, v34
	v_pk_fma_f32 v[10:11], v[58:59], v[20:21], v[10:11] op_sel_hi:[0,1,1]
	v_mov_b32_e32 v21, v34
	s_delay_alu instid0(VALU_DEP_2) | instskip(SKIP_1) | instid1(VALU_DEP_2)
	v_pk_fma_f32 v[10:11], v[54:55], v[18:19], v[10:11] op_sel_hi:[0,1,1]
	v_mov_b32_e32 v18, v30
	v_pk_fma_f32 v[10:11], v[54:55], v[20:21], v[10:11] op_sel:[1,0,0]
	v_mov_b32_e32 v21, v30
	s_delay_alu instid0(VALU_DEP_2) | instskip(SKIP_1) | instid1(VALU_DEP_2)
	v_pk_fma_f32 v[10:11], v[56:57], v[18:19], v[10:11] op_sel_hi:[0,1,1]
	v_mov_b32_e32 v18, v23
	v_pk_fma_f32 v[62:63], v[60:61], v[20:21], v[10:11] op_sel_hi:[0,1,1]
	v_mov_b32_e32 v21, v23
	s_delay_alu instid0(VALU_DEP_3) | instskip(SKIP_1) | instid1(VALU_DEP_2)
	v_pk_fma_f32 v[10:11], v[50:51], v[18:19], v[12:13] op_sel_hi:[0,1,1]
	v_mov_b32_e32 v18, v27
	v_pk_fma_f32 v[10:11], v[50:51], v[20:21], v[10:11] op_sel:[1,0,0]
	v_mov_b32_e32 v21, v27
	s_delay_alu instid0(VALU_DEP_2) | instskip(SKIP_1) | instid1(VALU_DEP_2)
	v_pk_fma_f32 v[10:11], v[52:53], v[18:19], v[10:11] op_sel_hi:[0,1,1]
	v_mov_b32_e32 v18, v35
	v_pk_fma_f32 v[10:11], v[58:59], v[20:21], v[10:11] op_sel_hi:[0,1,1]
	v_mov_b32_e32 v21, v35
	s_delay_alu instid0(VALU_DEP_2) | instskip(SKIP_1) | instid1(VALU_DEP_2)
	v_pk_fma_f32 v[10:11], v[54:55], v[18:19], v[10:11] op_sel_hi:[0,1,1]
	v_mov_b32_e32 v18, v31
	v_pk_fma_f32 v[10:11], v[54:55], v[20:21], v[10:11] op_sel:[1,0,0]
	v_mov_b32_e32 v21, v31
	s_delay_alu instid0(VALU_DEP_2) | instskip(SKIP_1) | instid1(VALU_DEP_2)
	v_pk_fma_f32 v[10:11], v[56:57], v[18:19], v[10:11] op_sel_hi:[0,1,1]
	v_mov_b32_e32 v18, v24
	v_pk_fma_f32 v[64:65], v[60:61], v[20:21], v[10:11] op_sel_hi:[0,1,1]
	v_mov_b32_e32 v21, v24
	s_delay_alu instid0(VALU_DEP_3) | instskip(SKIP_1) | instid1(VALU_DEP_2)
	v_pk_fma_f32 v[10:11], v[50:51], v[18:19], v[14:15] op_sel_hi:[0,1,1]
	v_mov_b32_e32 v18, v28
	v_pk_fma_f32 v[10:11], v[50:51], v[20:21], v[10:11] op_sel:[1,0,0]
	v_mov_b32_e32 v21, v28
	s_delay_alu instid0(VALU_DEP_2) | instskip(SKIP_1) | instid1(VALU_DEP_2)
	v_pk_fma_f32 v[10:11], v[52:53], v[18:19], v[10:11] op_sel_hi:[0,1,1]
	v_mov_b32_e32 v18, v36
	v_pk_fma_f32 v[10:11], v[58:59], v[20:21], v[10:11] op_sel_hi:[0,1,1]
	v_mov_b32_e32 v21, v36
	s_delay_alu instid0(VALU_DEP_2) | instskip(SKIP_1) | instid1(VALU_DEP_2)
	v_pk_fma_f32 v[10:11], v[54:55], v[18:19], v[10:11] op_sel_hi:[0,1,1]
	v_mov_b32_e32 v18, v32
	v_pk_fma_f32 v[10:11], v[54:55], v[20:21], v[10:11] op_sel:[1,0,0]
	v_mov_b32_e32 v21, v32
	v_subrev_nc_u32_e32 v32, s12, v61
	s_delay_alu instid0(VALU_DEP_3) | instskip(NEXT) | instid1(VALU_DEP_2)
	v_pk_fma_f32 v[10:11], v[56:57], v[18:19], v[10:11] op_sel_hi:[0,1,1]
	v_dual_mov_b32 v18, v25 :: v_dual_lshlrev_b32 v34, 2, v32
	s_delay_alu instid0(VALU_DEP_2) | instskip(SKIP_1) | instid1(VALU_DEP_3)
	v_pk_fma_f32 v[66:67], v[60:61], v[20:21], v[10:11] op_sel_hi:[0,1,1]
	v_mov_b32_e32 v21, v25
	v_pk_fma_f32 v[14:15], v[50:51], v[18:19], v[16:17] op_sel_hi:[0,1,1]
	v_mov_b32_e32 v18, v29
	global_load_b128 v[10:13], v[8:9], off offset:256
	v_pk_fma_f32 v[22:23], v[50:51], v[20:21], v[14:15] op_sel:[1,0,0]
	v_mov_b32_e32 v21, v29
	global_load_b128 v[14:17], v[8:9], off offset:560
	v_pk_fma_f32 v[26:27], v[52:53], v[18:19], v[22:23] op_sel_hi:[0,1,1]
	v_mov_b32_e32 v18, v37
	global_load_b128 v[22:25], v[8:9], off offset:544
	v_pk_fma_f32 v[30:31], v[58:59], v[20:21], v[26:27] op_sel_hi:[0,1,1]
	;; [unrolled: 3-line block ×3, first 2 shown]
	v_dual_mov_b32 v18, v33 :: v_dual_ashrrev_i32 v35, 31, v34
	s_delay_alu instid0(VALU_DEP_2) | instskip(SKIP_1) | instid1(VALU_DEP_3)
	v_pk_fma_f32 v[36:37], v[54:55], v[20:21], v[30:31] op_sel:[1,0,0]
	v_mov_b32_e32 v21, v33
	v_lshl_add_u64 v[34:35], v[34:35], 3, s[4:5]
	s_delay_alu instid0(VALU_DEP_3)
	v_pk_fma_f32 v[50:51], v[56:57], v[18:19], v[36:37] op_sel_hi:[0,1,1]
	s_clause 0x1
	global_load_b128 v[30:33], v[34:35], off
	global_load_b128 v[34:37], v[34:35], off offset:16
	v_pk_fma_f32 v[50:51], v[60:61], v[20:21], v[50:51] op_sel_hi:[0,1,1]
	s_wait_loadcnt 0x5
	v_dual_mov_b32 v18, v10 :: v_dual_mov_b32 v21, v10
	s_wait_loadcnt 0x1
	s_delay_alu instid0(VALU_DEP_1) | instskip(SKIP_3) | instid1(VALU_DEP_3)
	v_pk_fma_f32 v[56:57], v[30:31], v[18:19], v[62:63] op_sel_hi:[0,1,1]
	v_dual_mov_b32 v18, v46 :: v_dual_mov_b32 v52, v33
	s_wait_loadcnt 0x0
	v_mov_b32_e32 v54, v37
	v_pk_fma_f32 v[56:57], v[30:31], v[20:21], v[56:57] op_sel:[1,0,0]
	v_mov_b32_e32 v21, v46
	s_delay_alu instid0(VALU_DEP_2) | instskip(SKIP_1) | instid1(VALU_DEP_2)
	v_pk_fma_f32 v[56:57], v[32:33], v[18:19], v[56:57] op_sel_hi:[0,1,1]
	v_mov_b32_e32 v18, v42
	v_pk_fma_f32 v[56:57], v[52:53], v[20:21], v[56:57] op_sel_hi:[0,1,1]
	v_mov_b32_e32 v21, v42
	s_delay_alu instid0(VALU_DEP_2) | instskip(SKIP_1) | instid1(VALU_DEP_2)
	v_pk_fma_f32 v[56:57], v[34:35], v[18:19], v[56:57] op_sel_hi:[0,1,1]
	v_mov_b32_e32 v18, v38
	v_pk_fma_f32 v[56:57], v[34:35], v[20:21], v[56:57] op_sel:[1,0,0]
	v_mov_b32_e32 v21, v38
	s_delay_alu instid0(VALU_DEP_2) | instskip(SKIP_1) | instid1(VALU_DEP_2)
	v_pk_fma_f32 v[56:57], v[36:37], v[18:19], v[56:57] op_sel_hi:[0,1,1]
	v_mov_b32_e32 v18, v11
	v_pk_fma_f32 v[56:57], v[54:55], v[20:21], v[56:57] op_sel_hi:[0,1,1]
	v_mov_b32_e32 v21, v11
	s_delay_alu instid0(VALU_DEP_3) | instskip(SKIP_1) | instid1(VALU_DEP_2)
	v_pk_fma_f32 v[58:59], v[30:31], v[18:19], v[64:65] op_sel_hi:[0,1,1]
	v_mov_b32_e32 v18, v47
	v_pk_fma_f32 v[10:11], v[30:31], v[20:21], v[58:59] op_sel:[1,0,0]
	v_mov_b32_e32 v21, v47
	s_delay_alu instid0(VALU_DEP_2) | instskip(SKIP_1) | instid1(VALU_DEP_2)
	v_pk_fma_f32 v[10:11], v[32:33], v[18:19], v[10:11] op_sel_hi:[0,1,1]
	v_mov_b32_e32 v18, v43
	v_pk_fma_f32 v[10:11], v[52:53], v[20:21], v[10:11] op_sel_hi:[0,1,1]
	v_mov_b32_e32 v21, v43
	s_delay_alu instid0(VALU_DEP_2) | instskip(SKIP_1) | instid1(VALU_DEP_2)
	v_pk_fma_f32 v[10:11], v[34:35], v[18:19], v[10:11] op_sel_hi:[0,1,1]
	v_mov_b32_e32 v18, v39
	v_pk_fma_f32 v[10:11], v[34:35], v[20:21], v[10:11] op_sel:[1,0,0]
	v_mov_b32_e32 v21, v39
	s_delay_alu instid0(VALU_DEP_2) | instskip(SKIP_1) | instid1(VALU_DEP_2)
	v_pk_fma_f32 v[10:11], v[36:37], v[18:19], v[10:11] op_sel_hi:[0,1,1]
	v_mov_b32_e32 v18, v12
	v_pk_fma_f32 v[58:59], v[54:55], v[20:21], v[10:11] op_sel_hi:[0,1,1]
	v_mov_b32_e32 v21, v12
	s_delay_alu instid0(VALU_DEP_3) | instskip(SKIP_1) | instid1(VALU_DEP_2)
	v_pk_fma_f32 v[10:11], v[30:31], v[18:19], v[66:67] op_sel_hi:[0,1,1]
	v_mov_b32_e32 v18, v48
	v_pk_fma_f32 v[10:11], v[30:31], v[20:21], v[10:11] op_sel:[1,0,0]
	v_mov_b32_e32 v21, v48
	s_delay_alu instid0(VALU_DEP_2) | instskip(SKIP_1) | instid1(VALU_DEP_2)
	v_pk_fma_f32 v[10:11], v[32:33], v[18:19], v[10:11] op_sel_hi:[0,1,1]
	v_mov_b32_e32 v18, v44
	v_pk_fma_f32 v[10:11], v[52:53], v[20:21], v[10:11] op_sel_hi:[0,1,1]
	v_mov_b32_e32 v21, v44
	s_delay_alu instid0(VALU_DEP_2) | instskip(SKIP_1) | instid1(VALU_DEP_2)
	v_pk_fma_f32 v[10:11], v[34:35], v[18:19], v[10:11] op_sel_hi:[0,1,1]
	v_mov_b32_e32 v18, v40
	v_pk_fma_f32 v[10:11], v[34:35], v[20:21], v[10:11] op_sel:[1,0,0]
	v_mov_b32_e32 v21, v40
	v_subrev_nc_u32_e32 v40, s12, v69
	s_delay_alu instid0(VALU_DEP_3) | instskip(SKIP_2) | instid1(VALU_DEP_3)
	v_pk_fma_f32 v[10:11], v[36:37], v[18:19], v[10:11] op_sel_hi:[0,1,1]
	v_mov_b32_e32 v18, v13
	v_subrev_nc_u32_e32 v37, s12, v68
	v_pk_fma_f32 v[60:61], v[54:55], v[20:21], v[10:11] op_sel_hi:[0,1,1]
	v_mov_b32_e32 v21, v13
	s_delay_alu instid0(VALU_DEP_4) | instskip(NEXT) | instid1(VALU_DEP_4)
	v_pk_fma_f32 v[38:39], v[30:31], v[18:19], v[50:51] op_sel_hi:[0,1,1]
	v_dual_mov_b32 v18, v49 :: v_dual_lshlrev_b32 v50, 2, v37
	global_load_b128 v[10:13], v[8:9], off offset:512
	v_pk_fma_f32 v[30:31], v[30:31], v[20:21], v[38:39] op_sel:[1,0,0]
	v_mov_b32_e32 v21, v49
	global_load_b128 v[46:49], v[8:9], off offset:784
	v_pk_fma_f32 v[38:39], v[32:33], v[18:19], v[30:31] op_sel_hi:[0,1,1]
	v_mov_b32_e32 v18, v45
	global_load_b128 v[30:33], v[8:9], off offset:768
	v_pk_fma_f32 v[38:39], v[52:53], v[20:21], v[38:39] op_sel_hi:[0,1,1]
	v_dual_lshlrev_b32 v52, 2, v40 :: v_dual_ashrrev_i32 v51, 31, v50
	v_mov_b32_e32 v21, v45
	global_load_b128 v[42:45], v[8:9], off offset:800
	v_pk_fma_f32 v[38:39], v[34:35], v[18:19], v[38:39] op_sel_hi:[0,1,1]
	v_ashrrev_i32_e32 v53, 31, v52
	v_lshl_add_u64 v[50:51], v[50:51], 3, s[4:5]
	v_mov_b32_e32 v18, v41
	s_delay_alu instid0(VALU_DEP_4)
	v_pk_fma_f32 v[34:35], v[34:35], v[20:21], v[38:39] op_sel:[1,0,0]
	v_mov_b32_e32 v21, v41
	global_load_b128 v[38:41], v[50:51], off
	v_lshl_add_u64 v[62:63], v[52:53], 3, s[4:5]
	v_pk_fma_f32 v[52:53], v[36:37], v[18:19], v[34:35] op_sel_hi:[0,1,1]
	global_load_b128 v[34:37], v[50:51], off offset:16
	v_pk_fma_f32 v[54:55], v[54:55], v[20:21], v[52:53] op_sel_hi:[0,1,1]
	s_wait_loadcnt 0x5
	v_dual_mov_b32 v18, v10 :: v_dual_mov_b32 v21, v10
	s_wait_loadcnt 0x1
	s_wait_xcnt 0x0
	s_delay_alu instid0(VALU_DEP_1) | instskip(SKIP_3) | instid1(VALU_DEP_3)
	v_pk_fma_f32 v[50:51], v[38:39], v[18:19], v[56:57] op_sel_hi:[0,1,1]
	v_dual_mov_b32 v18, v26 :: v_dual_mov_b32 v64, v41
	s_wait_loadcnt 0x0
	v_mov_b32_e32 v66, v37
	v_pk_fma_f32 v[50:51], v[38:39], v[20:21], v[50:51] op_sel:[1,0,0]
	v_mov_b32_e32 v21, v26
	s_delay_alu instid0(VALU_DEP_2) | instskip(SKIP_1) | instid1(VALU_DEP_2)
	v_pk_fma_f32 v[50:51], v[40:41], v[18:19], v[50:51] op_sel_hi:[0,1,1]
	v_mov_b32_e32 v18, v22
	v_pk_fma_f32 v[50:51], v[64:65], v[20:21], v[50:51] op_sel_hi:[0,1,1]
	v_mov_b32_e32 v21, v22
	s_delay_alu instid0(VALU_DEP_2) | instskip(SKIP_1) | instid1(VALU_DEP_2)
	v_pk_fma_f32 v[50:51], v[34:35], v[18:19], v[50:51] op_sel_hi:[0,1,1]
	v_mov_b32_e32 v18, v14
	v_pk_fma_f32 v[50:51], v[34:35], v[20:21], v[50:51] op_sel:[1,0,0]
	v_mov_b32_e32 v21, v14
	s_delay_alu instid0(VALU_DEP_2) | instskip(SKIP_1) | instid1(VALU_DEP_2)
	v_pk_fma_f32 v[50:51], v[36:37], v[18:19], v[50:51] op_sel_hi:[0,1,1]
	v_mov_b32_e32 v18, v11
	v_pk_fma_f32 v[56:57], v[66:67], v[20:21], v[50:51] op_sel_hi:[0,1,1]
	v_mov_b32_e32 v21, v11
	s_delay_alu instid0(VALU_DEP_3) | instskip(SKIP_1) | instid1(VALU_DEP_2)
	v_pk_fma_f32 v[50:51], v[38:39], v[18:19], v[58:59] op_sel_hi:[0,1,1]
	v_mov_b32_e32 v18, v27
	v_pk_fma_f32 v[10:11], v[38:39], v[20:21], v[50:51] op_sel:[1,0,0]
	v_mov_b32_e32 v21, v27
	global_load_b128 v[50:53], v[62:63], off
	v_pk_fma_f32 v[10:11], v[40:41], v[18:19], v[10:11] op_sel_hi:[0,1,1]
	v_mov_b32_e32 v18, v23
	s_delay_alu instid0(VALU_DEP_2) | instskip(SKIP_1) | instid1(VALU_DEP_2)
	v_pk_fma_f32 v[10:11], v[64:65], v[20:21], v[10:11] op_sel_hi:[0,1,1]
	v_mov_b32_e32 v21, v23
	v_pk_fma_f32 v[10:11], v[34:35], v[18:19], v[10:11] op_sel_hi:[0,1,1]
	v_mov_b32_e32 v18, v15
	s_delay_alu instid0(VALU_DEP_2) | instskip(SKIP_1) | instid1(VALU_DEP_2)
	v_pk_fma_f32 v[10:11], v[34:35], v[20:21], v[10:11] op_sel:[1,0,0]
	v_mov_b32_e32 v21, v15
	v_pk_fma_f32 v[10:11], v[36:37], v[18:19], v[10:11] op_sel_hi:[0,1,1]
	v_mov_b32_e32 v18, v12
	s_delay_alu instid0(VALU_DEP_2) | instskip(SKIP_1) | instid1(VALU_DEP_3)
	v_pk_fma_f32 v[14:15], v[66:67], v[20:21], v[10:11] op_sel_hi:[0,1,1]
	v_mov_b32_e32 v21, v12
	v_pk_fma_f32 v[10:11], v[38:39], v[18:19], v[60:61] op_sel_hi:[0,1,1]
	v_mov_b32_e32 v18, v28
	s_delay_alu instid0(VALU_DEP_2) | instskip(SKIP_1) | instid1(VALU_DEP_2)
	v_pk_fma_f32 v[10:11], v[38:39], v[20:21], v[10:11] op_sel:[1,0,0]
	v_mov_b32_e32 v21, v28
	v_pk_fma_f32 v[10:11], v[40:41], v[18:19], v[10:11] op_sel_hi:[0,1,1]
	v_mov_b32_e32 v18, v24
	s_delay_alu instid0(VALU_DEP_2) | instskip(SKIP_1) | instid1(VALU_DEP_2)
	v_pk_fma_f32 v[10:11], v[64:65], v[20:21], v[10:11] op_sel_hi:[0,1,1]
	v_mov_b32_e32 v21, v24
	v_pk_fma_f32 v[10:11], v[34:35], v[18:19], v[10:11] op_sel_hi:[0,1,1]
	v_mov_b32_e32 v18, v16
	s_delay_alu instid0(VALU_DEP_2) | instskip(SKIP_1) | instid1(VALU_DEP_2)
	v_pk_fma_f32 v[10:11], v[34:35], v[20:21], v[10:11] op_sel:[1,0,0]
	v_mov_b32_e32 v21, v16
	v_pk_fma_f32 v[10:11], v[36:37], v[18:19], v[10:11] op_sel_hi:[0,1,1]
	v_mov_b32_e32 v18, v13
	s_delay_alu instid0(VALU_DEP_2) | instskip(SKIP_1) | instid1(VALU_DEP_3)
	v_pk_fma_f32 v[22:23], v[66:67], v[20:21], v[10:11] op_sel_hi:[0,1,1]
	v_mov_b32_e32 v21, v13
	v_pk_fma_f32 v[10:11], v[38:39], v[18:19], v[54:55] op_sel_hi:[0,1,1]
	v_mov_b32_e32 v18, v29
	s_delay_alu instid0(VALU_DEP_2)
	v_pk_fma_f32 v[10:11], v[38:39], v[20:21], v[10:11] op_sel:[1,0,0]
	v_mov_b32_e32 v21, v29
	global_load_b128 v[26:29], v[62:63], off offset:16
	v_pk_fma_f32 v[10:11], v[40:41], v[18:19], v[10:11] op_sel_hi:[0,1,1]
	global_load_b128 v[38:41], v[8:9], off offset:816
	v_mov_b32_e32 v18, v25
	s_wait_xcnt 0x0
	v_add_nc_u64_e32 v[8:9], 0x400, v[8:9]
	v_pk_fma_f32 v[10:11], v[64:65], v[20:21], v[10:11] op_sel_hi:[0,1,1]
	v_mov_b32_e32 v21, v25
	s_delay_alu instid0(VALU_DEP_2) | instskip(SKIP_1) | instid1(VALU_DEP_2)
	v_pk_fma_f32 v[10:11], v[34:35], v[18:19], v[10:11] op_sel_hi:[0,1,1]
	v_mov_b32_e32 v18, v17
	v_pk_fma_f32 v[10:11], v[34:35], v[20:21], v[10:11] op_sel:[1,0,0]
	v_mov_b32_e32 v21, v17
	s_delay_alu instid0(VALU_DEP_2) | instskip(SKIP_1) | instid1(VALU_DEP_2)
	v_pk_fma_f32 v[10:11], v[36:37], v[18:19], v[10:11] op_sel_hi:[0,1,1]
	v_mov_b32_e32 v18, v30
	v_pk_fma_f32 v[34:35], v[66:67], v[20:21], v[10:11] op_sel_hi:[0,1,1]
	v_mov_b32_e32 v21, v30
	s_wait_loadcnt 0x2
	s_delay_alu instid0(VALU_DEP_3) | instskip(SKIP_1) | instid1(VALU_DEP_2)
	v_pk_fma_f32 v[10:11], v[50:51], v[18:19], v[56:57] op_sel_hi:[0,1,1]
	v_dual_mov_b32 v18, v46 :: v_dual_mov_b32 v16, v53
	v_pk_fma_f32 v[10:11], v[50:51], v[20:21], v[10:11] op_sel:[1,0,0]
	v_mov_b32_e32 v21, v46
	s_delay_alu instid0(VALU_DEP_2) | instskip(SKIP_2) | instid1(VALU_DEP_2)
	v_pk_fma_f32 v[10:11], v[52:53], v[18:19], v[10:11] op_sel_hi:[0,1,1]
	s_wait_loadcnt 0x1
	v_dual_mov_b32 v18, v42 :: v_dual_mov_b32 v24, v29
	v_pk_fma_f32 v[10:11], v[16:17], v[20:21], v[10:11] op_sel_hi:[0,1,1]
	v_mov_b32_e32 v21, v42
	s_delay_alu instid0(VALU_DEP_2) | instskip(SKIP_2) | instid1(VALU_DEP_2)
	v_pk_fma_f32 v[10:11], v[26:27], v[18:19], v[10:11] op_sel_hi:[0,1,1]
	s_wait_loadcnt 0x0
	v_mov_b32_e32 v18, v38
	v_pk_fma_f32 v[10:11], v[26:27], v[20:21], v[10:11] op_sel:[1,0,0]
	v_mov_b32_e32 v21, v38
	s_delay_alu instid0(VALU_DEP_2) | instskip(SKIP_1) | instid1(VALU_DEP_2)
	v_pk_fma_f32 v[10:11], v[28:29], v[18:19], v[10:11] op_sel_hi:[0,1,1]
	v_mov_b32_e32 v18, v31
	v_pk_fma_f32 v[10:11], v[24:25], v[20:21], v[10:11] op_sel_hi:[0,1,1]
	v_mov_b32_e32 v21, v31
	s_delay_alu instid0(VALU_DEP_3) | instskip(SKIP_1) | instid1(VALU_DEP_2)
	v_pk_fma_f32 v[12:13], v[50:51], v[18:19], v[14:15] op_sel_hi:[0,1,1]
	v_mov_b32_e32 v18, v47
	v_pk_fma_f32 v[12:13], v[50:51], v[20:21], v[12:13] op_sel:[1,0,0]
	v_mov_b32_e32 v21, v47
	s_delay_alu instid0(VALU_DEP_2) | instskip(SKIP_1) | instid1(VALU_DEP_2)
	v_pk_fma_f32 v[12:13], v[52:53], v[18:19], v[12:13] op_sel_hi:[0,1,1]
	v_mov_b32_e32 v18, v43
	v_pk_fma_f32 v[12:13], v[16:17], v[20:21], v[12:13] op_sel_hi:[0,1,1]
	v_mov_b32_e32 v21, v43
	s_delay_alu instid0(VALU_DEP_2) | instskip(SKIP_1) | instid1(VALU_DEP_2)
	v_pk_fma_f32 v[12:13], v[26:27], v[18:19], v[12:13] op_sel_hi:[0,1,1]
	v_mov_b32_e32 v18, v39
	v_pk_fma_f32 v[12:13], v[26:27], v[20:21], v[12:13] op_sel:[1,0,0]
	v_mov_b32_e32 v21, v39
	s_delay_alu instid0(VALU_DEP_2) | instskip(SKIP_1) | instid1(VALU_DEP_2)
	v_pk_fma_f32 v[12:13], v[28:29], v[18:19], v[12:13] op_sel_hi:[0,1,1]
	v_mov_b32_e32 v18, v32
	v_pk_fma_f32 v[12:13], v[24:25], v[20:21], v[12:13] op_sel_hi:[0,1,1]
	v_mov_b32_e32 v21, v32
	s_delay_alu instid0(VALU_DEP_3) | instskip(SKIP_1) | instid1(VALU_DEP_2)
	v_pk_fma_f32 v[14:15], v[50:51], v[18:19], v[22:23] op_sel_hi:[0,1,1]
	v_mov_b32_e32 v18, v48
	v_pk_fma_f32 v[14:15], v[50:51], v[20:21], v[14:15] op_sel:[1,0,0]
	v_mov_b32_e32 v21, v48
	s_delay_alu instid0(VALU_DEP_2) | instskip(SKIP_1) | instid1(VALU_DEP_2)
	v_pk_fma_f32 v[14:15], v[52:53], v[18:19], v[14:15] op_sel_hi:[0,1,1]
	v_mov_b32_e32 v18, v44
	v_pk_fma_f32 v[14:15], v[16:17], v[20:21], v[14:15] op_sel_hi:[0,1,1]
	v_mov_b32_e32 v21, v44
	s_delay_alu instid0(VALU_DEP_2) | instskip(SKIP_1) | instid1(VALU_DEP_2)
	v_pk_fma_f32 v[14:15], v[26:27], v[18:19], v[14:15] op_sel_hi:[0,1,1]
	v_mov_b32_e32 v18, v40
	v_pk_fma_f32 v[14:15], v[26:27], v[20:21], v[14:15] op_sel:[1,0,0]
	v_mov_b32_e32 v21, v40
	s_delay_alu instid0(VALU_DEP_2) | instskip(SKIP_1) | instid1(VALU_DEP_2)
	v_pk_fma_f32 v[14:15], v[28:29], v[18:19], v[14:15] op_sel_hi:[0,1,1]
	v_mov_b32_e32 v18, v33
	v_pk_fma_f32 v[14:15], v[24:25], v[20:21], v[14:15] op_sel_hi:[0,1,1]
	v_mov_b32_e32 v21, v33
	s_delay_alu instid0(VALU_DEP_3) | instskip(SKIP_1) | instid1(VALU_DEP_2)
	v_pk_fma_f32 v[22:23], v[50:51], v[18:19], v[34:35] op_sel_hi:[0,1,1]
	v_mov_b32_e32 v18, v49
	v_pk_fma_f32 v[22:23], v[50:51], v[20:21], v[22:23] op_sel:[1,0,0]
	v_mov_b32_e32 v21, v49
	s_delay_alu instid0(VALU_DEP_2) | instskip(SKIP_1) | instid1(VALU_DEP_2)
	v_pk_fma_f32 v[22:23], v[52:53], v[18:19], v[22:23] op_sel_hi:[0,1,1]
	v_mov_b32_e32 v18, v45
	v_pk_fma_f32 v[16:17], v[16:17], v[20:21], v[22:23] op_sel_hi:[0,1,1]
	v_mov_b32_e32 v21, v45
	s_delay_alu instid0(VALU_DEP_2) | instskip(SKIP_1) | instid1(VALU_DEP_2)
	v_pk_fma_f32 v[16:17], v[26:27], v[18:19], v[16:17] op_sel_hi:[0,1,1]
	v_mov_b32_e32 v18, v41
	v_pk_fma_f32 v[16:17], v[26:27], v[20:21], v[16:17] op_sel:[1,0,0]
	v_mov_b32_e32 v21, v41
	s_delay_alu instid0(VALU_DEP_2) | instskip(NEXT) | instid1(VALU_DEP_1)
	v_pk_fma_f32 v[16:17], v[28:29], v[18:19], v[16:17] op_sel_hi:[0,1,1]
	v_pk_fma_f32 v[16:17], v[24:25], v[20:21], v[16:17] op_sel_hi:[0,1,1]
	s_and_not1_b32 exec_lo, exec_lo, s7
	s_cbranch_execnz .LBB120_29
; %bb.30:
	s_or_b32 exec_lo, exec_lo, s7
.LBB120_31:
	s_delay_alu instid0(SALU_CYCLE_1)
	s_or_b32 exec_lo, exec_lo, s3
.LBB120_32:
	s_delay_alu instid0(SALU_CYCLE_1)
	s_or_b32 exec_lo, exec_lo, s6
.LBB120_33:
	v_mbcnt_lo_u32_b32 v0, -1, 0
	s_delay_alu instid0(VALU_DEP_1) | instskip(NEXT) | instid1(VALU_DEP_1)
	v_xor_b32_e32 v1, 2, v0
	v_cmp_gt_i32_e32 vcc_lo, 32, v1
	v_cndmask_b32_e32 v1, v0, v1, vcc_lo
	s_delay_alu instid0(VALU_DEP_1)
	v_lshlrev_b32_e32 v1, 2, v1
	ds_bpermute_b32 v8, v1, v10
	ds_bpermute_b32 v9, v1, v11
	ds_bpermute_b32 v18, v1, v12
	ds_bpermute_b32 v19, v1, v13
	ds_bpermute_b32 v20, v1, v14
	ds_bpermute_b32 v21, v1, v15
	ds_bpermute_b32 v22, v1, v16
	ds_bpermute_b32 v23, v1, v17
	v_xor_b32_e32 v1, 1, v0
	s_delay_alu instid0(VALU_DEP_1) | instskip(SKIP_3) | instid1(VALU_DEP_2)
	v_cmp_gt_i32_e32 vcc_lo, 32, v1
	v_cndmask_b32_e32 v0, v0, v1, vcc_lo
	v_cmp_eq_u32_e32 vcc_lo, 3, v7
	s_wait_dscnt 0x6
	v_dual_add_f32 v1, v11, v9 :: v_dual_lshlrev_b32 v24, 2, v0
	s_wait_dscnt 0x5
	v_dual_add_f32 v0, v10, v8 :: v_dual_add_f32 v8, v12, v18
	s_wait_dscnt 0x3
	v_dual_add_f32 v9, v13, v19 :: v_dual_add_f32 v10, v14, v20
	;; [unrolled: 2-line block ×3, first 2 shown]
	v_add_f32_e32 v12, v16, v22
	ds_bpermute_b32 v14, v24, v0
	ds_bpermute_b32 v15, v24, v1
	;; [unrolled: 1-line block ×8, first 2 shown]
	s_and_b32 exec_lo, exec_lo, vcc_lo
	s_cbranch_execz .LBB120_6
; %bb.34:
	s_load_b64 s[0:1], s[0:1], 0x50
	v_cmp_eq_f32_e32 vcc_lo, 0, v4
	s_wait_dscnt 0x6
	v_dual_add_f32 v0, v0, v14 :: v_dual_add_f32 v22, v1, v15
	s_wait_dscnt 0x4
	v_dual_add_f32 v8, v8, v16 :: v_dual_add_f32 v20, v9, v17
	;; [unrolled: 2-line block ×4, first 2 shown]
	v_xor_b32_e32 v18, 0x80000000, v3
	v_lshlrev_b32_e32 v6, 2, v6
	s_xor_b32 s2, s2, -1
	s_delay_alu instid0(SALU_CYCLE_1) | instskip(NEXT) | instid1(SALU_CYCLE_1)
	s_and_b32 s2, vcc_lo, s2
	s_and_saveexec_b32 s3, s2
	s_delay_alu instid0(SALU_CYCLE_1)
	s_xor_b32 s2, exec_lo, s3
	s_cbranch_execz .LBB120_36
; %bb.35:
	v_dual_mov_b32 v19, v2 :: v_dual_ashrrev_i32 v7, 31, v6
	s_delay_alu instid0(VALU_DEP_1)
	v_pk_mul_f32 v[4:5], v[22:23], v[18:19] op_sel_hi:[0,1]
	v_pk_mul_f32 v[20:21], v[20:21], v[18:19] op_sel_hi:[0,1]
	;; [unrolled: 1-line block ×4, first 2 shown]
	s_wait_kmcnt 0x0
	v_lshl_add_u64 v[18:19], v[6:7], 3, s[0:1]
	v_pk_fma_f32 v[4:5], v[2:3], v[0:1], v[4:5] op_sel_hi:[1,0,1]
	v_pk_fma_f32 v[6:7], v[2:3], v[8:9], v[20:21] op_sel_hi:[1,0,1]
	;; [unrolled: 1-line block ×4, first 2 shown]
                                        ; implicit-def: $vgpr22
                                        ; implicit-def: $vgpr8
                                        ; implicit-def: $vgpr20
                                        ; implicit-def: $vgpr10
                                        ; implicit-def: $vgpr16
                                        ; implicit-def: $vgpr12
                                        ; implicit-def: $vgpr14
	s_clause 0x1
	global_store_b128 v[18:19], v[4:7], off
	global_store_b128 v[18:19], v[0:3], off offset:16
                                        ; implicit-def: $vgpr0
                                        ; implicit-def: $vgpr2_vgpr3
                                        ; implicit-def: $vgpr4_vgpr5
                                        ; implicit-def: $vgpr18
                                        ; implicit-def: $vgpr6
.LBB120_36:
	s_wait_xcnt 0x0
	s_and_not1_saveexec_b32 s2, s2
	s_cbranch_execz .LBB120_6
; %bb.37:
	v_dual_ashrrev_i32 v7, 31, v6 :: v_dual_mov_b32 v19, v2
	s_wait_kmcnt 0x0
	s_delay_alu instid0(VALU_DEP_1) | instskip(NEXT) | instid1(VALU_DEP_2)
	v_lshl_add_u64 v[32:33], v[6:7], 3, s[0:1]
	v_pk_mul_f32 v[6:7], v[22:23], v[18:19] op_sel_hi:[0,1]
	v_pk_mul_f32 v[20:21], v[20:21], v[18:19] op_sel_hi:[0,1]
	;; [unrolled: 1-line block ×4, first 2 shown]
	s_clause 0x1
	global_load_b128 v[24:27], v[32:33], off
	global_load_b128 v[28:31], v[32:33], off offset:16
	v_pk_fma_f32 v[0:1], v[2:3], v[0:1], v[6:7] op_sel_hi:[1,0,1]
	v_pk_fma_f32 v[6:7], v[2:3], v[8:9], v[20:21] op_sel_hi:[1,0,1]
	;; [unrolled: 1-line block ×4, first 2 shown]
	v_xor_b32_e32 v22, 0x80000000, v5
	s_wait_loadcnt 0x1
	v_dual_mov_b32 v23, v4 :: v_dual_mov_b32 v10, v27
	v_pk_fma_f32 v[0:1], v[4:5], v[24:25], v[0:1] op_sel_hi:[1,0,1]
	v_pk_fma_f32 v[6:7], v[4:5], v[26:27], v[6:7] op_sel_hi:[1,0,1]
	s_wait_loadcnt 0x0
	v_pk_fma_f32 v[8:9], v[4:5], v[28:29], v[8:9] op_sel_hi:[1,0,1]
	v_pk_fma_f32 v[12:13], v[4:5], v[30:31], v[2:3] op_sel_hi:[1,0,1]
	v_mov_b32_e32 v14, v31
	v_pk_fma_f32 v[0:1], v[22:23], v[24:25], v[0:1] op_sel:[0,1,0]
	v_pk_fma_f32 v[2:3], v[22:23], v[10:11], v[6:7] op_sel_hi:[1,0,1]
	v_pk_fma_f32 v[4:5], v[22:23], v[28:29], v[8:9] op_sel:[0,1,0]
	s_delay_alu instid0(VALU_DEP_4)
	v_pk_fma_f32 v[6:7], v[22:23], v[14:15], v[12:13] op_sel_hi:[1,0,1]
	s_clause 0x1
	global_store_b128 v[32:33], v[0:3], off
	global_store_b128 v[32:33], v[4:7], off offset:16
	s_sendmsg sendmsg(MSG_DEALLOC_VGPRS)
	s_endpgm
	.section	.rodata,"a",@progbits
	.p2align	6, 0x0
	.amdhsa_kernel _ZN9rocsparseL18bsrxmvn_4x4_kernelILj128ELj4E21rocsparse_complex_numIfEiifS2_S2_EEvT3_20rocsparse_direction_NS_24const_host_device_scalarIT1_EES3_PKS3_PKT2_SC_S9_PKT4_PKT5_S7_PT6_21rocsparse_index_base_b
		.amdhsa_group_segment_fixed_size 0
		.amdhsa_private_segment_fixed_size 0
		.amdhsa_kernarg_size 96
		.amdhsa_user_sgpr_count 2
		.amdhsa_user_sgpr_dispatch_ptr 0
		.amdhsa_user_sgpr_queue_ptr 0
		.amdhsa_user_sgpr_kernarg_segment_ptr 1
		.amdhsa_user_sgpr_dispatch_id 0
		.amdhsa_user_sgpr_kernarg_preload_length 0
		.amdhsa_user_sgpr_kernarg_preload_offset 0
		.amdhsa_user_sgpr_private_segment_size 0
		.amdhsa_wavefront_size32 1
		.amdhsa_uses_dynamic_stack 0
		.amdhsa_enable_private_segment 0
		.amdhsa_system_sgpr_workgroup_id_x 1
		.amdhsa_system_sgpr_workgroup_id_y 0
		.amdhsa_system_sgpr_workgroup_id_z 0
		.amdhsa_system_sgpr_workgroup_info 0
		.amdhsa_system_vgpr_workitem_id 0
		.amdhsa_next_free_vgpr 74
		.amdhsa_next_free_sgpr 16
		.amdhsa_named_barrier_count 0
		.amdhsa_reserve_vcc 1
		.amdhsa_float_round_mode_32 0
		.amdhsa_float_round_mode_16_64 0
		.amdhsa_float_denorm_mode_32 3
		.amdhsa_float_denorm_mode_16_64 3
		.amdhsa_fp16_overflow 0
		.amdhsa_memory_ordered 1
		.amdhsa_forward_progress 1
		.amdhsa_inst_pref_size 62
		.amdhsa_round_robin_scheduling 0
		.amdhsa_exception_fp_ieee_invalid_op 0
		.amdhsa_exception_fp_denorm_src 0
		.amdhsa_exception_fp_ieee_div_zero 0
		.amdhsa_exception_fp_ieee_overflow 0
		.amdhsa_exception_fp_ieee_underflow 0
		.amdhsa_exception_fp_ieee_inexact 0
		.amdhsa_exception_int_div_zero 0
	.end_amdhsa_kernel
	.section	.text._ZN9rocsparseL18bsrxmvn_4x4_kernelILj128ELj4E21rocsparse_complex_numIfEiifS2_S2_EEvT3_20rocsparse_direction_NS_24const_host_device_scalarIT1_EES3_PKS3_PKT2_SC_S9_PKT4_PKT5_S7_PT6_21rocsparse_index_base_b,"axG",@progbits,_ZN9rocsparseL18bsrxmvn_4x4_kernelILj128ELj4E21rocsparse_complex_numIfEiifS2_S2_EEvT3_20rocsparse_direction_NS_24const_host_device_scalarIT1_EES3_PKS3_PKT2_SC_S9_PKT4_PKT5_S7_PT6_21rocsparse_index_base_b,comdat
.Lfunc_end120:
	.size	_ZN9rocsparseL18bsrxmvn_4x4_kernelILj128ELj4E21rocsparse_complex_numIfEiifS2_S2_EEvT3_20rocsparse_direction_NS_24const_host_device_scalarIT1_EES3_PKS3_PKT2_SC_S9_PKT4_PKT5_S7_PT6_21rocsparse_index_base_b, .Lfunc_end120-_ZN9rocsparseL18bsrxmvn_4x4_kernelILj128ELj4E21rocsparse_complex_numIfEiifS2_S2_EEvT3_20rocsparse_direction_NS_24const_host_device_scalarIT1_EES3_PKS3_PKT2_SC_S9_PKT4_PKT5_S7_PT6_21rocsparse_index_base_b
                                        ; -- End function
	.set _ZN9rocsparseL18bsrxmvn_4x4_kernelILj128ELj4E21rocsparse_complex_numIfEiifS2_S2_EEvT3_20rocsparse_direction_NS_24const_host_device_scalarIT1_EES3_PKS3_PKT2_SC_S9_PKT4_PKT5_S7_PT6_21rocsparse_index_base_b.num_vgpr, 74
	.set _ZN9rocsparseL18bsrxmvn_4x4_kernelILj128ELj4E21rocsparse_complex_numIfEiifS2_S2_EEvT3_20rocsparse_direction_NS_24const_host_device_scalarIT1_EES3_PKS3_PKT2_SC_S9_PKT4_PKT5_S7_PT6_21rocsparse_index_base_b.num_agpr, 0
	.set _ZN9rocsparseL18bsrxmvn_4x4_kernelILj128ELj4E21rocsparse_complex_numIfEiifS2_S2_EEvT3_20rocsparse_direction_NS_24const_host_device_scalarIT1_EES3_PKS3_PKT2_SC_S9_PKT4_PKT5_S7_PT6_21rocsparse_index_base_b.numbered_sgpr, 16
	.set _ZN9rocsparseL18bsrxmvn_4x4_kernelILj128ELj4E21rocsparse_complex_numIfEiifS2_S2_EEvT3_20rocsparse_direction_NS_24const_host_device_scalarIT1_EES3_PKS3_PKT2_SC_S9_PKT4_PKT5_S7_PT6_21rocsparse_index_base_b.num_named_barrier, 0
	.set _ZN9rocsparseL18bsrxmvn_4x4_kernelILj128ELj4E21rocsparse_complex_numIfEiifS2_S2_EEvT3_20rocsparse_direction_NS_24const_host_device_scalarIT1_EES3_PKS3_PKT2_SC_S9_PKT4_PKT5_S7_PT6_21rocsparse_index_base_b.private_seg_size, 0
	.set _ZN9rocsparseL18bsrxmvn_4x4_kernelILj128ELj4E21rocsparse_complex_numIfEiifS2_S2_EEvT3_20rocsparse_direction_NS_24const_host_device_scalarIT1_EES3_PKS3_PKT2_SC_S9_PKT4_PKT5_S7_PT6_21rocsparse_index_base_b.uses_vcc, 1
	.set _ZN9rocsparseL18bsrxmvn_4x4_kernelILj128ELj4E21rocsparse_complex_numIfEiifS2_S2_EEvT3_20rocsparse_direction_NS_24const_host_device_scalarIT1_EES3_PKS3_PKT2_SC_S9_PKT4_PKT5_S7_PT6_21rocsparse_index_base_b.uses_flat_scratch, 1
	.set _ZN9rocsparseL18bsrxmvn_4x4_kernelILj128ELj4E21rocsparse_complex_numIfEiifS2_S2_EEvT3_20rocsparse_direction_NS_24const_host_device_scalarIT1_EES3_PKS3_PKT2_SC_S9_PKT4_PKT5_S7_PT6_21rocsparse_index_base_b.has_dyn_sized_stack, 0
	.set _ZN9rocsparseL18bsrxmvn_4x4_kernelILj128ELj4E21rocsparse_complex_numIfEiifS2_S2_EEvT3_20rocsparse_direction_NS_24const_host_device_scalarIT1_EES3_PKS3_PKT2_SC_S9_PKT4_PKT5_S7_PT6_21rocsparse_index_base_b.has_recursion, 0
	.set _ZN9rocsparseL18bsrxmvn_4x4_kernelILj128ELj4E21rocsparse_complex_numIfEiifS2_S2_EEvT3_20rocsparse_direction_NS_24const_host_device_scalarIT1_EES3_PKS3_PKT2_SC_S9_PKT4_PKT5_S7_PT6_21rocsparse_index_base_b.has_indirect_call, 0
	.section	.AMDGPU.csdata,"",@progbits
; Kernel info:
; codeLenInByte = 7892
; TotalNumSgprs: 18
; NumVgprs: 74
; ScratchSize: 0
; MemoryBound: 0
; FloatMode: 240
; IeeeMode: 1
; LDSByteSize: 0 bytes/workgroup (compile time only)
; SGPRBlocks: 0
; VGPRBlocks: 4
; NumSGPRsForWavesPerEU: 18
; NumVGPRsForWavesPerEU: 74
; NamedBarCnt: 0
; Occupancy: 12
; WaveLimiterHint : 1
; COMPUTE_PGM_RSRC2:SCRATCH_EN: 0
; COMPUTE_PGM_RSRC2:USER_SGPR: 2
; COMPUTE_PGM_RSRC2:TRAP_HANDLER: 0
; COMPUTE_PGM_RSRC2:TGID_X_EN: 1
; COMPUTE_PGM_RSRC2:TGID_Y_EN: 0
; COMPUTE_PGM_RSRC2:TGID_Z_EN: 0
; COMPUTE_PGM_RSRC2:TIDIG_COMP_CNT: 0
	.section	.text._ZN9rocsparseL18bsrxmvn_4x4_kernelILj128ELj8E21rocsparse_complex_numIfEiifS2_S2_EEvT3_20rocsparse_direction_NS_24const_host_device_scalarIT1_EES3_PKS3_PKT2_SC_S9_PKT4_PKT5_S7_PT6_21rocsparse_index_base_b,"axG",@progbits,_ZN9rocsparseL18bsrxmvn_4x4_kernelILj128ELj8E21rocsparse_complex_numIfEiifS2_S2_EEvT3_20rocsparse_direction_NS_24const_host_device_scalarIT1_EES3_PKS3_PKT2_SC_S9_PKT4_PKT5_S7_PT6_21rocsparse_index_base_b,comdat
	.globl	_ZN9rocsparseL18bsrxmvn_4x4_kernelILj128ELj8E21rocsparse_complex_numIfEiifS2_S2_EEvT3_20rocsparse_direction_NS_24const_host_device_scalarIT1_EES3_PKS3_PKT2_SC_S9_PKT4_PKT5_S7_PT6_21rocsparse_index_base_b ; -- Begin function _ZN9rocsparseL18bsrxmvn_4x4_kernelILj128ELj8E21rocsparse_complex_numIfEiifS2_S2_EEvT3_20rocsparse_direction_NS_24const_host_device_scalarIT1_EES3_PKS3_PKT2_SC_S9_PKT4_PKT5_S7_PT6_21rocsparse_index_base_b
	.p2align	8
	.type	_ZN9rocsparseL18bsrxmvn_4x4_kernelILj128ELj8E21rocsparse_complex_numIfEiifS2_S2_EEvT3_20rocsparse_direction_NS_24const_host_device_scalarIT1_EES3_PKS3_PKT2_SC_S9_PKT4_PKT5_S7_PT6_21rocsparse_index_base_b,@function
_ZN9rocsparseL18bsrxmvn_4x4_kernelILj128ELj8E21rocsparse_complex_numIfEiifS2_S2_EEvT3_20rocsparse_direction_NS_24const_host_device_scalarIT1_EES3_PKS3_PKT2_SC_S9_PKT4_PKT5_S7_PT6_21rocsparse_index_base_b: ; @_ZN9rocsparseL18bsrxmvn_4x4_kernelILj128ELj8E21rocsparse_complex_numIfEiifS2_S2_EEvT3_20rocsparse_direction_NS_24const_host_device_scalarIT1_EES3_PKS3_PKT2_SC_S9_PKT4_PKT5_S7_PT6_21rocsparse_index_base_b
; %bb.0:
	s_clause 0x2
	s_load_b64 s[12:13], s[0:1], 0x58
	s_load_b64 s[2:3], s[0:1], 0x8
	;; [unrolled: 1-line block ×3, first 2 shown]
	v_mov_b32_e32 v1, 0
	s_add_nc_u64 s[6:7], s[0:1], 8
	s_add_nc_u64 s[8:9], s[0:1], 0x48
	s_wait_kmcnt 0x0
	s_bitcmp1_b32 s13, 0
	s_cselect_b32 s3, s7, s3
	s_cselect_b32 s2, s6, s2
	;; [unrolled: 1-line block ×4, first 2 shown]
	s_clause 0x1
	flat_load_b64 v[2:3], v1, s[2:3]
	flat_load_b64 v[4:5], v1, s[4:5]
	s_wait_loadcnt_dscnt 0x101
	v_cmp_neq_f32_e32 vcc_lo, 0, v2
	v_cmp_neq_f32_e64 s3, 0, v3
	s_wait_loadcnt_dscnt 0x0
	v_cmp_neq_f32_e64 s4, 1.0, v4
	v_cmp_neq_f32_e64 s2, 0, v5
	s_or_b32 s5, vcc_lo, s3
	s_mov_b32 s3, 0
	s_or_b32 s4, s4, s2
	s_delay_alu instid0(SALU_CYCLE_1) | instskip(NEXT) | instid1(SALU_CYCLE_1)
	s_or_b32 s4, s5, s4
	s_and_saveexec_b32 s5, s4
	s_cbranch_execz .LBB121_6
; %bb.1:
	s_clause 0x1
	s_load_b64 s[4:5], s[0:1], 0x18
	s_load_b64 s[14:15], s[0:1], 0x0
	s_bfe_u32 s6, ttmp6, 0x4000c
	s_and_b32 s7, ttmp6, 15
	s_add_co_i32 s6, s6, 1
	s_getreg_b32 s8, hwreg(HW_REG_IB_STS2, 6, 4)
	s_mul_i32 s6, ttmp9, s6
	v_lshrrev_b32_e32 v1, 3, v0
	s_add_co_i32 s7, s7, s6
	s_cmp_eq_u32 s8, 0
	s_cselect_b32 s6, ttmp9, s7
	s_delay_alu instid0(VALU_DEP_1) | instid1(SALU_CYCLE_1)
	v_lshl_or_b32 v6, s6, 4, v1
	s_wait_kmcnt 0x0
	s_cmp_lg_u64 s[4:5], 0
	s_cbranch_scc0 .LBB121_7
; %bb.2:
	s_load_b32 s3, s[0:1], 0x10
	s_mov_b32 s6, 0
                                        ; implicit-def: $vgpr1
	s_wait_kmcnt 0x0
	v_cmp_gt_i32_e32 vcc_lo, s3, v6
	s_mov_b32 s3, 0
	s_and_saveexec_b32 s7, vcc_lo
	s_delay_alu instid0(SALU_CYCLE_1)
	s_xor_b32 s7, exec_lo, s7
	s_cbranch_execz .LBB121_4
; %bb.3:
	global_load_b32 v1, v6, s[4:5] scale_offset
	s_mov_b32 s3, exec_lo
	s_wait_loadcnt 0x0
	v_subrev_nc_u32_e32 v1, s12, v1
.LBB121_4:
	s_or_b32 exec_lo, exec_lo, s7
	s_delay_alu instid0(SALU_CYCLE_1)
	s_and_b32 vcc_lo, exec_lo, s6
	s_cbranch_vccz .LBB121_8
.LBB121_5:
	v_cmp_gt_i32_e32 vcc_lo, s14, v6
	s_and_not1_b32 s3, s3, exec_lo
	s_and_b32 s4, vcc_lo, exec_lo
	s_delay_alu instid0(SALU_CYCLE_1) | instskip(NEXT) | instid1(SALU_CYCLE_1)
	s_or_b32 s3, s3, s4
	s_and_b32 exec_lo, exec_lo, s3
	s_cbranch_execnz .LBB121_9
.LBB121_6:
	s_sendmsg sendmsg(MSG_DEALLOC_VGPRS)
	s_endpgm
.LBB121_7:
                                        ; implicit-def: $vgpr1
	s_cbranch_execnz .LBB121_5
.LBB121_8:
	s_delay_alu instid0(VALU_DEP_1)
	v_mov_b32_e32 v6, v1
	s_and_b32 exec_lo, exec_lo, s3
	s_cbranch_execz .LBB121_6
.LBB121_9:
	s_load_b256 s[4:11], s[0:1], 0x20
	s_wait_kmcnt 0x0
	s_cmp_eq_u64 s[6:7], 0
	global_load_b32 v24, v6, s[4:5] scale_offset
	s_cselect_b32 vcc_lo, -1, 0
	v_ashrrev_i32_e32 v7, 31, v6
	s_cmp_eq_u32 s15, 1
	s_delay_alu instid0(VALU_DEP_1) | instskip(SKIP_1) | instid1(VALU_DEP_2)
	v_lshlrev_b64_e32 v[8:9], 2, v[6:7]
	v_and_b32_e32 v7, 7, v0
	v_add_nc_u64_e32 v[10:11], s[4:5], v[8:9]
	v_add_nc_u64_e32 v[8:9], s[6:7], v[8:9]
	s_wait_xcnt 0x0
	s_load_b64 s[4:5], s[0:1], 0x40
	s_delay_alu instid0(VALU_DEP_2) | instskip(NEXT) | instid1(VALU_DEP_1)
	v_add_nc_u64_e32 v[10:11], 4, v[10:11]
	v_dual_cndmask_b32 v9, v9, v11 :: v_dual_cndmask_b32 v8, v8, v10
	global_load_b32 v10, v[8:9], off
	s_wait_loadcnt 0x1
	v_subrev_nc_u32_e32 v0, s12, v24
	s_delay_alu instid0(VALU_DEP_1) | instskip(NEXT) | instid1(VALU_DEP_1)
	v_add_nc_u32_e32 v0, v0, v7
	v_ashrrev_i32_e32 v1, 31, v0
	s_wait_xcnt 0x0
	s_delay_alu instid0(VALU_DEP_1) | instskip(NEXT) | instid1(VALU_DEP_1)
	v_lshlrev_b64_e32 v[8:9], 6, v[0:1]
	v_add_nc_u64_e32 v[8:9], s[10:11], v[8:9]
	s_wait_loadcnt 0x0
	v_subrev_nc_u32_e32 v1, s12, v10
	s_delay_alu instid0(VALU_DEP_1)
	v_cmp_lt_i32_e64 s3, v0, v1
	s_cbranch_scc1 .LBB121_21
; %bb.10:
	v_dual_mov_b32 v11, 0 :: v_dual_mov_b32 v10, 0
	v_dual_mov_b32 v13, 0 :: v_dual_mov_b32 v12, 0
	;; [unrolled: 1-line block ×4, first 2 shown]
	s_and_saveexec_b32 s6, s3
	s_cbranch_execz .LBB121_20
; %bb.11:
	v_add_nc_u32_e32 v10, v24, v7
	v_not_b32_e32 v11, v24
	v_mov_b64_e32 v[12:13], 0
	v_mov_b64_e32 v[14:15], 0
	;; [unrolled: 1-line block ×3, first 2 shown]
	v_subrev_nc_u32_e32 v10, s12, v10
	v_mov_b64_e32 v[18:19], v[8:9]
	s_mov_b32 s7, exec_lo
	v_mov_b32_e32 v25, v0
	s_delay_alu instid0(VALU_DEP_3) | instskip(NEXT) | instid1(VALU_DEP_1)
	v_add_max_i32_e64 v10, v10, 8, v1
	v_add3_u32 v10, s12, v10, v11
	s_delay_alu instid0(VALU_DEP_1) | instskip(SKIP_1) | instid1(VALU_DEP_2)
	v_sub_nc_u32_e32 v26, v10, v7
	v_mov_b64_e32 v[10:11], 0
	v_and_b32_e32 v20, 24, v26
	s_delay_alu instid0(VALU_DEP_1)
	v_cmpx_ne_u32_e32 24, v20
	s_cbranch_execz .LBB121_15
; %bb.12:
	v_dual_mov_b32 v21, 0 :: v_dual_lshrrev_b32 v10, 3, v26
	v_mov_b32_e32 v25, v0
	v_mov_b64_e32 v[18:19], v[8:9]
	v_bfrev_b32_e32 v22, 1
	s_delay_alu instid0(VALU_DEP_4) | instskip(SKIP_2) | instid1(VALU_DEP_3)
	v_dual_add_nc_u32 v10, 1, v10 :: v_dual_mov_b32 v14, v21
	v_dual_mov_b32 v16, v21 :: v_dual_mov_b32 v17, v21
	v_dual_mov_b32 v15, v21 :: v_dual_mov_b32 v12, v21
	v_dual_mov_b32 v13, v21 :: v_dual_bitop2_b32 v11, 3, v10 bitop3:0x40
	v_mov_b32_e32 v10, v21
	s_mov_b32 s10, 0
	s_delay_alu instid0(VALU_DEP_2)
	v_dual_sub_nc_u32 v27, 0, v11 :: v_dual_mov_b32 v11, v21
.LBB121_13:                             ; =>This Inner Loop Header: Depth=1
	global_load_b32 v20, v25, s[8:9] scale_offset
	s_clause 0x1
	global_load_b128 v[28:31], v[18:19], off offset:16
	global_load_b128 v[32:35], v[18:19], off
	s_wait_xcnt 0x2
	v_add_nc_u32_e32 v25, 8, v25
	v_add_co_u32 v27, s11, v27, 1
	s_or_b32 s10, s11, s10
	s_wait_loadcnt 0x2
	v_subrev_nc_u32_e32 v20, s12, v20
	s_wait_loadcnt 0x0
	s_delay_alu instid0(VALU_DEP_1) | instskip(NEXT) | instid1(VALU_DEP_1)
	v_dual_mov_b32 v23, v32 :: v_dual_lshlrev_b32 v36, 2, v20
	v_dual_mov_b32 v20, v32 :: v_dual_ashrrev_i32 v37, 31, v36
	s_wait_kmcnt 0x0
	s_delay_alu instid0(VALU_DEP_1)
	v_lshl_add_u64 v[52:53], v[36:37], 3, s[4:5]
	s_clause 0x1
	global_load_b128 v[36:39], v[52:53], off
	global_load_b128 v[40:43], v[52:53], off offset:16
	s_clause 0x1
	global_load_b128 v[44:47], v[18:19], off offset:32
	global_load_b128 v[48:51], v[18:19], off offset:48
	s_wait_xcnt 0x0
	v_add_nc_u64_e32 v[18:19], 0x200, v[18:19]
	s_wait_loadcnt 0x3
	v_pk_fma_f32 v[10:11], v[36:37], v[20:21], v[10:11] op_sel_hi:[0,1,1]
	v_dual_mov_b32 v20, v33 :: v_dual_mov_b32 v32, v39
	s_wait_loadcnt 0x2
	v_mov_b32_e32 v52, v43
	s_delay_alu instid0(VALU_DEP_3) | instskip(SKIP_1) | instid1(VALU_DEP_2)
	v_pk_fma_f32 v[10:11], v[36:37], v[22:23], v[10:11] op_sel:[1,0,0]
	v_mov_b32_e32 v23, v33
	v_pk_fma_f32 v[10:11], v[38:39], v[20:21], v[10:11] op_sel_hi:[0,1,1]
	v_mov_b32_e32 v20, v34
	s_delay_alu instid0(VALU_DEP_2) | instskip(SKIP_1) | instid1(VALU_DEP_2)
	v_pk_fma_f32 v[10:11], v[32:33], v[22:23], v[10:11] op_sel_hi:[0,1,1]
	v_mov_b32_e32 v23, v34
	v_pk_fma_f32 v[10:11], v[40:41], v[20:21], v[10:11] op_sel_hi:[0,1,1]
	v_mov_b32_e32 v20, v35
	s_delay_alu instid0(VALU_DEP_2) | instskip(SKIP_1) | instid1(VALU_DEP_2)
	v_pk_fma_f32 v[10:11], v[40:41], v[22:23], v[10:11] op_sel:[1,0,0]
	v_mov_b32_e32 v23, v35
	v_pk_fma_f32 v[10:11], v[42:43], v[20:21], v[10:11] op_sel_hi:[0,1,1]
	v_mov_b32_e32 v20, v28
	s_delay_alu instid0(VALU_DEP_2) | instskip(SKIP_1) | instid1(VALU_DEP_3)
	v_pk_fma_f32 v[10:11], v[52:53], v[22:23], v[10:11] op_sel_hi:[0,1,1]
	v_mov_b32_e32 v23, v28
	v_pk_fma_f32 v[12:13], v[36:37], v[20:21], v[12:13] op_sel_hi:[0,1,1]
	v_mov_b32_e32 v20, v29
	s_delay_alu instid0(VALU_DEP_2) | instskip(SKIP_1) | instid1(VALU_DEP_2)
	v_pk_fma_f32 v[12:13], v[36:37], v[22:23], v[12:13] op_sel:[1,0,0]
	v_mov_b32_e32 v23, v29
	v_pk_fma_f32 v[12:13], v[38:39], v[20:21], v[12:13] op_sel_hi:[0,1,1]
	v_mov_b32_e32 v20, v30
	s_delay_alu instid0(VALU_DEP_2) | instskip(SKIP_1) | instid1(VALU_DEP_2)
	v_pk_fma_f32 v[12:13], v[32:33], v[22:23], v[12:13] op_sel_hi:[0,1,1]
	v_mov_b32_e32 v23, v30
	v_pk_fma_f32 v[12:13], v[40:41], v[20:21], v[12:13] op_sel_hi:[0,1,1]
	v_mov_b32_e32 v20, v31
	s_delay_alu instid0(VALU_DEP_2) | instskip(SKIP_1) | instid1(VALU_DEP_2)
	v_pk_fma_f32 v[12:13], v[40:41], v[22:23], v[12:13] op_sel:[1,0,0]
	v_mov_b32_e32 v23, v31
	v_pk_fma_f32 v[12:13], v[42:43], v[20:21], v[12:13] op_sel_hi:[0,1,1]
	s_wait_loadcnt 0x1
	v_mov_b32_e32 v20, v44
	s_delay_alu instid0(VALU_DEP_2) | instskip(SKIP_1) | instid1(VALU_DEP_3)
	v_pk_fma_f32 v[12:13], v[52:53], v[22:23], v[12:13] op_sel_hi:[0,1,1]
	v_mov_b32_e32 v23, v44
	v_pk_fma_f32 v[14:15], v[36:37], v[20:21], v[14:15] op_sel_hi:[0,1,1]
	v_mov_b32_e32 v20, v45
	s_delay_alu instid0(VALU_DEP_2) | instskip(SKIP_1) | instid1(VALU_DEP_2)
	v_pk_fma_f32 v[14:15], v[36:37], v[22:23], v[14:15] op_sel:[1,0,0]
	v_mov_b32_e32 v23, v45
	v_pk_fma_f32 v[14:15], v[38:39], v[20:21], v[14:15] op_sel_hi:[0,1,1]
	v_mov_b32_e32 v20, v46
	s_delay_alu instid0(VALU_DEP_2) | instskip(SKIP_1) | instid1(VALU_DEP_2)
	v_pk_fma_f32 v[14:15], v[32:33], v[22:23], v[14:15] op_sel_hi:[0,1,1]
	v_mov_b32_e32 v23, v46
	v_pk_fma_f32 v[14:15], v[40:41], v[20:21], v[14:15] op_sel_hi:[0,1,1]
	v_mov_b32_e32 v20, v47
	s_delay_alu instid0(VALU_DEP_2) | instskip(SKIP_1) | instid1(VALU_DEP_2)
	v_pk_fma_f32 v[14:15], v[40:41], v[22:23], v[14:15] op_sel:[1,0,0]
	v_mov_b32_e32 v23, v47
	v_pk_fma_f32 v[14:15], v[42:43], v[20:21], v[14:15] op_sel_hi:[0,1,1]
	s_wait_loadcnt 0x0
	v_mov_b32_e32 v20, v48
	s_delay_alu instid0(VALU_DEP_2) | instskip(SKIP_1) | instid1(VALU_DEP_3)
	v_pk_fma_f32 v[14:15], v[52:53], v[22:23], v[14:15] op_sel_hi:[0,1,1]
	v_mov_b32_e32 v23, v48
	v_pk_fma_f32 v[16:17], v[36:37], v[20:21], v[16:17] op_sel_hi:[0,1,1]
	v_mov_b32_e32 v20, v49
	s_delay_alu instid0(VALU_DEP_2) | instskip(SKIP_1) | instid1(VALU_DEP_2)
	v_pk_fma_f32 v[16:17], v[36:37], v[22:23], v[16:17] op_sel:[1,0,0]
	v_mov_b32_e32 v23, v49
	v_pk_fma_f32 v[16:17], v[38:39], v[20:21], v[16:17] op_sel_hi:[0,1,1]
	v_mov_b32_e32 v20, v50
	s_delay_alu instid0(VALU_DEP_2) | instskip(SKIP_1) | instid1(VALU_DEP_2)
	v_pk_fma_f32 v[16:17], v[32:33], v[22:23], v[16:17] op_sel_hi:[0,1,1]
	v_mov_b32_e32 v23, v50
	v_pk_fma_f32 v[16:17], v[40:41], v[20:21], v[16:17] op_sel_hi:[0,1,1]
	v_mov_b32_e32 v20, v51
	s_delay_alu instid0(VALU_DEP_2) | instskip(SKIP_1) | instid1(VALU_DEP_2)
	v_pk_fma_f32 v[16:17], v[40:41], v[22:23], v[16:17] op_sel:[1,0,0]
	v_mov_b32_e32 v23, v51
	v_pk_fma_f32 v[16:17], v[42:43], v[20:21], v[16:17] op_sel_hi:[0,1,1]
	s_delay_alu instid0(VALU_DEP_1)
	v_pk_fma_f32 v[16:17], v[52:53], v[22:23], v[16:17] op_sel_hi:[0,1,1]
	s_and_not1_b32 exec_lo, exec_lo, s10
	s_cbranch_execnz .LBB121_13
; %bb.14:
	s_or_b32 exec_lo, exec_lo, s10
.LBB121_15:
	s_delay_alu instid0(SALU_CYCLE_1) | instskip(NEXT) | instid1(SALU_CYCLE_1)
	s_or_b32 exec_lo, exec_lo, s7
	s_mov_b32 s7, exec_lo
	v_cmpx_lt_u32_e32 23, v26
	s_cbranch_execz .LBB121_19
; %bb.16:
	v_mov_b32_e32 v21, 0
	v_bfrev_b32_e32 v22, 1
	s_mov_b32 s10, 0
.LBB121_17:                             ; =>This Inner Loop Header: Depth=1
	global_load_b32 v20, v25, s[8:9] scale_offset
	s_clause 0x6
	global_load_b128 v[26:29], v[18:19], off
	global_load_b128 v[30:33], v[18:19], off offset:16
	global_load_b128 v[34:37], v[18:19], off offset:48
	;; [unrolled: 1-line block ×6, first 2 shown]
	s_clause 0x2
	global_load_b32 v65, v25, s[8:9] offset:32 scale_offset
	global_load_b32 v72, v25, s[8:9] offset:64 scale_offset
	;; [unrolled: 1-line block ×3, first 2 shown]
	s_wait_xcnt 0x0
	v_add_nc_u32_e32 v25, 32, v25
	s_delay_alu instid0(VALU_DEP_1)
	v_cmp_ge_i32_e32 vcc_lo, v25, v1
	s_or_b32 s10, vcc_lo, s10
	s_wait_loadcnt 0xa
	v_subrev_nc_u32_e32 v54, s12, v20
	s_wait_loadcnt 0x9
	v_dual_mov_b32 v20, v26 :: v_dual_mov_b32 v23, v26
	s_delay_alu instid0(VALU_DEP_2) | instskip(NEXT) | instid1(VALU_DEP_1)
	v_lshlrev_b32_e32 v54, 2, v54
	v_ashrrev_i32_e32 v55, 31, v54
	s_wait_kmcnt 0x0
	s_delay_alu instid0(VALU_DEP_1)
	v_lshl_add_u64 v[62:63], v[54:55], 3, s[4:5]
	s_clause 0x1
	global_load_b128 v[54:57], v[62:63], off
	global_load_b128 v[58:61], v[62:63], off offset:16
	s_wait_loadcnt 0x1
	v_pk_fma_f32 v[10:11], v[54:55], v[20:21], v[10:11] op_sel_hi:[0,1,1]
	s_wait_xcnt 0x0
	v_dual_mov_b32 v20, v27 :: v_dual_mov_b32 v62, v57
	s_wait_loadcnt 0x0
	v_mov_b32_e32 v64, v61
	v_pk_fma_f32 v[10:11], v[54:55], v[22:23], v[10:11] op_sel:[1,0,0]
	v_mov_b32_e32 v23, v27
	s_delay_alu instid0(VALU_DEP_2) | instskip(SKIP_1) | instid1(VALU_DEP_2)
	v_pk_fma_f32 v[10:11], v[56:57], v[20:21], v[10:11] op_sel_hi:[0,1,1]
	v_mov_b32_e32 v20, v28
	v_pk_fma_f32 v[10:11], v[62:63], v[22:23], v[10:11] op_sel_hi:[0,1,1]
	v_mov_b32_e32 v23, v28
	s_delay_alu instid0(VALU_DEP_2) | instskip(SKIP_1) | instid1(VALU_DEP_2)
	v_pk_fma_f32 v[10:11], v[58:59], v[20:21], v[10:11] op_sel_hi:[0,1,1]
	v_mov_b32_e32 v20, v29
	v_pk_fma_f32 v[10:11], v[58:59], v[22:23], v[10:11] op_sel:[1,0,0]
	v_mov_b32_e32 v23, v29
	global_load_b128 v[26:29], v[18:19], off offset:512
	v_pk_fma_f32 v[10:11], v[60:61], v[20:21], v[10:11] op_sel_hi:[0,1,1]
	v_mov_b32_e32 v20, v30
	s_delay_alu instid0(VALU_DEP_2) | instskip(SKIP_1) | instid1(VALU_DEP_3)
	v_pk_fma_f32 v[66:67], v[64:65], v[22:23], v[10:11] op_sel_hi:[0,1,1]
	v_mov_b32_e32 v23, v30
	v_pk_fma_f32 v[10:11], v[54:55], v[20:21], v[12:13] op_sel_hi:[0,1,1]
	v_mov_b32_e32 v20, v31
	s_delay_alu instid0(VALU_DEP_2) | instskip(SKIP_1) | instid1(VALU_DEP_2)
	v_pk_fma_f32 v[10:11], v[54:55], v[22:23], v[10:11] op_sel:[1,0,0]
	v_mov_b32_e32 v23, v31
	v_pk_fma_f32 v[10:11], v[56:57], v[20:21], v[10:11] op_sel_hi:[0,1,1]
	v_mov_b32_e32 v20, v32
	s_delay_alu instid0(VALU_DEP_2) | instskip(SKIP_1) | instid1(VALU_DEP_2)
	v_pk_fma_f32 v[10:11], v[62:63], v[22:23], v[10:11] op_sel_hi:[0,1,1]
	v_mov_b32_e32 v23, v32
	v_pk_fma_f32 v[10:11], v[58:59], v[20:21], v[10:11] op_sel_hi:[0,1,1]
	v_mov_b32_e32 v20, v33
	s_delay_alu instid0(VALU_DEP_2) | instskip(SKIP_4) | instid1(VALU_DEP_2)
	v_pk_fma_f32 v[30:31], v[58:59], v[22:23], v[10:11] op_sel:[1,0,0]
	v_mov_b32_e32 v23, v33
	global_load_b128 v[10:13], v[18:19], off offset:1040
	v_pk_fma_f32 v[30:31], v[60:61], v[20:21], v[30:31] op_sel_hi:[0,1,1]
	v_mov_b32_e32 v20, v38
	v_pk_fma_f32 v[68:69], v[64:65], v[22:23], v[30:31] op_sel_hi:[0,1,1]
	v_mov_b32_e32 v23, v38
	s_delay_alu instid0(VALU_DEP_3) | instskip(SKIP_4) | instid1(VALU_DEP_2)
	v_pk_fma_f32 v[14:15], v[54:55], v[20:21], v[14:15] op_sel_hi:[0,1,1]
	v_mov_b32_e32 v20, v39
	global_load_b128 v[30:33], v[18:19], off offset:1024
	v_pk_fma_f32 v[14:15], v[54:55], v[22:23], v[14:15] op_sel:[1,0,0]
	v_mov_b32_e32 v23, v39
	v_pk_fma_f32 v[14:15], v[56:57], v[20:21], v[14:15] op_sel_hi:[0,1,1]
	v_mov_b32_e32 v20, v40
	s_delay_alu instid0(VALU_DEP_2) | instskip(SKIP_2) | instid1(VALU_DEP_3)
	v_pk_fma_f32 v[14:15], v[62:63], v[22:23], v[14:15] op_sel_hi:[0,1,1]
	v_mov_b32_e32 v23, v40
	v_subrev_nc_u32_e32 v40, s12, v72
	v_pk_fma_f32 v[14:15], v[58:59], v[20:21], v[14:15] op_sel_hi:[0,1,1]
	v_mov_b32_e32 v20, v41
	s_delay_alu instid0(VALU_DEP_2) | instskip(SKIP_1) | instid1(VALU_DEP_2)
	v_pk_fma_f32 v[14:15], v[58:59], v[22:23], v[14:15] op_sel:[1,0,0]
	v_mov_b32_e32 v23, v41
	v_pk_fma_f32 v[14:15], v[60:61], v[20:21], v[14:15] op_sel_hi:[0,1,1]
	v_mov_b32_e32 v20, v34
	s_delay_alu instid0(VALU_DEP_2) | instskip(SKIP_1) | instid1(VALU_DEP_3)
	v_pk_fma_f32 v[70:71], v[64:65], v[22:23], v[14:15] op_sel_hi:[0,1,1]
	v_mov_b32_e32 v23, v34
	v_pk_fma_f32 v[14:15], v[54:55], v[20:21], v[16:17] op_sel_hi:[0,1,1]
	v_mov_b32_e32 v20, v35
	s_delay_alu instid0(VALU_DEP_2) | instskip(SKIP_1) | instid1(VALU_DEP_2)
	v_pk_fma_f32 v[14:15], v[54:55], v[22:23], v[14:15] op_sel:[1,0,0]
	v_mov_b32_e32 v23, v35
	v_pk_fma_f32 v[38:39], v[56:57], v[20:21], v[14:15] op_sel_hi:[0,1,1]
	v_subrev_nc_u32_e32 v20, s12, v65
	global_load_b128 v[14:17], v[18:19], off offset:1056
	v_pk_fma_f32 v[38:39], v[62:63], v[22:23], v[38:39] op_sel_hi:[0,1,1]
	v_dual_lshlrev_b32 v34, 2, v20 :: v_dual_mov_b32 v20, v36
	v_dual_mov_b32 v23, v36 :: v_dual_lshlrev_b32 v40, 2, v40
	s_delay_alu instid0(VALU_DEP_1) | instskip(NEXT) | instid1(VALU_DEP_1)
	v_dual_ashrrev_i32 v35, 31, v34 :: v_dual_ashrrev_i32 v41, 31, v40
	v_lshl_add_u64 v[54:55], v[34:35], 3, s[4:5]
	s_delay_alu instid0(VALU_DEP_4) | instskip(SKIP_1) | instid1(VALU_DEP_4)
	v_pk_fma_f32 v[34:35], v[58:59], v[20:21], v[38:39] op_sel_hi:[0,1,1]
	v_mov_b32_e32 v20, v37
	v_lshl_add_u64 v[56:57], v[40:41], 3, s[4:5]
	s_delay_alu instid0(VALU_DEP_3)
	v_pk_fma_f32 v[38:39], v[58:59], v[22:23], v[34:35] op_sel:[1,0,0]
	v_mov_b32_e32 v23, v37
	global_load_b128 v[34:37], v[54:55], off
	v_pk_fma_f32 v[58:59], v[60:61], v[20:21], v[38:39] op_sel_hi:[0,1,1]
	global_load_b128 v[38:41], v[54:55], off offset:16
	v_pk_fma_f32 v[58:59], v[64:65], v[22:23], v[58:59] op_sel_hi:[0,1,1]
	s_wait_loadcnt 0x5
	v_dual_mov_b32 v20, v26 :: v_dual_mov_b32 v23, v26
	s_wait_loadcnt 0x1
	s_wait_xcnt 0x0
	v_mov_b32_e32 v54, v37
	s_delay_alu instid0(VALU_DEP_2) | instskip(SKIP_2) | instid1(VALU_DEP_2)
	v_pk_fma_f32 v[60:61], v[34:35], v[20:21], v[66:67] op_sel_hi:[0,1,1]
	s_wait_loadcnt 0x0
	v_dual_mov_b32 v20, v27 :: v_dual_mov_b32 v62, v41
	v_pk_fma_f32 v[60:61], v[34:35], v[22:23], v[60:61] op_sel:[1,0,0]
	v_mov_b32_e32 v23, v27
	s_delay_alu instid0(VALU_DEP_2) | instskip(SKIP_1) | instid1(VALU_DEP_2)
	v_pk_fma_f32 v[26:27], v[36:37], v[20:21], v[60:61] op_sel_hi:[0,1,1]
	v_mov_b32_e32 v20, v28
	v_pk_fma_f32 v[26:27], v[54:55], v[22:23], v[26:27] op_sel_hi:[0,1,1]
	v_mov_b32_e32 v23, v28
	s_delay_alu instid0(VALU_DEP_2) | instskip(SKIP_1) | instid1(VALU_DEP_2)
	v_pk_fma_f32 v[26:27], v[38:39], v[20:21], v[26:27] op_sel_hi:[0,1,1]
	v_mov_b32_e32 v20, v29
	v_pk_fma_f32 v[60:61], v[38:39], v[22:23], v[26:27] op_sel:[1,0,0]
	v_mov_b32_e32 v23, v29
	global_load_b128 v[26:29], v[56:57], off
	v_pk_fma_f32 v[60:61], v[40:41], v[20:21], v[60:61] op_sel_hi:[0,1,1]
	v_mov_b32_e32 v20, v50
	s_delay_alu instid0(VALU_DEP_2) | instskip(SKIP_1) | instid1(VALU_DEP_3)
	v_pk_fma_f32 v[60:61], v[62:63], v[22:23], v[60:61] op_sel_hi:[0,1,1]
	v_mov_b32_e32 v23, v50
	v_pk_fma_f32 v[64:65], v[34:35], v[20:21], v[68:69] op_sel_hi:[0,1,1]
	v_mov_b32_e32 v20, v51
	s_delay_alu instid0(VALU_DEP_2) | instskip(SKIP_1) | instid1(VALU_DEP_2)
	v_pk_fma_f32 v[64:65], v[34:35], v[22:23], v[64:65] op_sel:[1,0,0]
	v_mov_b32_e32 v23, v51
	v_pk_fma_f32 v[50:51], v[36:37], v[20:21], v[64:65] op_sel_hi:[0,1,1]
	v_mov_b32_e32 v20, v52
	s_delay_alu instid0(VALU_DEP_2) | instskip(SKIP_1) | instid1(VALU_DEP_2)
	v_pk_fma_f32 v[50:51], v[54:55], v[22:23], v[50:51] op_sel_hi:[0,1,1]
	v_mov_b32_e32 v23, v52
	v_pk_fma_f32 v[50:51], v[38:39], v[20:21], v[50:51] op_sel_hi:[0,1,1]
	v_mov_b32_e32 v20, v53
	s_delay_alu instid0(VALU_DEP_2)
	v_pk_fma_f32 v[64:65], v[38:39], v[22:23], v[50:51] op_sel:[1,0,0]
	v_mov_b32_e32 v23, v53
	global_load_b128 v[50:53], v[56:57], off offset:16
	s_wait_xcnt 0x0
	v_pk_fma_f32 v[56:57], v[40:41], v[20:21], v[64:65] op_sel_hi:[0,1,1]
	v_mov_b32_e32 v20, v46
	s_delay_alu instid0(VALU_DEP_2) | instskip(SKIP_1) | instid1(VALU_DEP_3)
	v_pk_fma_f32 v[64:65], v[62:63], v[22:23], v[56:57] op_sel_hi:[0,1,1]
	v_mov_b32_e32 v23, v46
	v_pk_fma_f32 v[56:57], v[34:35], v[20:21], v[70:71] op_sel_hi:[0,1,1]
	v_mov_b32_e32 v20, v47
	s_delay_alu instid0(VALU_DEP_2) | instskip(SKIP_1) | instid1(VALU_DEP_2)
	v_pk_fma_f32 v[56:57], v[34:35], v[22:23], v[56:57] op_sel:[1,0,0]
	v_mov_b32_e32 v23, v47
	v_pk_fma_f32 v[46:47], v[36:37], v[20:21], v[56:57] op_sel_hi:[0,1,1]
	v_mov_b32_e32 v20, v48
	s_delay_alu instid0(VALU_DEP_2) | instskip(SKIP_1) | instid1(VALU_DEP_2)
	v_pk_fma_f32 v[46:47], v[54:55], v[22:23], v[46:47] op_sel_hi:[0,1,1]
	v_mov_b32_e32 v23, v48
	v_pk_fma_f32 v[46:47], v[38:39], v[20:21], v[46:47] op_sel_hi:[0,1,1]
	v_mov_b32_e32 v20, v49
	s_delay_alu instid0(VALU_DEP_2) | instskip(SKIP_4) | instid1(VALU_DEP_2)
	v_pk_fma_f32 v[56:57], v[38:39], v[22:23], v[46:47] op_sel:[1,0,0]
	v_mov_b32_e32 v23, v49
	global_load_b128 v[46:49], v[18:19], off offset:1072
	v_pk_fma_f32 v[56:57], v[40:41], v[20:21], v[56:57] op_sel_hi:[0,1,1]
	v_mov_b32_e32 v20, v42
	v_pk_fma_f32 v[66:67], v[62:63], v[22:23], v[56:57] op_sel_hi:[0,1,1]
	v_mov_b32_e32 v23, v42
	s_delay_alu instid0(VALU_DEP_3) | instskip(SKIP_1) | instid1(VALU_DEP_2)
	v_pk_fma_f32 v[56:57], v[34:35], v[20:21], v[58:59] op_sel_hi:[0,1,1]
	v_mov_b32_e32 v20, v43
	v_pk_fma_f32 v[34:35], v[34:35], v[22:23], v[56:57] op_sel:[1,0,0]
	v_mov_b32_e32 v23, v43
	s_delay_alu instid0(VALU_DEP_2) | instskip(SKIP_4) | instid1(VALU_DEP_1)
	v_pk_fma_f32 v[56:57], v[36:37], v[20:21], v[34:35] op_sel_hi:[0,1,1]
	v_subrev_nc_u32_e32 v20, s12, v73
	global_load_b128 v[34:37], v[18:19], off offset:1536
	v_pk_fma_f32 v[42:43], v[54:55], v[22:23], v[56:57] op_sel_hi:[0,1,1]
	v_dual_lshlrev_b32 v58, 2, v20 :: v_dual_mov_b32 v20, v44
	v_dual_mov_b32 v23, v44 :: v_dual_ashrrev_i32 v59, 31, v58
	s_delay_alu instid0(VALU_DEP_2) | instskip(SKIP_1) | instid1(VALU_DEP_3)
	v_pk_fma_f32 v[42:43], v[38:39], v[20:21], v[42:43] op_sel_hi:[0,1,1]
	v_mov_b32_e32 v20, v45
	v_lshl_add_u64 v[58:59], v[58:59], 3, s[4:5]
	s_delay_alu instid0(VALU_DEP_3)
	v_pk_fma_f32 v[38:39], v[38:39], v[22:23], v[42:43] op_sel:[1,0,0]
	v_mov_b32_e32 v23, v45
	s_clause 0x1
	global_load_b128 v[54:57], v[58:59], off
	global_load_b128 v[42:45], v[58:59], off offset:16
	s_wait_xcnt 0x0
	v_pk_fma_f32 v[58:59], v[40:41], v[20:21], v[38:39] op_sel_hi:[0,1,1]
	global_load_b128 v[38:41], v[18:19], off offset:1552
	v_mov_b32_e32 v20, v30
	v_pk_fma_f32 v[62:63], v[62:63], v[22:23], v[58:59] op_sel_hi:[0,1,1]
	s_wait_loadcnt 0x6
	v_dual_mov_b32 v23, v30 :: v_dual_mov_b32 v68, v29
	s_delay_alu instid0(VALU_DEP_3) | instskip(SKIP_1) | instid1(VALU_DEP_2)
	v_pk_fma_f32 v[58:59], v[26:27], v[20:21], v[60:61] op_sel_hi:[0,1,1]
	v_mov_b32_e32 v20, v31
	v_pk_fma_f32 v[58:59], v[26:27], v[22:23], v[58:59] op_sel:[1,0,0]
	v_mov_b32_e32 v23, v31
	s_delay_alu instid0(VALU_DEP_2) | instskip(SKIP_1) | instid1(VALU_DEP_2)
	v_pk_fma_f32 v[30:31], v[28:29], v[20:21], v[58:59] op_sel_hi:[0,1,1]
	v_mov_b32_e32 v20, v32
	v_pk_fma_f32 v[30:31], v[68:69], v[22:23], v[30:31] op_sel_hi:[0,1,1]
	v_mov_b32_e32 v23, v32
	s_wait_loadcnt 0x5
	s_delay_alu instid0(VALU_DEP_2) | instskip(SKIP_1) | instid1(VALU_DEP_2)
	v_pk_fma_f32 v[30:31], v[50:51], v[20:21], v[30:31] op_sel_hi:[0,1,1]
	v_dual_mov_b32 v20, v33 :: v_dual_mov_b32 v70, v53
	v_pk_fma_f32 v[58:59], v[50:51], v[22:23], v[30:31] op_sel:[1,0,0]
	v_mov_b32_e32 v23, v33
	global_load_b128 v[30:33], v[18:19], off offset:1568
	v_pk_fma_f32 v[58:59], v[52:53], v[20:21], v[58:59] op_sel_hi:[0,1,1]
	v_mov_b32_e32 v20, v10
	s_delay_alu instid0(VALU_DEP_2) | instskip(SKIP_1) | instid1(VALU_DEP_3)
	v_pk_fma_f32 v[72:73], v[70:71], v[22:23], v[58:59] op_sel_hi:[0,1,1]
	v_mov_b32_e32 v23, v10
	v_pk_fma_f32 v[58:59], v[26:27], v[20:21], v[64:65] op_sel_hi:[0,1,1]
	v_mov_b32_e32 v20, v11
	s_delay_alu instid0(VALU_DEP_2) | instskip(SKIP_1) | instid1(VALU_DEP_2)
	v_pk_fma_f32 v[58:59], v[26:27], v[22:23], v[58:59] op_sel:[1,0,0]
	v_mov_b32_e32 v23, v11
	v_pk_fma_f32 v[10:11], v[28:29], v[20:21], v[58:59] op_sel_hi:[0,1,1]
	global_load_b128 v[58:61], v[18:19], off offset:1584
	v_mov_b32_e32 v20, v12
	s_wait_xcnt 0x0
	v_add_nc_u64_e32 v[18:19], 0x800, v[18:19]
	v_pk_fma_f32 v[10:11], v[68:69], v[22:23], v[10:11] op_sel_hi:[0,1,1]
	v_mov_b32_e32 v23, v12
	s_delay_alu instid0(VALU_DEP_2) | instskip(SKIP_1) | instid1(VALU_DEP_2)
	v_pk_fma_f32 v[10:11], v[50:51], v[20:21], v[10:11] op_sel_hi:[0,1,1]
	v_mov_b32_e32 v20, v13
	v_pk_fma_f32 v[10:11], v[50:51], v[22:23], v[10:11] op_sel:[1,0,0]
	v_mov_b32_e32 v23, v13
	s_delay_alu instid0(VALU_DEP_2) | instskip(SKIP_1) | instid1(VALU_DEP_2)
	v_pk_fma_f32 v[10:11], v[52:53], v[20:21], v[10:11] op_sel_hi:[0,1,1]
	v_mov_b32_e32 v20, v14
	v_pk_fma_f32 v[12:13], v[70:71], v[22:23], v[10:11] op_sel_hi:[0,1,1]
	v_mov_b32_e32 v23, v14
	s_delay_alu instid0(VALU_DEP_3) | instskip(SKIP_1) | instid1(VALU_DEP_2)
	v_pk_fma_f32 v[10:11], v[26:27], v[20:21], v[66:67] op_sel_hi:[0,1,1]
	v_mov_b32_e32 v20, v15
	v_pk_fma_f32 v[10:11], v[26:27], v[22:23], v[10:11] op_sel:[1,0,0]
	v_mov_b32_e32 v23, v15
	s_delay_alu instid0(VALU_DEP_2) | instskip(SKIP_1) | instid1(VALU_DEP_2)
	v_pk_fma_f32 v[10:11], v[28:29], v[20:21], v[10:11] op_sel_hi:[0,1,1]
	v_mov_b32_e32 v20, v16
	v_pk_fma_f32 v[10:11], v[68:69], v[22:23], v[10:11] op_sel_hi:[0,1,1]
	v_mov_b32_e32 v23, v16
	s_delay_alu instid0(VALU_DEP_2)
	v_pk_fma_f32 v[10:11], v[50:51], v[20:21], v[10:11] op_sel_hi:[0,1,1]
	s_wait_loadcnt 0x4
	v_dual_mov_b32 v20, v17 :: v_dual_mov_b32 v16, v57
	s_wait_loadcnt 0x3
	v_mov_b32_e32 v64, v45
	v_pk_fma_f32 v[10:11], v[50:51], v[22:23], v[10:11] op_sel:[1,0,0]
	v_mov_b32_e32 v23, v17
	s_delay_alu instid0(VALU_DEP_2) | instskip(SKIP_1) | instid1(VALU_DEP_2)
	v_pk_fma_f32 v[10:11], v[52:53], v[20:21], v[10:11] op_sel_hi:[0,1,1]
	v_mov_b32_e32 v20, v46
	v_pk_fma_f32 v[14:15], v[70:71], v[22:23], v[10:11] op_sel_hi:[0,1,1]
	v_mov_b32_e32 v23, v46
	s_delay_alu instid0(VALU_DEP_3) | instskip(SKIP_1) | instid1(VALU_DEP_2)
	v_pk_fma_f32 v[10:11], v[26:27], v[20:21], v[62:63] op_sel_hi:[0,1,1]
	v_mov_b32_e32 v20, v47
	v_pk_fma_f32 v[10:11], v[26:27], v[22:23], v[10:11] op_sel:[1,0,0]
	v_mov_b32_e32 v23, v47
	s_delay_alu instid0(VALU_DEP_2) | instskip(SKIP_1) | instid1(VALU_DEP_2)
	v_pk_fma_f32 v[10:11], v[28:29], v[20:21], v[10:11] op_sel_hi:[0,1,1]
	v_mov_b32_e32 v20, v48
	v_pk_fma_f32 v[10:11], v[68:69], v[22:23], v[10:11] op_sel_hi:[0,1,1]
	v_mov_b32_e32 v23, v48
	s_delay_alu instid0(VALU_DEP_2) | instskip(SKIP_1) | instid1(VALU_DEP_2)
	v_pk_fma_f32 v[10:11], v[50:51], v[20:21], v[10:11] op_sel_hi:[0,1,1]
	v_mov_b32_e32 v20, v49
	v_pk_fma_f32 v[10:11], v[50:51], v[22:23], v[10:11] op_sel:[1,0,0]
	v_mov_b32_e32 v23, v49
	s_delay_alu instid0(VALU_DEP_2) | instskip(SKIP_1) | instid1(VALU_DEP_2)
	v_pk_fma_f32 v[10:11], v[52:53], v[20:21], v[10:11] op_sel_hi:[0,1,1]
	v_mov_b32_e32 v20, v34
	v_pk_fma_f32 v[26:27], v[70:71], v[22:23], v[10:11] op_sel_hi:[0,1,1]
	v_mov_b32_e32 v23, v34
	s_delay_alu instid0(VALU_DEP_3) | instskip(SKIP_1) | instid1(VALU_DEP_2)
	v_pk_fma_f32 v[10:11], v[54:55], v[20:21], v[72:73] op_sel_hi:[0,1,1]
	v_mov_b32_e32 v20, v35
	v_pk_fma_f32 v[10:11], v[54:55], v[22:23], v[10:11] op_sel:[1,0,0]
	v_mov_b32_e32 v23, v35
	s_delay_alu instid0(VALU_DEP_2) | instskip(SKIP_1) | instid1(VALU_DEP_2)
	v_pk_fma_f32 v[10:11], v[56:57], v[20:21], v[10:11] op_sel_hi:[0,1,1]
	v_mov_b32_e32 v20, v36
	v_pk_fma_f32 v[10:11], v[16:17], v[22:23], v[10:11] op_sel_hi:[0,1,1]
	v_mov_b32_e32 v23, v36
	s_delay_alu instid0(VALU_DEP_2) | instskip(SKIP_1) | instid1(VALU_DEP_2)
	v_pk_fma_f32 v[10:11], v[42:43], v[20:21], v[10:11] op_sel_hi:[0,1,1]
	v_mov_b32_e32 v20, v37
	v_pk_fma_f32 v[10:11], v[42:43], v[22:23], v[10:11] op_sel:[1,0,0]
	v_mov_b32_e32 v23, v37
	s_delay_alu instid0(VALU_DEP_2) | instskip(SKIP_2) | instid1(VALU_DEP_2)
	v_pk_fma_f32 v[10:11], v[44:45], v[20:21], v[10:11] op_sel_hi:[0,1,1]
	s_wait_loadcnt 0x2
	v_mov_b32_e32 v20, v38
	v_pk_fma_f32 v[10:11], v[64:65], v[22:23], v[10:11] op_sel_hi:[0,1,1]
	v_mov_b32_e32 v23, v38
	s_delay_alu instid0(VALU_DEP_3) | instskip(SKIP_1) | instid1(VALU_DEP_2)
	v_pk_fma_f32 v[12:13], v[54:55], v[20:21], v[12:13] op_sel_hi:[0,1,1]
	v_mov_b32_e32 v20, v39
	v_pk_fma_f32 v[12:13], v[54:55], v[22:23], v[12:13] op_sel:[1,0,0]
	v_mov_b32_e32 v23, v39
	s_delay_alu instid0(VALU_DEP_2) | instskip(SKIP_1) | instid1(VALU_DEP_2)
	v_pk_fma_f32 v[12:13], v[56:57], v[20:21], v[12:13] op_sel_hi:[0,1,1]
	v_mov_b32_e32 v20, v40
	v_pk_fma_f32 v[12:13], v[16:17], v[22:23], v[12:13] op_sel_hi:[0,1,1]
	v_mov_b32_e32 v23, v40
	s_delay_alu instid0(VALU_DEP_2) | instskip(SKIP_1) | instid1(VALU_DEP_2)
	v_pk_fma_f32 v[12:13], v[42:43], v[20:21], v[12:13] op_sel_hi:[0,1,1]
	v_mov_b32_e32 v20, v41
	v_pk_fma_f32 v[12:13], v[42:43], v[22:23], v[12:13] op_sel:[1,0,0]
	v_mov_b32_e32 v23, v41
	s_delay_alu instid0(VALU_DEP_2) | instskip(NEXT) | instid1(VALU_DEP_1)
	v_pk_fma_f32 v[12:13], v[44:45], v[20:21], v[12:13] op_sel_hi:[0,1,1]
	v_pk_fma_f32 v[12:13], v[64:65], v[22:23], v[12:13] op_sel_hi:[0,1,1]
	s_wait_loadcnt 0x1
	v_dual_mov_b32 v20, v30 :: v_dual_mov_b32 v23, v30
	s_delay_alu instid0(VALU_DEP_1) | instskip(SKIP_1) | instid1(VALU_DEP_2)
	v_pk_fma_f32 v[14:15], v[54:55], v[20:21], v[14:15] op_sel_hi:[0,1,1]
	v_mov_b32_e32 v20, v31
	v_pk_fma_f32 v[14:15], v[54:55], v[22:23], v[14:15] op_sel:[1,0,0]
	v_mov_b32_e32 v23, v31
	s_delay_alu instid0(VALU_DEP_2) | instskip(SKIP_1) | instid1(VALU_DEP_2)
	v_pk_fma_f32 v[14:15], v[56:57], v[20:21], v[14:15] op_sel_hi:[0,1,1]
	v_mov_b32_e32 v20, v32
	v_pk_fma_f32 v[14:15], v[16:17], v[22:23], v[14:15] op_sel_hi:[0,1,1]
	v_mov_b32_e32 v23, v32
	s_delay_alu instid0(VALU_DEP_2) | instskip(SKIP_1) | instid1(VALU_DEP_2)
	v_pk_fma_f32 v[14:15], v[42:43], v[20:21], v[14:15] op_sel_hi:[0,1,1]
	v_mov_b32_e32 v20, v33
	v_pk_fma_f32 v[14:15], v[42:43], v[22:23], v[14:15] op_sel:[1,0,0]
	v_mov_b32_e32 v23, v33
	s_delay_alu instid0(VALU_DEP_2) | instskip(SKIP_2) | instid1(VALU_DEP_2)
	v_pk_fma_f32 v[14:15], v[44:45], v[20:21], v[14:15] op_sel_hi:[0,1,1]
	s_wait_loadcnt 0x0
	v_mov_b32_e32 v20, v58
	v_pk_fma_f32 v[14:15], v[64:65], v[22:23], v[14:15] op_sel_hi:[0,1,1]
	v_mov_b32_e32 v23, v58
	s_delay_alu instid0(VALU_DEP_3) | instskip(SKIP_1) | instid1(VALU_DEP_2)
	v_pk_fma_f32 v[26:27], v[54:55], v[20:21], v[26:27] op_sel_hi:[0,1,1]
	v_mov_b32_e32 v20, v59
	v_pk_fma_f32 v[26:27], v[54:55], v[22:23], v[26:27] op_sel:[1,0,0]
	v_mov_b32_e32 v23, v59
	s_delay_alu instid0(VALU_DEP_2) | instskip(SKIP_1) | instid1(VALU_DEP_2)
	v_pk_fma_f32 v[26:27], v[56:57], v[20:21], v[26:27] op_sel_hi:[0,1,1]
	v_mov_b32_e32 v20, v60
	v_pk_fma_f32 v[16:17], v[16:17], v[22:23], v[26:27] op_sel_hi:[0,1,1]
	v_mov_b32_e32 v23, v60
	s_delay_alu instid0(VALU_DEP_2) | instskip(SKIP_1) | instid1(VALU_DEP_2)
	v_pk_fma_f32 v[16:17], v[42:43], v[20:21], v[16:17] op_sel_hi:[0,1,1]
	v_mov_b32_e32 v20, v61
	v_pk_fma_f32 v[16:17], v[42:43], v[22:23], v[16:17] op_sel:[1,0,0]
	v_mov_b32_e32 v23, v61
	s_delay_alu instid0(VALU_DEP_2) | instskip(NEXT) | instid1(VALU_DEP_1)
	v_pk_fma_f32 v[16:17], v[44:45], v[20:21], v[16:17] op_sel_hi:[0,1,1]
	v_pk_fma_f32 v[16:17], v[64:65], v[22:23], v[16:17] op_sel_hi:[0,1,1]
	s_and_not1_b32 exec_lo, exec_lo, s10
	s_cbranch_execnz .LBB121_17
; %bb.18:
	s_or_b32 exec_lo, exec_lo, s10
.LBB121_19:
	s_delay_alu instid0(SALU_CYCLE_1)
	s_or_b32 exec_lo, exec_lo, s7
.LBB121_20:
	s_delay_alu instid0(SALU_CYCLE_1)
	s_or_b32 exec_lo, exec_lo, s6
	s_cbranch_execz .LBB121_22
	s_branch .LBB121_33
.LBB121_21:
                                        ; implicit-def: $vgpr11
                                        ; implicit-def: $vgpr13
                                        ; implicit-def: $vgpr15
                                        ; implicit-def: $vgpr17
.LBB121_22:
	v_dual_mov_b32 v11, 0 :: v_dual_mov_b32 v10, 0
	v_dual_mov_b32 v13, 0 :: v_dual_mov_b32 v12, 0
	;; [unrolled: 1-line block ×4, first 2 shown]
	s_and_saveexec_b32 s6, s3
	s_cbranch_execz .LBB121_32
; %bb.23:
	v_add_nc_u32_e32 v10, v24, v7
	v_not_b32_e32 v11, v24
	v_mov_b64_e32 v[12:13], 0
	v_mov_b64_e32 v[14:15], 0
	;; [unrolled: 1-line block ×3, first 2 shown]
	v_subrev_nc_u32_e32 v10, s12, v10
	s_mov_b32 s3, exec_lo
	s_delay_alu instid0(VALU_DEP_1) | instskip(NEXT) | instid1(VALU_DEP_1)
	v_add_max_i32_e64 v10, v10, 8, v1
	v_add3_u32 v10, s12, v10, v11
	s_delay_alu instid0(VALU_DEP_1) | instskip(SKIP_1) | instid1(VALU_DEP_2)
	v_sub_nc_u32_e32 v22, v10, v7
	v_mov_b64_e32 v[10:11], 0
	v_and_b32_e32 v18, 24, v22
	s_delay_alu instid0(VALU_DEP_1)
	v_cmpx_ne_u32_e32 24, v18
	s_cbranch_execz .LBB121_27
; %bb.24:
	v_dual_mov_b32 v19, 0 :: v_dual_lshrrev_b32 v10, 3, v22
	v_bfrev_b32_e32 v20, 1
	s_mov_b32 s7, 0
	s_delay_alu instid0(VALU_DEP_2) | instskip(SKIP_2) | instid1(VALU_DEP_3)
	v_dual_add_nc_u32 v10, 1, v10 :: v_dual_mov_b32 v16, v19
	v_dual_mov_b32 v17, v19 :: v_dual_mov_b32 v14, v19
	v_dual_mov_b32 v12, v19 :: v_dual_mov_b32 v13, v19
	v_dual_mov_b32 v15, v19 :: v_dual_bitop2_b32 v11, 3, v10 bitop3:0x40
	s_delay_alu instid0(VALU_DEP_1)
	v_dual_mov_b32 v10, v19 :: v_dual_sub_nc_u32 v23, 0, v11
	v_mov_b32_e32 v11, v19
.LBB121_25:                             ; =>This Inner Loop Header: Depth=1
	global_load_b32 v18, v0, s[8:9] scale_offset
	s_clause 0x1
	global_load_b128 v[24:27], v[8:9], off offset:16
	global_load_b128 v[28:31], v[8:9], off
	s_wait_xcnt 0x2
	v_add_nc_u32_e32 v0, 8, v0
	v_add_co_u32 v23, s10, v23, 1
	s_or_b32 s7, s10, s7
	s_wait_loadcnt 0x2
	v_subrev_nc_u32_e32 v18, s12, v18
	s_wait_loadcnt 0x0
	s_delay_alu instid0(VALU_DEP_1) | instskip(NEXT) | instid1(VALU_DEP_1)
	v_dual_mov_b32 v21, v28 :: v_dual_lshlrev_b32 v32, 2, v18
	v_dual_mov_b32 v18, v28 :: v_dual_ashrrev_i32 v33, 31, v32
	s_wait_kmcnt 0x0
	s_delay_alu instid0(VALU_DEP_1)
	v_lshl_add_u64 v[48:49], v[32:33], 3, s[4:5]
	s_clause 0x1
	global_load_b128 v[32:35], v[48:49], off
	global_load_b128 v[36:39], v[48:49], off offset:16
	s_clause 0x1
	global_load_b128 v[40:43], v[8:9], off offset:32
	global_load_b128 v[44:47], v[8:9], off offset:48
	s_wait_xcnt 0x0
	v_add_nc_u64_e32 v[8:9], 0x200, v[8:9]
	s_wait_loadcnt 0x3
	v_pk_fma_f32 v[10:11], v[32:33], v[18:19], v[10:11] op_sel_hi:[0,1,1]
	v_dual_mov_b32 v18, v24 :: v_dual_mov_b32 v28, v35
	s_wait_loadcnt 0x2
	v_mov_b32_e32 v48, v39
	s_delay_alu instid0(VALU_DEP_3) | instskip(SKIP_1) | instid1(VALU_DEP_2)
	v_pk_fma_f32 v[10:11], v[32:33], v[20:21], v[10:11] op_sel:[1,0,0]
	v_mov_b32_e32 v21, v24
	v_pk_fma_f32 v[10:11], v[34:35], v[18:19], v[10:11] op_sel_hi:[0,1,1]
	s_wait_loadcnt 0x1
	v_mov_b32_e32 v18, v40
	s_delay_alu instid0(VALU_DEP_2) | instskip(SKIP_1) | instid1(VALU_DEP_2)
	v_pk_fma_f32 v[10:11], v[28:29], v[20:21], v[10:11] op_sel_hi:[0,1,1]
	v_mov_b32_e32 v21, v40
	v_pk_fma_f32 v[10:11], v[36:37], v[18:19], v[10:11] op_sel_hi:[0,1,1]
	s_wait_loadcnt 0x0
	v_mov_b32_e32 v18, v44
	s_delay_alu instid0(VALU_DEP_2) | instskip(SKIP_1) | instid1(VALU_DEP_2)
	v_pk_fma_f32 v[10:11], v[36:37], v[20:21], v[10:11] op_sel:[1,0,0]
	v_mov_b32_e32 v21, v44
	v_pk_fma_f32 v[10:11], v[38:39], v[18:19], v[10:11] op_sel_hi:[0,1,1]
	v_mov_b32_e32 v18, v29
	s_delay_alu instid0(VALU_DEP_2) | instskip(SKIP_1) | instid1(VALU_DEP_3)
	v_pk_fma_f32 v[10:11], v[48:49], v[20:21], v[10:11] op_sel_hi:[0,1,1]
	v_mov_b32_e32 v21, v29
	v_pk_fma_f32 v[12:13], v[32:33], v[18:19], v[12:13] op_sel_hi:[0,1,1]
	v_mov_b32_e32 v18, v25
	s_delay_alu instid0(VALU_DEP_2) | instskip(SKIP_1) | instid1(VALU_DEP_2)
	v_pk_fma_f32 v[12:13], v[32:33], v[20:21], v[12:13] op_sel:[1,0,0]
	v_mov_b32_e32 v21, v25
	v_pk_fma_f32 v[12:13], v[34:35], v[18:19], v[12:13] op_sel_hi:[0,1,1]
	v_mov_b32_e32 v18, v41
	s_delay_alu instid0(VALU_DEP_2) | instskip(SKIP_1) | instid1(VALU_DEP_2)
	v_pk_fma_f32 v[12:13], v[28:29], v[20:21], v[12:13] op_sel_hi:[0,1,1]
	v_mov_b32_e32 v21, v41
	v_pk_fma_f32 v[12:13], v[36:37], v[18:19], v[12:13] op_sel_hi:[0,1,1]
	v_mov_b32_e32 v18, v45
	s_delay_alu instid0(VALU_DEP_2) | instskip(SKIP_1) | instid1(VALU_DEP_2)
	v_pk_fma_f32 v[12:13], v[36:37], v[20:21], v[12:13] op_sel:[1,0,0]
	v_mov_b32_e32 v21, v45
	v_pk_fma_f32 v[12:13], v[38:39], v[18:19], v[12:13] op_sel_hi:[0,1,1]
	v_mov_b32_e32 v18, v30
	s_delay_alu instid0(VALU_DEP_2) | instskip(SKIP_1) | instid1(VALU_DEP_3)
	v_pk_fma_f32 v[12:13], v[48:49], v[20:21], v[12:13] op_sel_hi:[0,1,1]
	v_mov_b32_e32 v21, v30
	v_pk_fma_f32 v[14:15], v[32:33], v[18:19], v[14:15] op_sel_hi:[0,1,1]
	v_mov_b32_e32 v18, v26
	s_delay_alu instid0(VALU_DEP_2) | instskip(SKIP_1) | instid1(VALU_DEP_2)
	v_pk_fma_f32 v[14:15], v[32:33], v[20:21], v[14:15] op_sel:[1,0,0]
	v_mov_b32_e32 v21, v26
	v_pk_fma_f32 v[14:15], v[34:35], v[18:19], v[14:15] op_sel_hi:[0,1,1]
	v_mov_b32_e32 v18, v42
	s_delay_alu instid0(VALU_DEP_2) | instskip(SKIP_1) | instid1(VALU_DEP_2)
	v_pk_fma_f32 v[14:15], v[28:29], v[20:21], v[14:15] op_sel_hi:[0,1,1]
	v_mov_b32_e32 v21, v42
	v_pk_fma_f32 v[14:15], v[36:37], v[18:19], v[14:15] op_sel_hi:[0,1,1]
	;; [unrolled: 20-line block ×3, first 2 shown]
	v_mov_b32_e32 v18, v47
	s_delay_alu instid0(VALU_DEP_2) | instskip(SKIP_1) | instid1(VALU_DEP_2)
	v_pk_fma_f32 v[16:17], v[36:37], v[20:21], v[16:17] op_sel:[1,0,0]
	v_mov_b32_e32 v21, v47
	v_pk_fma_f32 v[16:17], v[38:39], v[18:19], v[16:17] op_sel_hi:[0,1,1]
	s_delay_alu instid0(VALU_DEP_1)
	v_pk_fma_f32 v[16:17], v[48:49], v[20:21], v[16:17] op_sel_hi:[0,1,1]
	s_and_not1_b32 exec_lo, exec_lo, s7
	s_cbranch_execnz .LBB121_25
; %bb.26:
	s_or_b32 exec_lo, exec_lo, s7
.LBB121_27:
	s_delay_alu instid0(SALU_CYCLE_1) | instskip(NEXT) | instid1(SALU_CYCLE_1)
	s_or_b32 exec_lo, exec_lo, s3
	s_mov_b32 s3, exec_lo
	v_cmpx_lt_u32_e32 23, v22
	s_cbranch_execz .LBB121_31
; %bb.28:
	v_mov_b32_e32 v19, 0
	v_bfrev_b32_e32 v20, 1
	s_mov_b32 s7, 0
.LBB121_29:                             ; =>This Inner Loop Header: Depth=1
	global_load_b32 v18, v0, s[8:9] scale_offset
	s_clause 0x6
	global_load_b128 v[22:25], v[8:9], off
	global_load_b128 v[26:29], v[8:9], off offset:16
	global_load_b128 v[30:33], v[8:9], off offset:48
	global_load_b128 v[34:37], v[8:9], off offset:32
	global_load_b128 v[38:41], v[8:9], off offset:560
	global_load_b128 v[42:45], v[8:9], off offset:544
	global_load_b128 v[46:49], v[8:9], off offset:528
	s_clause 0x2
	global_load_b32 v61, v0, s[8:9] offset:32 scale_offset
	global_load_b32 v68, v0, s[8:9] offset:64 scale_offset
	;; [unrolled: 1-line block ×3, first 2 shown]
	s_wait_xcnt 0x0
	v_add_nc_u32_e32 v0, 32, v0
	s_delay_alu instid0(VALU_DEP_1)
	v_cmp_ge_i32_e32 vcc_lo, v0, v1
	s_or_b32 s7, vcc_lo, s7
	s_wait_loadcnt 0xa
	v_subrev_nc_u32_e32 v50, s12, v18
	s_wait_loadcnt 0x9
	v_dual_mov_b32 v18, v22 :: v_dual_mov_b32 v21, v22
	s_delay_alu instid0(VALU_DEP_2) | instskip(NEXT) | instid1(VALU_DEP_1)
	v_lshlrev_b32_e32 v50, 2, v50
	v_ashrrev_i32_e32 v51, 31, v50
	s_wait_kmcnt 0x0
	s_delay_alu instid0(VALU_DEP_1)
	v_lshl_add_u64 v[58:59], v[50:51], 3, s[4:5]
	s_clause 0x1
	global_load_b128 v[50:53], v[58:59], off
	global_load_b128 v[54:57], v[58:59], off offset:16
	s_wait_loadcnt 0x1
	v_pk_fma_f32 v[10:11], v[50:51], v[18:19], v[10:11] op_sel_hi:[0,1,1]
	s_wait_xcnt 0x0
	v_dual_mov_b32 v18, v26 :: v_dual_mov_b32 v58, v53
	s_wait_loadcnt 0x0
	v_mov_b32_e32 v60, v57
	v_pk_fma_f32 v[10:11], v[50:51], v[20:21], v[10:11] op_sel:[1,0,0]
	v_mov_b32_e32 v21, v26
	s_delay_alu instid0(VALU_DEP_2) | instskip(SKIP_1) | instid1(VALU_DEP_2)
	v_pk_fma_f32 v[10:11], v[52:53], v[18:19], v[10:11] op_sel_hi:[0,1,1]
	v_mov_b32_e32 v18, v34
	v_pk_fma_f32 v[10:11], v[58:59], v[20:21], v[10:11] op_sel_hi:[0,1,1]
	v_mov_b32_e32 v21, v34
	s_delay_alu instid0(VALU_DEP_2) | instskip(SKIP_1) | instid1(VALU_DEP_2)
	v_pk_fma_f32 v[10:11], v[54:55], v[18:19], v[10:11] op_sel_hi:[0,1,1]
	v_mov_b32_e32 v18, v30
	v_pk_fma_f32 v[10:11], v[54:55], v[20:21], v[10:11] op_sel:[1,0,0]
	v_mov_b32_e32 v21, v30
	s_delay_alu instid0(VALU_DEP_2) | instskip(SKIP_1) | instid1(VALU_DEP_2)
	v_pk_fma_f32 v[10:11], v[56:57], v[18:19], v[10:11] op_sel_hi:[0,1,1]
	v_mov_b32_e32 v18, v23
	v_pk_fma_f32 v[62:63], v[60:61], v[20:21], v[10:11] op_sel_hi:[0,1,1]
	v_mov_b32_e32 v21, v23
	s_delay_alu instid0(VALU_DEP_3) | instskip(SKIP_1) | instid1(VALU_DEP_2)
	v_pk_fma_f32 v[10:11], v[50:51], v[18:19], v[12:13] op_sel_hi:[0,1,1]
	v_mov_b32_e32 v18, v27
	v_pk_fma_f32 v[10:11], v[50:51], v[20:21], v[10:11] op_sel:[1,0,0]
	v_mov_b32_e32 v21, v27
	s_delay_alu instid0(VALU_DEP_2) | instskip(SKIP_1) | instid1(VALU_DEP_2)
	v_pk_fma_f32 v[10:11], v[52:53], v[18:19], v[10:11] op_sel_hi:[0,1,1]
	v_mov_b32_e32 v18, v35
	v_pk_fma_f32 v[10:11], v[58:59], v[20:21], v[10:11] op_sel_hi:[0,1,1]
	v_mov_b32_e32 v21, v35
	s_delay_alu instid0(VALU_DEP_2) | instskip(SKIP_1) | instid1(VALU_DEP_2)
	v_pk_fma_f32 v[10:11], v[54:55], v[18:19], v[10:11] op_sel_hi:[0,1,1]
	v_mov_b32_e32 v18, v31
	v_pk_fma_f32 v[10:11], v[54:55], v[20:21], v[10:11] op_sel:[1,0,0]
	v_mov_b32_e32 v21, v31
	s_delay_alu instid0(VALU_DEP_2) | instskip(SKIP_1) | instid1(VALU_DEP_2)
	v_pk_fma_f32 v[10:11], v[56:57], v[18:19], v[10:11] op_sel_hi:[0,1,1]
	v_mov_b32_e32 v18, v24
	v_pk_fma_f32 v[64:65], v[60:61], v[20:21], v[10:11] op_sel_hi:[0,1,1]
	v_mov_b32_e32 v21, v24
	s_delay_alu instid0(VALU_DEP_3) | instskip(SKIP_1) | instid1(VALU_DEP_2)
	v_pk_fma_f32 v[10:11], v[50:51], v[18:19], v[14:15] op_sel_hi:[0,1,1]
	v_mov_b32_e32 v18, v28
	v_pk_fma_f32 v[10:11], v[50:51], v[20:21], v[10:11] op_sel:[1,0,0]
	v_mov_b32_e32 v21, v28
	s_delay_alu instid0(VALU_DEP_2) | instskip(SKIP_1) | instid1(VALU_DEP_2)
	v_pk_fma_f32 v[10:11], v[52:53], v[18:19], v[10:11] op_sel_hi:[0,1,1]
	v_mov_b32_e32 v18, v36
	v_pk_fma_f32 v[10:11], v[58:59], v[20:21], v[10:11] op_sel_hi:[0,1,1]
	v_mov_b32_e32 v21, v36
	s_delay_alu instid0(VALU_DEP_2) | instskip(SKIP_1) | instid1(VALU_DEP_2)
	v_pk_fma_f32 v[10:11], v[54:55], v[18:19], v[10:11] op_sel_hi:[0,1,1]
	v_mov_b32_e32 v18, v32
	v_pk_fma_f32 v[10:11], v[54:55], v[20:21], v[10:11] op_sel:[1,0,0]
	v_mov_b32_e32 v21, v32
	v_subrev_nc_u32_e32 v32, s12, v61
	s_delay_alu instid0(VALU_DEP_3) | instskip(NEXT) | instid1(VALU_DEP_2)
	v_pk_fma_f32 v[10:11], v[56:57], v[18:19], v[10:11] op_sel_hi:[0,1,1]
	v_dual_mov_b32 v18, v25 :: v_dual_lshlrev_b32 v34, 2, v32
	s_delay_alu instid0(VALU_DEP_2) | instskip(SKIP_1) | instid1(VALU_DEP_3)
	v_pk_fma_f32 v[66:67], v[60:61], v[20:21], v[10:11] op_sel_hi:[0,1,1]
	v_mov_b32_e32 v21, v25
	v_pk_fma_f32 v[14:15], v[50:51], v[18:19], v[16:17] op_sel_hi:[0,1,1]
	v_mov_b32_e32 v18, v29
	global_load_b128 v[10:13], v[8:9], off offset:512
	v_pk_fma_f32 v[22:23], v[50:51], v[20:21], v[14:15] op_sel:[1,0,0]
	v_mov_b32_e32 v21, v29
	global_load_b128 v[14:17], v[8:9], off offset:1072
	v_pk_fma_f32 v[26:27], v[52:53], v[18:19], v[22:23] op_sel_hi:[0,1,1]
	v_mov_b32_e32 v18, v37
	global_load_b128 v[22:25], v[8:9], off offset:1056
	v_pk_fma_f32 v[30:31], v[58:59], v[20:21], v[26:27] op_sel_hi:[0,1,1]
	v_mov_b32_e32 v21, v37
	global_load_b128 v[26:29], v[8:9], off offset:1040
	v_pk_fma_f32 v[30:31], v[54:55], v[18:19], v[30:31] op_sel_hi:[0,1,1]
	v_dual_mov_b32 v18, v33 :: v_dual_ashrrev_i32 v35, 31, v34
	s_delay_alu instid0(VALU_DEP_2) | instskip(SKIP_1) | instid1(VALU_DEP_3)
	v_pk_fma_f32 v[36:37], v[54:55], v[20:21], v[30:31] op_sel:[1,0,0]
	v_mov_b32_e32 v21, v33
	v_lshl_add_u64 v[34:35], v[34:35], 3, s[4:5]
	s_delay_alu instid0(VALU_DEP_3)
	v_pk_fma_f32 v[50:51], v[56:57], v[18:19], v[36:37] op_sel_hi:[0,1,1]
	s_clause 0x1
	global_load_b128 v[30:33], v[34:35], off
	global_load_b128 v[34:37], v[34:35], off offset:16
	v_pk_fma_f32 v[50:51], v[60:61], v[20:21], v[50:51] op_sel_hi:[0,1,1]
	s_wait_loadcnt 0x5
	v_dual_mov_b32 v18, v10 :: v_dual_mov_b32 v21, v10
	s_wait_loadcnt 0x1
	s_delay_alu instid0(VALU_DEP_1) | instskip(SKIP_3) | instid1(VALU_DEP_3)
	v_pk_fma_f32 v[56:57], v[30:31], v[18:19], v[62:63] op_sel_hi:[0,1,1]
	v_dual_mov_b32 v18, v46 :: v_dual_mov_b32 v52, v33
	s_wait_loadcnt 0x0
	v_mov_b32_e32 v54, v37
	v_pk_fma_f32 v[56:57], v[30:31], v[20:21], v[56:57] op_sel:[1,0,0]
	v_mov_b32_e32 v21, v46
	s_delay_alu instid0(VALU_DEP_2) | instskip(SKIP_1) | instid1(VALU_DEP_2)
	v_pk_fma_f32 v[56:57], v[32:33], v[18:19], v[56:57] op_sel_hi:[0,1,1]
	v_mov_b32_e32 v18, v42
	v_pk_fma_f32 v[56:57], v[52:53], v[20:21], v[56:57] op_sel_hi:[0,1,1]
	v_mov_b32_e32 v21, v42
	s_delay_alu instid0(VALU_DEP_2) | instskip(SKIP_1) | instid1(VALU_DEP_2)
	v_pk_fma_f32 v[56:57], v[34:35], v[18:19], v[56:57] op_sel_hi:[0,1,1]
	v_mov_b32_e32 v18, v38
	v_pk_fma_f32 v[56:57], v[34:35], v[20:21], v[56:57] op_sel:[1,0,0]
	v_mov_b32_e32 v21, v38
	s_delay_alu instid0(VALU_DEP_2) | instskip(SKIP_1) | instid1(VALU_DEP_2)
	v_pk_fma_f32 v[56:57], v[36:37], v[18:19], v[56:57] op_sel_hi:[0,1,1]
	v_mov_b32_e32 v18, v11
	v_pk_fma_f32 v[56:57], v[54:55], v[20:21], v[56:57] op_sel_hi:[0,1,1]
	v_mov_b32_e32 v21, v11
	s_delay_alu instid0(VALU_DEP_3) | instskip(SKIP_1) | instid1(VALU_DEP_2)
	v_pk_fma_f32 v[58:59], v[30:31], v[18:19], v[64:65] op_sel_hi:[0,1,1]
	v_mov_b32_e32 v18, v47
	v_pk_fma_f32 v[10:11], v[30:31], v[20:21], v[58:59] op_sel:[1,0,0]
	v_mov_b32_e32 v21, v47
	s_delay_alu instid0(VALU_DEP_2) | instskip(SKIP_1) | instid1(VALU_DEP_2)
	v_pk_fma_f32 v[10:11], v[32:33], v[18:19], v[10:11] op_sel_hi:[0,1,1]
	v_mov_b32_e32 v18, v43
	v_pk_fma_f32 v[10:11], v[52:53], v[20:21], v[10:11] op_sel_hi:[0,1,1]
	v_mov_b32_e32 v21, v43
	s_delay_alu instid0(VALU_DEP_2) | instskip(SKIP_1) | instid1(VALU_DEP_2)
	v_pk_fma_f32 v[10:11], v[34:35], v[18:19], v[10:11] op_sel_hi:[0,1,1]
	v_mov_b32_e32 v18, v39
	v_pk_fma_f32 v[10:11], v[34:35], v[20:21], v[10:11] op_sel:[1,0,0]
	v_mov_b32_e32 v21, v39
	s_delay_alu instid0(VALU_DEP_2) | instskip(SKIP_1) | instid1(VALU_DEP_2)
	v_pk_fma_f32 v[10:11], v[36:37], v[18:19], v[10:11] op_sel_hi:[0,1,1]
	v_mov_b32_e32 v18, v12
	v_pk_fma_f32 v[58:59], v[54:55], v[20:21], v[10:11] op_sel_hi:[0,1,1]
	v_mov_b32_e32 v21, v12
	s_delay_alu instid0(VALU_DEP_3) | instskip(SKIP_1) | instid1(VALU_DEP_2)
	v_pk_fma_f32 v[10:11], v[30:31], v[18:19], v[66:67] op_sel_hi:[0,1,1]
	v_mov_b32_e32 v18, v48
	v_pk_fma_f32 v[10:11], v[30:31], v[20:21], v[10:11] op_sel:[1,0,0]
	v_mov_b32_e32 v21, v48
	s_delay_alu instid0(VALU_DEP_2) | instskip(SKIP_1) | instid1(VALU_DEP_2)
	v_pk_fma_f32 v[10:11], v[32:33], v[18:19], v[10:11] op_sel_hi:[0,1,1]
	v_mov_b32_e32 v18, v44
	v_pk_fma_f32 v[10:11], v[52:53], v[20:21], v[10:11] op_sel_hi:[0,1,1]
	v_mov_b32_e32 v21, v44
	s_delay_alu instid0(VALU_DEP_2) | instskip(SKIP_1) | instid1(VALU_DEP_2)
	v_pk_fma_f32 v[10:11], v[34:35], v[18:19], v[10:11] op_sel_hi:[0,1,1]
	v_mov_b32_e32 v18, v40
	v_pk_fma_f32 v[10:11], v[34:35], v[20:21], v[10:11] op_sel:[1,0,0]
	v_mov_b32_e32 v21, v40
	v_subrev_nc_u32_e32 v40, s12, v69
	s_delay_alu instid0(VALU_DEP_3) | instskip(SKIP_2) | instid1(VALU_DEP_3)
	v_pk_fma_f32 v[10:11], v[36:37], v[18:19], v[10:11] op_sel_hi:[0,1,1]
	v_mov_b32_e32 v18, v13
	v_subrev_nc_u32_e32 v37, s12, v68
	v_pk_fma_f32 v[60:61], v[54:55], v[20:21], v[10:11] op_sel_hi:[0,1,1]
	v_mov_b32_e32 v21, v13
	s_delay_alu instid0(VALU_DEP_4) | instskip(NEXT) | instid1(VALU_DEP_4)
	v_pk_fma_f32 v[38:39], v[30:31], v[18:19], v[50:51] op_sel_hi:[0,1,1]
	v_dual_mov_b32 v18, v49 :: v_dual_lshlrev_b32 v50, 2, v37
	global_load_b128 v[10:13], v[8:9], off offset:1024
	v_pk_fma_f32 v[30:31], v[30:31], v[20:21], v[38:39] op_sel:[1,0,0]
	v_mov_b32_e32 v21, v49
	global_load_b128 v[46:49], v[8:9], off offset:1552
	v_pk_fma_f32 v[38:39], v[32:33], v[18:19], v[30:31] op_sel_hi:[0,1,1]
	v_mov_b32_e32 v18, v45
	global_load_b128 v[30:33], v[8:9], off offset:1536
	v_pk_fma_f32 v[38:39], v[52:53], v[20:21], v[38:39] op_sel_hi:[0,1,1]
	v_dual_lshlrev_b32 v52, 2, v40 :: v_dual_ashrrev_i32 v51, 31, v50
	v_mov_b32_e32 v21, v45
	global_load_b128 v[42:45], v[8:9], off offset:1568
	v_pk_fma_f32 v[38:39], v[34:35], v[18:19], v[38:39] op_sel_hi:[0,1,1]
	v_ashrrev_i32_e32 v53, 31, v52
	v_lshl_add_u64 v[50:51], v[50:51], 3, s[4:5]
	v_mov_b32_e32 v18, v41
	s_delay_alu instid0(VALU_DEP_4)
	v_pk_fma_f32 v[34:35], v[34:35], v[20:21], v[38:39] op_sel:[1,0,0]
	v_mov_b32_e32 v21, v41
	global_load_b128 v[38:41], v[50:51], off
	v_lshl_add_u64 v[62:63], v[52:53], 3, s[4:5]
	v_pk_fma_f32 v[52:53], v[36:37], v[18:19], v[34:35] op_sel_hi:[0,1,1]
	global_load_b128 v[34:37], v[50:51], off offset:16
	v_pk_fma_f32 v[54:55], v[54:55], v[20:21], v[52:53] op_sel_hi:[0,1,1]
	s_wait_loadcnt 0x5
	v_dual_mov_b32 v18, v10 :: v_dual_mov_b32 v21, v10
	s_wait_loadcnt 0x1
	s_wait_xcnt 0x0
	s_delay_alu instid0(VALU_DEP_1) | instskip(SKIP_3) | instid1(VALU_DEP_3)
	v_pk_fma_f32 v[50:51], v[38:39], v[18:19], v[56:57] op_sel_hi:[0,1,1]
	v_dual_mov_b32 v18, v26 :: v_dual_mov_b32 v64, v41
	s_wait_loadcnt 0x0
	v_mov_b32_e32 v66, v37
	v_pk_fma_f32 v[50:51], v[38:39], v[20:21], v[50:51] op_sel:[1,0,0]
	v_mov_b32_e32 v21, v26
	s_delay_alu instid0(VALU_DEP_2) | instskip(SKIP_1) | instid1(VALU_DEP_2)
	v_pk_fma_f32 v[50:51], v[40:41], v[18:19], v[50:51] op_sel_hi:[0,1,1]
	v_mov_b32_e32 v18, v22
	v_pk_fma_f32 v[50:51], v[64:65], v[20:21], v[50:51] op_sel_hi:[0,1,1]
	v_mov_b32_e32 v21, v22
	s_delay_alu instid0(VALU_DEP_2) | instskip(SKIP_1) | instid1(VALU_DEP_2)
	v_pk_fma_f32 v[50:51], v[34:35], v[18:19], v[50:51] op_sel_hi:[0,1,1]
	v_mov_b32_e32 v18, v14
	v_pk_fma_f32 v[50:51], v[34:35], v[20:21], v[50:51] op_sel:[1,0,0]
	v_mov_b32_e32 v21, v14
	s_delay_alu instid0(VALU_DEP_2) | instskip(SKIP_1) | instid1(VALU_DEP_2)
	v_pk_fma_f32 v[50:51], v[36:37], v[18:19], v[50:51] op_sel_hi:[0,1,1]
	v_mov_b32_e32 v18, v11
	v_pk_fma_f32 v[56:57], v[66:67], v[20:21], v[50:51] op_sel_hi:[0,1,1]
	v_mov_b32_e32 v21, v11
	s_delay_alu instid0(VALU_DEP_3) | instskip(SKIP_1) | instid1(VALU_DEP_2)
	v_pk_fma_f32 v[50:51], v[38:39], v[18:19], v[58:59] op_sel_hi:[0,1,1]
	v_mov_b32_e32 v18, v27
	v_pk_fma_f32 v[10:11], v[38:39], v[20:21], v[50:51] op_sel:[1,0,0]
	v_mov_b32_e32 v21, v27
	global_load_b128 v[50:53], v[62:63], off
	v_pk_fma_f32 v[10:11], v[40:41], v[18:19], v[10:11] op_sel_hi:[0,1,1]
	v_mov_b32_e32 v18, v23
	s_delay_alu instid0(VALU_DEP_2) | instskip(SKIP_1) | instid1(VALU_DEP_2)
	v_pk_fma_f32 v[10:11], v[64:65], v[20:21], v[10:11] op_sel_hi:[0,1,1]
	v_mov_b32_e32 v21, v23
	v_pk_fma_f32 v[10:11], v[34:35], v[18:19], v[10:11] op_sel_hi:[0,1,1]
	v_mov_b32_e32 v18, v15
	s_delay_alu instid0(VALU_DEP_2) | instskip(SKIP_1) | instid1(VALU_DEP_2)
	v_pk_fma_f32 v[10:11], v[34:35], v[20:21], v[10:11] op_sel:[1,0,0]
	v_mov_b32_e32 v21, v15
	v_pk_fma_f32 v[10:11], v[36:37], v[18:19], v[10:11] op_sel_hi:[0,1,1]
	v_mov_b32_e32 v18, v12
	s_delay_alu instid0(VALU_DEP_2) | instskip(SKIP_1) | instid1(VALU_DEP_3)
	v_pk_fma_f32 v[14:15], v[66:67], v[20:21], v[10:11] op_sel_hi:[0,1,1]
	v_mov_b32_e32 v21, v12
	v_pk_fma_f32 v[10:11], v[38:39], v[18:19], v[60:61] op_sel_hi:[0,1,1]
	v_mov_b32_e32 v18, v28
	s_delay_alu instid0(VALU_DEP_2) | instskip(SKIP_1) | instid1(VALU_DEP_2)
	v_pk_fma_f32 v[10:11], v[38:39], v[20:21], v[10:11] op_sel:[1,0,0]
	v_mov_b32_e32 v21, v28
	v_pk_fma_f32 v[10:11], v[40:41], v[18:19], v[10:11] op_sel_hi:[0,1,1]
	v_mov_b32_e32 v18, v24
	s_delay_alu instid0(VALU_DEP_2) | instskip(SKIP_1) | instid1(VALU_DEP_2)
	v_pk_fma_f32 v[10:11], v[64:65], v[20:21], v[10:11] op_sel_hi:[0,1,1]
	v_mov_b32_e32 v21, v24
	v_pk_fma_f32 v[10:11], v[34:35], v[18:19], v[10:11] op_sel_hi:[0,1,1]
	v_mov_b32_e32 v18, v16
	s_delay_alu instid0(VALU_DEP_2) | instskip(SKIP_1) | instid1(VALU_DEP_2)
	v_pk_fma_f32 v[10:11], v[34:35], v[20:21], v[10:11] op_sel:[1,0,0]
	v_mov_b32_e32 v21, v16
	v_pk_fma_f32 v[10:11], v[36:37], v[18:19], v[10:11] op_sel_hi:[0,1,1]
	v_mov_b32_e32 v18, v13
	s_delay_alu instid0(VALU_DEP_2) | instskip(SKIP_1) | instid1(VALU_DEP_3)
	v_pk_fma_f32 v[22:23], v[66:67], v[20:21], v[10:11] op_sel_hi:[0,1,1]
	v_mov_b32_e32 v21, v13
	v_pk_fma_f32 v[10:11], v[38:39], v[18:19], v[54:55] op_sel_hi:[0,1,1]
	v_mov_b32_e32 v18, v29
	s_delay_alu instid0(VALU_DEP_2)
	v_pk_fma_f32 v[10:11], v[38:39], v[20:21], v[10:11] op_sel:[1,0,0]
	v_mov_b32_e32 v21, v29
	global_load_b128 v[26:29], v[62:63], off offset:16
	v_pk_fma_f32 v[10:11], v[40:41], v[18:19], v[10:11] op_sel_hi:[0,1,1]
	global_load_b128 v[38:41], v[8:9], off offset:1584
	v_mov_b32_e32 v18, v25
	s_wait_xcnt 0x0
	v_add_nc_u64_e32 v[8:9], 0x800, v[8:9]
	v_pk_fma_f32 v[10:11], v[64:65], v[20:21], v[10:11] op_sel_hi:[0,1,1]
	v_mov_b32_e32 v21, v25
	s_delay_alu instid0(VALU_DEP_2) | instskip(SKIP_1) | instid1(VALU_DEP_2)
	v_pk_fma_f32 v[10:11], v[34:35], v[18:19], v[10:11] op_sel_hi:[0,1,1]
	v_mov_b32_e32 v18, v17
	v_pk_fma_f32 v[10:11], v[34:35], v[20:21], v[10:11] op_sel:[1,0,0]
	v_mov_b32_e32 v21, v17
	s_delay_alu instid0(VALU_DEP_2) | instskip(SKIP_1) | instid1(VALU_DEP_2)
	v_pk_fma_f32 v[10:11], v[36:37], v[18:19], v[10:11] op_sel_hi:[0,1,1]
	v_mov_b32_e32 v18, v30
	v_pk_fma_f32 v[34:35], v[66:67], v[20:21], v[10:11] op_sel_hi:[0,1,1]
	v_mov_b32_e32 v21, v30
	s_wait_loadcnt 0x2
	s_delay_alu instid0(VALU_DEP_3) | instskip(SKIP_1) | instid1(VALU_DEP_2)
	v_pk_fma_f32 v[10:11], v[50:51], v[18:19], v[56:57] op_sel_hi:[0,1,1]
	v_dual_mov_b32 v18, v46 :: v_dual_mov_b32 v16, v53
	v_pk_fma_f32 v[10:11], v[50:51], v[20:21], v[10:11] op_sel:[1,0,0]
	v_mov_b32_e32 v21, v46
	s_delay_alu instid0(VALU_DEP_2) | instskip(SKIP_2) | instid1(VALU_DEP_2)
	v_pk_fma_f32 v[10:11], v[52:53], v[18:19], v[10:11] op_sel_hi:[0,1,1]
	s_wait_loadcnt 0x1
	v_dual_mov_b32 v18, v42 :: v_dual_mov_b32 v24, v29
	v_pk_fma_f32 v[10:11], v[16:17], v[20:21], v[10:11] op_sel_hi:[0,1,1]
	v_mov_b32_e32 v21, v42
	s_delay_alu instid0(VALU_DEP_2) | instskip(SKIP_2) | instid1(VALU_DEP_2)
	v_pk_fma_f32 v[10:11], v[26:27], v[18:19], v[10:11] op_sel_hi:[0,1,1]
	s_wait_loadcnt 0x0
	v_mov_b32_e32 v18, v38
	v_pk_fma_f32 v[10:11], v[26:27], v[20:21], v[10:11] op_sel:[1,0,0]
	v_mov_b32_e32 v21, v38
	s_delay_alu instid0(VALU_DEP_2) | instskip(SKIP_1) | instid1(VALU_DEP_2)
	v_pk_fma_f32 v[10:11], v[28:29], v[18:19], v[10:11] op_sel_hi:[0,1,1]
	v_mov_b32_e32 v18, v31
	v_pk_fma_f32 v[10:11], v[24:25], v[20:21], v[10:11] op_sel_hi:[0,1,1]
	v_mov_b32_e32 v21, v31
	s_delay_alu instid0(VALU_DEP_3) | instskip(SKIP_1) | instid1(VALU_DEP_2)
	v_pk_fma_f32 v[12:13], v[50:51], v[18:19], v[14:15] op_sel_hi:[0,1,1]
	v_mov_b32_e32 v18, v47
	v_pk_fma_f32 v[12:13], v[50:51], v[20:21], v[12:13] op_sel:[1,0,0]
	v_mov_b32_e32 v21, v47
	s_delay_alu instid0(VALU_DEP_2) | instskip(SKIP_1) | instid1(VALU_DEP_2)
	v_pk_fma_f32 v[12:13], v[52:53], v[18:19], v[12:13] op_sel_hi:[0,1,1]
	v_mov_b32_e32 v18, v43
	v_pk_fma_f32 v[12:13], v[16:17], v[20:21], v[12:13] op_sel_hi:[0,1,1]
	v_mov_b32_e32 v21, v43
	s_delay_alu instid0(VALU_DEP_2) | instskip(SKIP_1) | instid1(VALU_DEP_2)
	v_pk_fma_f32 v[12:13], v[26:27], v[18:19], v[12:13] op_sel_hi:[0,1,1]
	v_mov_b32_e32 v18, v39
	v_pk_fma_f32 v[12:13], v[26:27], v[20:21], v[12:13] op_sel:[1,0,0]
	v_mov_b32_e32 v21, v39
	s_delay_alu instid0(VALU_DEP_2) | instskip(SKIP_1) | instid1(VALU_DEP_2)
	v_pk_fma_f32 v[12:13], v[28:29], v[18:19], v[12:13] op_sel_hi:[0,1,1]
	v_mov_b32_e32 v18, v32
	v_pk_fma_f32 v[12:13], v[24:25], v[20:21], v[12:13] op_sel_hi:[0,1,1]
	v_mov_b32_e32 v21, v32
	s_delay_alu instid0(VALU_DEP_3) | instskip(SKIP_1) | instid1(VALU_DEP_2)
	v_pk_fma_f32 v[14:15], v[50:51], v[18:19], v[22:23] op_sel_hi:[0,1,1]
	v_mov_b32_e32 v18, v48
	v_pk_fma_f32 v[14:15], v[50:51], v[20:21], v[14:15] op_sel:[1,0,0]
	v_mov_b32_e32 v21, v48
	s_delay_alu instid0(VALU_DEP_2) | instskip(SKIP_1) | instid1(VALU_DEP_2)
	v_pk_fma_f32 v[14:15], v[52:53], v[18:19], v[14:15] op_sel_hi:[0,1,1]
	v_mov_b32_e32 v18, v44
	v_pk_fma_f32 v[14:15], v[16:17], v[20:21], v[14:15] op_sel_hi:[0,1,1]
	v_mov_b32_e32 v21, v44
	s_delay_alu instid0(VALU_DEP_2) | instskip(SKIP_1) | instid1(VALU_DEP_2)
	v_pk_fma_f32 v[14:15], v[26:27], v[18:19], v[14:15] op_sel_hi:[0,1,1]
	v_mov_b32_e32 v18, v40
	v_pk_fma_f32 v[14:15], v[26:27], v[20:21], v[14:15] op_sel:[1,0,0]
	v_mov_b32_e32 v21, v40
	s_delay_alu instid0(VALU_DEP_2) | instskip(SKIP_1) | instid1(VALU_DEP_2)
	v_pk_fma_f32 v[14:15], v[28:29], v[18:19], v[14:15] op_sel_hi:[0,1,1]
	v_mov_b32_e32 v18, v33
	v_pk_fma_f32 v[14:15], v[24:25], v[20:21], v[14:15] op_sel_hi:[0,1,1]
	v_mov_b32_e32 v21, v33
	s_delay_alu instid0(VALU_DEP_3) | instskip(SKIP_1) | instid1(VALU_DEP_2)
	v_pk_fma_f32 v[22:23], v[50:51], v[18:19], v[34:35] op_sel_hi:[0,1,1]
	v_mov_b32_e32 v18, v49
	v_pk_fma_f32 v[22:23], v[50:51], v[20:21], v[22:23] op_sel:[1,0,0]
	v_mov_b32_e32 v21, v49
	s_delay_alu instid0(VALU_DEP_2) | instskip(SKIP_1) | instid1(VALU_DEP_2)
	v_pk_fma_f32 v[22:23], v[52:53], v[18:19], v[22:23] op_sel_hi:[0,1,1]
	v_mov_b32_e32 v18, v45
	v_pk_fma_f32 v[16:17], v[16:17], v[20:21], v[22:23] op_sel_hi:[0,1,1]
	v_mov_b32_e32 v21, v45
	s_delay_alu instid0(VALU_DEP_2) | instskip(SKIP_1) | instid1(VALU_DEP_2)
	v_pk_fma_f32 v[16:17], v[26:27], v[18:19], v[16:17] op_sel_hi:[0,1,1]
	v_mov_b32_e32 v18, v41
	v_pk_fma_f32 v[16:17], v[26:27], v[20:21], v[16:17] op_sel:[1,0,0]
	v_mov_b32_e32 v21, v41
	s_delay_alu instid0(VALU_DEP_2) | instskip(NEXT) | instid1(VALU_DEP_1)
	v_pk_fma_f32 v[16:17], v[28:29], v[18:19], v[16:17] op_sel_hi:[0,1,1]
	v_pk_fma_f32 v[16:17], v[24:25], v[20:21], v[16:17] op_sel_hi:[0,1,1]
	s_and_not1_b32 exec_lo, exec_lo, s7
	s_cbranch_execnz .LBB121_29
; %bb.30:
	s_or_b32 exec_lo, exec_lo, s7
.LBB121_31:
	s_delay_alu instid0(SALU_CYCLE_1)
	s_or_b32 exec_lo, exec_lo, s3
.LBB121_32:
	s_delay_alu instid0(SALU_CYCLE_1)
	s_or_b32 exec_lo, exec_lo, s6
.LBB121_33:
	v_mbcnt_lo_u32_b32 v0, -1, 0
	s_delay_alu instid0(VALU_DEP_1) | instskip(SKIP_1) | instid1(VALU_DEP_1)
	v_xor_b32_e32 v23, 2, v0
	v_xor_b32_e32 v1, 4, v0
	v_cmp_gt_i32_e32 vcc_lo, 32, v1
	v_cndmask_b32_e32 v1, v0, v1, vcc_lo
	s_delay_alu instid0(VALU_DEP_4) | instskip(SKIP_1) | instid1(VALU_DEP_1)
	v_cmp_gt_i32_e32 vcc_lo, 32, v23
	v_cndmask_b32_e32 v23, v0, v23, vcc_lo
	v_dual_lshlrev_b32 v23, 2, v23 :: v_dual_lshlrev_b32 v1, 2, v1
	ds_bpermute_b32 v8, v1, v10
	s_wait_dscnt 0x0
	v_add_f32_e32 v8, v10, v8
	ds_bpermute_b32 v9, v1, v11
	ds_bpermute_b32 v18, v1, v12
	;; [unrolled: 1-line block ×7, first 2 shown]
	s_wait_dscnt 0x5
	v_dual_add_f32 v9, v11, v9 :: v_dual_add_f32 v10, v12, v18
	s_wait_dscnt 0x3
	v_dual_add_f32 v11, v13, v19 :: v_dual_add_f32 v12, v14, v20
	;; [unrolled: 2-line block ×3, first 2 shown]
	s_wait_dscnt 0x0
	v_add_f32_e32 v15, v17, v1
	ds_bpermute_b32 v1, v23, v8
	ds_bpermute_b32 v16, v23, v9
	;; [unrolled: 1-line block ×8, first 2 shown]
	v_xor_b32_e32 v23, 1, v0
	s_delay_alu instid0(VALU_DEP_1) | instskip(SKIP_3) | instid1(VALU_DEP_2)
	v_cmp_gt_i32_e32 vcc_lo, 32, v23
	v_cndmask_b32_e32 v0, v0, v23, vcc_lo
	v_cmp_eq_u32_e32 vcc_lo, 7, v7
	s_wait_dscnt 0x7
	v_dual_add_f32 v0, v8, v1 :: v_dual_lshlrev_b32 v23, 2, v0
	s_wait_dscnt 0x5
	v_dual_add_f32 v1, v9, v16 :: v_dual_add_f32 v8, v10, v17
	s_wait_dscnt 0x3
	v_dual_add_f32 v9, v11, v18 :: v_dual_add_f32 v10, v12, v19
	;; [unrolled: 2-line block ×3, first 2 shown]
	s_wait_dscnt 0x0
	v_add_f32_e32 v13, v15, v22
	ds_bpermute_b32 v14, v23, v0
	ds_bpermute_b32 v15, v23, v1
	ds_bpermute_b32 v16, v23, v8
	ds_bpermute_b32 v17, v23, v9
	ds_bpermute_b32 v18, v23, v10
	ds_bpermute_b32 v19, v23, v11
	ds_bpermute_b32 v21, v23, v12
	ds_bpermute_b32 v23, v23, v13
	s_and_b32 exec_lo, exec_lo, vcc_lo
	s_cbranch_execz .LBB121_6
; %bb.34:
	s_load_b64 s[0:1], s[0:1], 0x50
	v_cmp_eq_f32_e32 vcc_lo, 0, v4
	s_wait_dscnt 0x6
	v_dual_add_f32 v0, v0, v14 :: v_dual_add_f32 v22, v1, v15
	s_wait_dscnt 0x4
	v_dual_add_f32 v8, v8, v16 :: v_dual_add_f32 v20, v9, v17
	;; [unrolled: 2-line block ×4, first 2 shown]
	v_xor_b32_e32 v18, 0x80000000, v3
	v_lshlrev_b32_e32 v6, 2, v6
	s_xor_b32 s2, s2, -1
	s_delay_alu instid0(SALU_CYCLE_1) | instskip(NEXT) | instid1(SALU_CYCLE_1)
	s_and_b32 s2, vcc_lo, s2
	s_and_saveexec_b32 s3, s2
	s_delay_alu instid0(SALU_CYCLE_1)
	s_xor_b32 s2, exec_lo, s3
	s_cbranch_execz .LBB121_36
; %bb.35:
	v_dual_mov_b32 v19, v2 :: v_dual_ashrrev_i32 v7, 31, v6
	s_delay_alu instid0(VALU_DEP_1)
	v_pk_mul_f32 v[4:5], v[22:23], v[18:19] op_sel_hi:[0,1]
	v_pk_mul_f32 v[20:21], v[20:21], v[18:19] op_sel_hi:[0,1]
	;; [unrolled: 1-line block ×4, first 2 shown]
	s_wait_kmcnt 0x0
	v_lshl_add_u64 v[18:19], v[6:7], 3, s[0:1]
	v_pk_fma_f32 v[4:5], v[2:3], v[0:1], v[4:5] op_sel_hi:[1,0,1]
	v_pk_fma_f32 v[6:7], v[2:3], v[8:9], v[20:21] op_sel_hi:[1,0,1]
	;; [unrolled: 1-line block ×4, first 2 shown]
                                        ; implicit-def: $vgpr22
                                        ; implicit-def: $vgpr8
                                        ; implicit-def: $vgpr20
                                        ; implicit-def: $vgpr10
                                        ; implicit-def: $vgpr16
                                        ; implicit-def: $vgpr12
                                        ; implicit-def: $vgpr14
	s_clause 0x1
	global_store_b128 v[18:19], v[4:7], off
	global_store_b128 v[18:19], v[0:3], off offset:16
                                        ; implicit-def: $vgpr0
                                        ; implicit-def: $vgpr2_vgpr3
                                        ; implicit-def: $vgpr4_vgpr5
                                        ; implicit-def: $vgpr18
                                        ; implicit-def: $vgpr6
.LBB121_36:
	s_wait_xcnt 0x0
	s_and_not1_saveexec_b32 s2, s2
	s_cbranch_execz .LBB121_6
; %bb.37:
	v_dual_ashrrev_i32 v7, 31, v6 :: v_dual_mov_b32 v19, v2
	s_wait_kmcnt 0x0
	s_delay_alu instid0(VALU_DEP_1) | instskip(NEXT) | instid1(VALU_DEP_2)
	v_lshl_add_u64 v[32:33], v[6:7], 3, s[0:1]
	v_pk_mul_f32 v[6:7], v[22:23], v[18:19] op_sel_hi:[0,1]
	v_pk_mul_f32 v[20:21], v[20:21], v[18:19] op_sel_hi:[0,1]
	;; [unrolled: 1-line block ×4, first 2 shown]
	s_clause 0x1
	global_load_b128 v[24:27], v[32:33], off
	global_load_b128 v[28:31], v[32:33], off offset:16
	v_pk_fma_f32 v[0:1], v[2:3], v[0:1], v[6:7] op_sel_hi:[1,0,1]
	v_pk_fma_f32 v[6:7], v[2:3], v[8:9], v[20:21] op_sel_hi:[1,0,1]
	v_pk_fma_f32 v[8:9], v[2:3], v[10:11], v[16:17] op_sel_hi:[1,0,1]
	v_pk_fma_f32 v[2:3], v[2:3], v[12:13], v[14:15] op_sel_hi:[1,0,1]
	v_xor_b32_e32 v22, 0x80000000, v5
	s_wait_loadcnt 0x1
	v_dual_mov_b32 v23, v4 :: v_dual_mov_b32 v10, v27
	v_pk_fma_f32 v[0:1], v[4:5], v[24:25], v[0:1] op_sel_hi:[1,0,1]
	v_pk_fma_f32 v[6:7], v[4:5], v[26:27], v[6:7] op_sel_hi:[1,0,1]
	s_wait_loadcnt 0x0
	v_pk_fma_f32 v[8:9], v[4:5], v[28:29], v[8:9] op_sel_hi:[1,0,1]
	v_pk_fma_f32 v[12:13], v[4:5], v[30:31], v[2:3] op_sel_hi:[1,0,1]
	v_mov_b32_e32 v14, v31
	v_pk_fma_f32 v[0:1], v[22:23], v[24:25], v[0:1] op_sel:[0,1,0]
	v_pk_fma_f32 v[2:3], v[22:23], v[10:11], v[6:7] op_sel_hi:[1,0,1]
	v_pk_fma_f32 v[4:5], v[22:23], v[28:29], v[8:9] op_sel:[0,1,0]
	s_delay_alu instid0(VALU_DEP_4)
	v_pk_fma_f32 v[6:7], v[22:23], v[14:15], v[12:13] op_sel_hi:[1,0,1]
	s_clause 0x1
	global_store_b128 v[32:33], v[0:3], off
	global_store_b128 v[32:33], v[4:7], off offset:16
	s_sendmsg sendmsg(MSG_DEALLOC_VGPRS)
	s_endpgm
	.section	.rodata,"a",@progbits
	.p2align	6, 0x0
	.amdhsa_kernel _ZN9rocsparseL18bsrxmvn_4x4_kernelILj128ELj8E21rocsparse_complex_numIfEiifS2_S2_EEvT3_20rocsparse_direction_NS_24const_host_device_scalarIT1_EES3_PKS3_PKT2_SC_S9_PKT4_PKT5_S7_PT6_21rocsparse_index_base_b
		.amdhsa_group_segment_fixed_size 0
		.amdhsa_private_segment_fixed_size 0
		.amdhsa_kernarg_size 96
		.amdhsa_user_sgpr_count 2
		.amdhsa_user_sgpr_dispatch_ptr 0
		.amdhsa_user_sgpr_queue_ptr 0
		.amdhsa_user_sgpr_kernarg_segment_ptr 1
		.amdhsa_user_sgpr_dispatch_id 0
		.amdhsa_user_sgpr_kernarg_preload_length 0
		.amdhsa_user_sgpr_kernarg_preload_offset 0
		.amdhsa_user_sgpr_private_segment_size 0
		.amdhsa_wavefront_size32 1
		.amdhsa_uses_dynamic_stack 0
		.amdhsa_enable_private_segment 0
		.amdhsa_system_sgpr_workgroup_id_x 1
		.amdhsa_system_sgpr_workgroup_id_y 0
		.amdhsa_system_sgpr_workgroup_id_z 0
		.amdhsa_system_sgpr_workgroup_info 0
		.amdhsa_system_vgpr_workitem_id 0
		.amdhsa_next_free_vgpr 74
		.amdhsa_next_free_sgpr 16
		.amdhsa_named_barrier_count 0
		.amdhsa_reserve_vcc 1
		.amdhsa_float_round_mode_32 0
		.amdhsa_float_round_mode_16_64 0
		.amdhsa_float_denorm_mode_32 3
		.amdhsa_float_denorm_mode_16_64 3
		.amdhsa_fp16_overflow 0
		.amdhsa_memory_ordered 1
		.amdhsa_forward_progress 1
		.amdhsa_inst_pref_size 63
		.amdhsa_round_robin_scheduling 0
		.amdhsa_exception_fp_ieee_invalid_op 0
		.amdhsa_exception_fp_denorm_src 0
		.amdhsa_exception_fp_ieee_div_zero 0
		.amdhsa_exception_fp_ieee_overflow 0
		.amdhsa_exception_fp_ieee_underflow 0
		.amdhsa_exception_fp_ieee_inexact 0
		.amdhsa_exception_int_div_zero 0
	.end_amdhsa_kernel
	.section	.text._ZN9rocsparseL18bsrxmvn_4x4_kernelILj128ELj8E21rocsparse_complex_numIfEiifS2_S2_EEvT3_20rocsparse_direction_NS_24const_host_device_scalarIT1_EES3_PKS3_PKT2_SC_S9_PKT4_PKT5_S7_PT6_21rocsparse_index_base_b,"axG",@progbits,_ZN9rocsparseL18bsrxmvn_4x4_kernelILj128ELj8E21rocsparse_complex_numIfEiifS2_S2_EEvT3_20rocsparse_direction_NS_24const_host_device_scalarIT1_EES3_PKS3_PKT2_SC_S9_PKT4_PKT5_S7_PT6_21rocsparse_index_base_b,comdat
.Lfunc_end121:
	.size	_ZN9rocsparseL18bsrxmvn_4x4_kernelILj128ELj8E21rocsparse_complex_numIfEiifS2_S2_EEvT3_20rocsparse_direction_NS_24const_host_device_scalarIT1_EES3_PKS3_PKT2_SC_S9_PKT4_PKT5_S7_PT6_21rocsparse_index_base_b, .Lfunc_end121-_ZN9rocsparseL18bsrxmvn_4x4_kernelILj128ELj8E21rocsparse_complex_numIfEiifS2_S2_EEvT3_20rocsparse_direction_NS_24const_host_device_scalarIT1_EES3_PKS3_PKT2_SC_S9_PKT4_PKT5_S7_PT6_21rocsparse_index_base_b
                                        ; -- End function
	.set _ZN9rocsparseL18bsrxmvn_4x4_kernelILj128ELj8E21rocsparse_complex_numIfEiifS2_S2_EEvT3_20rocsparse_direction_NS_24const_host_device_scalarIT1_EES3_PKS3_PKT2_SC_S9_PKT4_PKT5_S7_PT6_21rocsparse_index_base_b.num_vgpr, 74
	.set _ZN9rocsparseL18bsrxmvn_4x4_kernelILj128ELj8E21rocsparse_complex_numIfEiifS2_S2_EEvT3_20rocsparse_direction_NS_24const_host_device_scalarIT1_EES3_PKS3_PKT2_SC_S9_PKT4_PKT5_S7_PT6_21rocsparse_index_base_b.num_agpr, 0
	.set _ZN9rocsparseL18bsrxmvn_4x4_kernelILj128ELj8E21rocsparse_complex_numIfEiifS2_S2_EEvT3_20rocsparse_direction_NS_24const_host_device_scalarIT1_EES3_PKS3_PKT2_SC_S9_PKT4_PKT5_S7_PT6_21rocsparse_index_base_b.numbered_sgpr, 16
	.set _ZN9rocsparseL18bsrxmvn_4x4_kernelILj128ELj8E21rocsparse_complex_numIfEiifS2_S2_EEvT3_20rocsparse_direction_NS_24const_host_device_scalarIT1_EES3_PKS3_PKT2_SC_S9_PKT4_PKT5_S7_PT6_21rocsparse_index_base_b.num_named_barrier, 0
	.set _ZN9rocsparseL18bsrxmvn_4x4_kernelILj128ELj8E21rocsparse_complex_numIfEiifS2_S2_EEvT3_20rocsparse_direction_NS_24const_host_device_scalarIT1_EES3_PKS3_PKT2_SC_S9_PKT4_PKT5_S7_PT6_21rocsparse_index_base_b.private_seg_size, 0
	.set _ZN9rocsparseL18bsrxmvn_4x4_kernelILj128ELj8E21rocsparse_complex_numIfEiifS2_S2_EEvT3_20rocsparse_direction_NS_24const_host_device_scalarIT1_EES3_PKS3_PKT2_SC_S9_PKT4_PKT5_S7_PT6_21rocsparse_index_base_b.uses_vcc, 1
	.set _ZN9rocsparseL18bsrxmvn_4x4_kernelILj128ELj8E21rocsparse_complex_numIfEiifS2_S2_EEvT3_20rocsparse_direction_NS_24const_host_device_scalarIT1_EES3_PKS3_PKT2_SC_S9_PKT4_PKT5_S7_PT6_21rocsparse_index_base_b.uses_flat_scratch, 1
	.set _ZN9rocsparseL18bsrxmvn_4x4_kernelILj128ELj8E21rocsparse_complex_numIfEiifS2_S2_EEvT3_20rocsparse_direction_NS_24const_host_device_scalarIT1_EES3_PKS3_PKT2_SC_S9_PKT4_PKT5_S7_PT6_21rocsparse_index_base_b.has_dyn_sized_stack, 0
	.set _ZN9rocsparseL18bsrxmvn_4x4_kernelILj128ELj8E21rocsparse_complex_numIfEiifS2_S2_EEvT3_20rocsparse_direction_NS_24const_host_device_scalarIT1_EES3_PKS3_PKT2_SC_S9_PKT4_PKT5_S7_PT6_21rocsparse_index_base_b.has_recursion, 0
	.set _ZN9rocsparseL18bsrxmvn_4x4_kernelILj128ELj8E21rocsparse_complex_numIfEiifS2_S2_EEvT3_20rocsparse_direction_NS_24const_host_device_scalarIT1_EES3_PKS3_PKT2_SC_S9_PKT4_PKT5_S7_PT6_21rocsparse_index_base_b.has_indirect_call, 0
	.section	.AMDGPU.csdata,"",@progbits
; Kernel info:
; codeLenInByte = 8024
; TotalNumSgprs: 18
; NumVgprs: 74
; ScratchSize: 0
; MemoryBound: 0
; FloatMode: 240
; IeeeMode: 1
; LDSByteSize: 0 bytes/workgroup (compile time only)
; SGPRBlocks: 0
; VGPRBlocks: 4
; NumSGPRsForWavesPerEU: 18
; NumVGPRsForWavesPerEU: 74
; NamedBarCnt: 0
; Occupancy: 12
; WaveLimiterHint : 1
; COMPUTE_PGM_RSRC2:SCRATCH_EN: 0
; COMPUTE_PGM_RSRC2:USER_SGPR: 2
; COMPUTE_PGM_RSRC2:TRAP_HANDLER: 0
; COMPUTE_PGM_RSRC2:TGID_X_EN: 1
; COMPUTE_PGM_RSRC2:TGID_Y_EN: 0
; COMPUTE_PGM_RSRC2:TGID_Z_EN: 0
; COMPUTE_PGM_RSRC2:TIDIG_COMP_CNT: 0
	.section	.text._ZN9rocsparseL18bsrxmvn_4x4_kernelILj128ELj16E21rocsparse_complex_numIfEiifS2_S2_EEvT3_20rocsparse_direction_NS_24const_host_device_scalarIT1_EES3_PKS3_PKT2_SC_S9_PKT4_PKT5_S7_PT6_21rocsparse_index_base_b,"axG",@progbits,_ZN9rocsparseL18bsrxmvn_4x4_kernelILj128ELj16E21rocsparse_complex_numIfEiifS2_S2_EEvT3_20rocsparse_direction_NS_24const_host_device_scalarIT1_EES3_PKS3_PKT2_SC_S9_PKT4_PKT5_S7_PT6_21rocsparse_index_base_b,comdat
	.globl	_ZN9rocsparseL18bsrxmvn_4x4_kernelILj128ELj16E21rocsparse_complex_numIfEiifS2_S2_EEvT3_20rocsparse_direction_NS_24const_host_device_scalarIT1_EES3_PKS3_PKT2_SC_S9_PKT4_PKT5_S7_PT6_21rocsparse_index_base_b ; -- Begin function _ZN9rocsparseL18bsrxmvn_4x4_kernelILj128ELj16E21rocsparse_complex_numIfEiifS2_S2_EEvT3_20rocsparse_direction_NS_24const_host_device_scalarIT1_EES3_PKS3_PKT2_SC_S9_PKT4_PKT5_S7_PT6_21rocsparse_index_base_b
	.p2align	8
	.type	_ZN9rocsparseL18bsrxmvn_4x4_kernelILj128ELj16E21rocsparse_complex_numIfEiifS2_S2_EEvT3_20rocsparse_direction_NS_24const_host_device_scalarIT1_EES3_PKS3_PKT2_SC_S9_PKT4_PKT5_S7_PT6_21rocsparse_index_base_b,@function
_ZN9rocsparseL18bsrxmvn_4x4_kernelILj128ELj16E21rocsparse_complex_numIfEiifS2_S2_EEvT3_20rocsparse_direction_NS_24const_host_device_scalarIT1_EES3_PKS3_PKT2_SC_S9_PKT4_PKT5_S7_PT6_21rocsparse_index_base_b: ; @_ZN9rocsparseL18bsrxmvn_4x4_kernelILj128ELj16E21rocsparse_complex_numIfEiifS2_S2_EEvT3_20rocsparse_direction_NS_24const_host_device_scalarIT1_EES3_PKS3_PKT2_SC_S9_PKT4_PKT5_S7_PT6_21rocsparse_index_base_b
; %bb.0:
	s_clause 0x2
	s_load_b64 s[12:13], s[0:1], 0x58
	s_load_b64 s[2:3], s[0:1], 0x8
	;; [unrolled: 1-line block ×3, first 2 shown]
	v_mov_b32_e32 v1, 0
	s_add_nc_u64 s[6:7], s[0:1], 8
	s_add_nc_u64 s[8:9], s[0:1], 0x48
	s_wait_kmcnt 0x0
	s_bitcmp1_b32 s13, 0
	s_cselect_b32 s3, s7, s3
	s_cselect_b32 s2, s6, s2
	;; [unrolled: 1-line block ×4, first 2 shown]
	s_clause 0x1
	flat_load_b64 v[2:3], v1, s[2:3]
	flat_load_b64 v[4:5], v1, s[4:5]
	s_wait_loadcnt_dscnt 0x101
	v_cmp_neq_f32_e32 vcc_lo, 0, v2
	v_cmp_neq_f32_e64 s3, 0, v3
	s_wait_loadcnt_dscnt 0x0
	v_cmp_neq_f32_e64 s4, 1.0, v4
	v_cmp_neq_f32_e64 s2, 0, v5
	s_or_b32 s5, vcc_lo, s3
	s_mov_b32 s3, 0
	s_or_b32 s4, s4, s2
	s_delay_alu instid0(SALU_CYCLE_1) | instskip(NEXT) | instid1(SALU_CYCLE_1)
	s_or_b32 s4, s5, s4
	s_and_saveexec_b32 s5, s4
	s_cbranch_execz .LBB122_6
; %bb.1:
	s_clause 0x1
	s_load_b64 s[4:5], s[0:1], 0x18
	s_load_b64 s[14:15], s[0:1], 0x0
	s_bfe_u32 s6, ttmp6, 0x4000c
	s_and_b32 s7, ttmp6, 15
	s_add_co_i32 s6, s6, 1
	s_getreg_b32 s8, hwreg(HW_REG_IB_STS2, 6, 4)
	s_mul_i32 s6, ttmp9, s6
	v_lshrrev_b32_e32 v1, 4, v0
	s_add_co_i32 s7, s7, s6
	s_cmp_eq_u32 s8, 0
	s_cselect_b32 s6, ttmp9, s7
	s_delay_alu instid0(VALU_DEP_1) | instid1(SALU_CYCLE_1)
	v_lshl_or_b32 v6, s6, 3, v1
	s_wait_kmcnt 0x0
	s_cmp_lg_u64 s[4:5], 0
	s_cbranch_scc0 .LBB122_7
; %bb.2:
	s_load_b32 s3, s[0:1], 0x10
	s_mov_b32 s6, 0
                                        ; implicit-def: $vgpr1
	s_wait_kmcnt 0x0
	v_cmp_gt_i32_e32 vcc_lo, s3, v6
	s_mov_b32 s3, 0
	s_and_saveexec_b32 s7, vcc_lo
	s_delay_alu instid0(SALU_CYCLE_1)
	s_xor_b32 s7, exec_lo, s7
	s_cbranch_execz .LBB122_4
; %bb.3:
	global_load_b32 v1, v6, s[4:5] scale_offset
	s_mov_b32 s3, exec_lo
	s_wait_loadcnt 0x0
	v_subrev_nc_u32_e32 v1, s12, v1
.LBB122_4:
	s_or_b32 exec_lo, exec_lo, s7
	s_delay_alu instid0(SALU_CYCLE_1)
	s_and_b32 vcc_lo, exec_lo, s6
	s_cbranch_vccz .LBB122_8
.LBB122_5:
	v_cmp_gt_i32_e32 vcc_lo, s14, v6
	s_and_not1_b32 s3, s3, exec_lo
	s_and_b32 s4, vcc_lo, exec_lo
	s_delay_alu instid0(SALU_CYCLE_1) | instskip(NEXT) | instid1(SALU_CYCLE_1)
	s_or_b32 s3, s3, s4
	s_and_b32 exec_lo, exec_lo, s3
	s_cbranch_execnz .LBB122_9
.LBB122_6:
	s_sendmsg sendmsg(MSG_DEALLOC_VGPRS)
	s_endpgm
.LBB122_7:
                                        ; implicit-def: $vgpr1
	s_cbranch_execnz .LBB122_5
.LBB122_8:
	s_delay_alu instid0(VALU_DEP_1)
	v_mov_b32_e32 v6, v1
	s_and_b32 exec_lo, exec_lo, s3
	s_cbranch_execz .LBB122_6
.LBB122_9:
	s_load_b256 s[4:11], s[0:1], 0x20
	s_wait_kmcnt 0x0
	s_cmp_eq_u64 s[6:7], 0
	global_load_b32 v24, v6, s[4:5] scale_offset
	s_cselect_b32 vcc_lo, -1, 0
	v_ashrrev_i32_e32 v7, 31, v6
	s_cmp_eq_u32 s15, 1
	s_delay_alu instid0(VALU_DEP_1) | instskip(SKIP_1) | instid1(VALU_DEP_2)
	v_lshlrev_b64_e32 v[8:9], 2, v[6:7]
	v_and_b32_e32 v7, 15, v0
	v_add_nc_u64_e32 v[10:11], s[4:5], v[8:9]
	v_add_nc_u64_e32 v[8:9], s[6:7], v[8:9]
	s_wait_xcnt 0x0
	s_load_b64 s[4:5], s[0:1], 0x40
	s_delay_alu instid0(VALU_DEP_2) | instskip(NEXT) | instid1(VALU_DEP_1)
	v_add_nc_u64_e32 v[10:11], 4, v[10:11]
	v_dual_cndmask_b32 v9, v9, v11 :: v_dual_cndmask_b32 v8, v8, v10
	global_load_b32 v10, v[8:9], off
	s_wait_loadcnt 0x1
	v_subrev_nc_u32_e32 v0, s12, v24
	s_delay_alu instid0(VALU_DEP_1) | instskip(NEXT) | instid1(VALU_DEP_1)
	v_add_nc_u32_e32 v0, v0, v7
	v_ashrrev_i32_e32 v1, 31, v0
	s_wait_xcnt 0x0
	s_delay_alu instid0(VALU_DEP_1) | instskip(NEXT) | instid1(VALU_DEP_1)
	v_lshlrev_b64_e32 v[8:9], 6, v[0:1]
	v_add_nc_u64_e32 v[8:9], s[10:11], v[8:9]
	s_wait_loadcnt 0x0
	v_subrev_nc_u32_e32 v1, s12, v10
	s_delay_alu instid0(VALU_DEP_1)
	v_cmp_lt_i32_e64 s3, v0, v1
	s_cbranch_scc1 .LBB122_21
; %bb.10:
	v_dual_mov_b32 v11, 0 :: v_dual_mov_b32 v10, 0
	v_dual_mov_b32 v13, 0 :: v_dual_mov_b32 v12, 0
	;; [unrolled: 1-line block ×4, first 2 shown]
	s_and_saveexec_b32 s6, s3
	s_cbranch_execz .LBB122_20
; %bb.11:
	v_add_nc_u32_e32 v10, v24, v7
	v_not_b32_e32 v11, v24
	v_mov_b64_e32 v[12:13], 0
	v_mov_b64_e32 v[14:15], 0
	;; [unrolled: 1-line block ×3, first 2 shown]
	v_subrev_nc_u32_e32 v10, s12, v10
	v_mov_b64_e32 v[18:19], v[8:9]
	s_mov_b32 s7, exec_lo
	v_mov_b32_e32 v25, v0
	s_delay_alu instid0(VALU_DEP_3) | instskip(NEXT) | instid1(VALU_DEP_1)
	v_add_max_i32_e64 v10, v10, 16, v1
	v_add3_u32 v10, s12, v10, v11
	s_delay_alu instid0(VALU_DEP_1) | instskip(SKIP_1) | instid1(VALU_DEP_2)
	v_sub_nc_u32_e32 v26, v10, v7
	v_mov_b64_e32 v[10:11], 0
	v_and_b32_e32 v20, 48, v26
	s_delay_alu instid0(VALU_DEP_1)
	v_cmpx_ne_u32_e32 48, v20
	s_cbranch_execz .LBB122_15
; %bb.12:
	v_dual_mov_b32 v21, 0 :: v_dual_lshrrev_b32 v10, 4, v26
	v_mov_b32_e32 v25, v0
	v_mov_b64_e32 v[18:19], v[8:9]
	v_bfrev_b32_e32 v22, 1
	s_delay_alu instid0(VALU_DEP_4) | instskip(SKIP_2) | instid1(VALU_DEP_3)
	v_dual_add_nc_u32 v10, 1, v10 :: v_dual_mov_b32 v14, v21
	v_dual_mov_b32 v16, v21 :: v_dual_mov_b32 v17, v21
	v_dual_mov_b32 v15, v21 :: v_dual_mov_b32 v12, v21
	v_dual_mov_b32 v13, v21 :: v_dual_bitop2_b32 v11, 3, v10 bitop3:0x40
	v_mov_b32_e32 v10, v21
	s_mov_b32 s10, 0
	s_delay_alu instid0(VALU_DEP_2)
	v_dual_sub_nc_u32 v27, 0, v11 :: v_dual_mov_b32 v11, v21
.LBB122_13:                             ; =>This Inner Loop Header: Depth=1
	global_load_b32 v20, v25, s[8:9] scale_offset
	s_clause 0x1
	global_load_b128 v[28:31], v[18:19], off offset:16
	global_load_b128 v[32:35], v[18:19], off
	s_wait_xcnt 0x2
	v_add_nc_u32_e32 v25, 16, v25
	v_add_co_u32 v27, s11, v27, 1
	s_or_b32 s10, s11, s10
	s_wait_loadcnt 0x2
	v_subrev_nc_u32_e32 v20, s12, v20
	s_wait_loadcnt 0x0
	s_delay_alu instid0(VALU_DEP_1) | instskip(NEXT) | instid1(VALU_DEP_1)
	v_dual_mov_b32 v23, v32 :: v_dual_lshlrev_b32 v36, 2, v20
	v_dual_mov_b32 v20, v32 :: v_dual_ashrrev_i32 v37, 31, v36
	s_wait_kmcnt 0x0
	s_delay_alu instid0(VALU_DEP_1)
	v_lshl_add_u64 v[52:53], v[36:37], 3, s[4:5]
	s_clause 0x1
	global_load_b128 v[36:39], v[52:53], off
	global_load_b128 v[40:43], v[52:53], off offset:16
	s_clause 0x1
	global_load_b128 v[44:47], v[18:19], off offset:32
	global_load_b128 v[48:51], v[18:19], off offset:48
	s_wait_xcnt 0x0
	v_add_nc_u64_e32 v[18:19], 0x400, v[18:19]
	s_wait_loadcnt 0x3
	v_pk_fma_f32 v[10:11], v[36:37], v[20:21], v[10:11] op_sel_hi:[0,1,1]
	v_dual_mov_b32 v20, v33 :: v_dual_mov_b32 v32, v39
	s_wait_loadcnt 0x2
	v_mov_b32_e32 v52, v43
	s_delay_alu instid0(VALU_DEP_3) | instskip(SKIP_1) | instid1(VALU_DEP_2)
	v_pk_fma_f32 v[10:11], v[36:37], v[22:23], v[10:11] op_sel:[1,0,0]
	v_mov_b32_e32 v23, v33
	v_pk_fma_f32 v[10:11], v[38:39], v[20:21], v[10:11] op_sel_hi:[0,1,1]
	v_mov_b32_e32 v20, v34
	s_delay_alu instid0(VALU_DEP_2) | instskip(SKIP_1) | instid1(VALU_DEP_2)
	v_pk_fma_f32 v[10:11], v[32:33], v[22:23], v[10:11] op_sel_hi:[0,1,1]
	v_mov_b32_e32 v23, v34
	v_pk_fma_f32 v[10:11], v[40:41], v[20:21], v[10:11] op_sel_hi:[0,1,1]
	v_mov_b32_e32 v20, v35
	s_delay_alu instid0(VALU_DEP_2) | instskip(SKIP_1) | instid1(VALU_DEP_2)
	v_pk_fma_f32 v[10:11], v[40:41], v[22:23], v[10:11] op_sel:[1,0,0]
	v_mov_b32_e32 v23, v35
	v_pk_fma_f32 v[10:11], v[42:43], v[20:21], v[10:11] op_sel_hi:[0,1,1]
	v_mov_b32_e32 v20, v28
	s_delay_alu instid0(VALU_DEP_2) | instskip(SKIP_1) | instid1(VALU_DEP_3)
	v_pk_fma_f32 v[10:11], v[52:53], v[22:23], v[10:11] op_sel_hi:[0,1,1]
	v_mov_b32_e32 v23, v28
	v_pk_fma_f32 v[12:13], v[36:37], v[20:21], v[12:13] op_sel_hi:[0,1,1]
	v_mov_b32_e32 v20, v29
	s_delay_alu instid0(VALU_DEP_2) | instskip(SKIP_1) | instid1(VALU_DEP_2)
	v_pk_fma_f32 v[12:13], v[36:37], v[22:23], v[12:13] op_sel:[1,0,0]
	v_mov_b32_e32 v23, v29
	v_pk_fma_f32 v[12:13], v[38:39], v[20:21], v[12:13] op_sel_hi:[0,1,1]
	v_mov_b32_e32 v20, v30
	s_delay_alu instid0(VALU_DEP_2) | instskip(SKIP_1) | instid1(VALU_DEP_2)
	v_pk_fma_f32 v[12:13], v[32:33], v[22:23], v[12:13] op_sel_hi:[0,1,1]
	v_mov_b32_e32 v23, v30
	v_pk_fma_f32 v[12:13], v[40:41], v[20:21], v[12:13] op_sel_hi:[0,1,1]
	v_mov_b32_e32 v20, v31
	s_delay_alu instid0(VALU_DEP_2) | instskip(SKIP_1) | instid1(VALU_DEP_2)
	v_pk_fma_f32 v[12:13], v[40:41], v[22:23], v[12:13] op_sel:[1,0,0]
	v_mov_b32_e32 v23, v31
	v_pk_fma_f32 v[12:13], v[42:43], v[20:21], v[12:13] op_sel_hi:[0,1,1]
	s_wait_loadcnt 0x1
	v_mov_b32_e32 v20, v44
	s_delay_alu instid0(VALU_DEP_2) | instskip(SKIP_1) | instid1(VALU_DEP_3)
	v_pk_fma_f32 v[12:13], v[52:53], v[22:23], v[12:13] op_sel_hi:[0,1,1]
	v_mov_b32_e32 v23, v44
	v_pk_fma_f32 v[14:15], v[36:37], v[20:21], v[14:15] op_sel_hi:[0,1,1]
	v_mov_b32_e32 v20, v45
	s_delay_alu instid0(VALU_DEP_2) | instskip(SKIP_1) | instid1(VALU_DEP_2)
	v_pk_fma_f32 v[14:15], v[36:37], v[22:23], v[14:15] op_sel:[1,0,0]
	v_mov_b32_e32 v23, v45
	v_pk_fma_f32 v[14:15], v[38:39], v[20:21], v[14:15] op_sel_hi:[0,1,1]
	v_mov_b32_e32 v20, v46
	s_delay_alu instid0(VALU_DEP_2) | instskip(SKIP_1) | instid1(VALU_DEP_2)
	v_pk_fma_f32 v[14:15], v[32:33], v[22:23], v[14:15] op_sel_hi:[0,1,1]
	v_mov_b32_e32 v23, v46
	v_pk_fma_f32 v[14:15], v[40:41], v[20:21], v[14:15] op_sel_hi:[0,1,1]
	v_mov_b32_e32 v20, v47
	s_delay_alu instid0(VALU_DEP_2) | instskip(SKIP_1) | instid1(VALU_DEP_2)
	v_pk_fma_f32 v[14:15], v[40:41], v[22:23], v[14:15] op_sel:[1,0,0]
	v_mov_b32_e32 v23, v47
	v_pk_fma_f32 v[14:15], v[42:43], v[20:21], v[14:15] op_sel_hi:[0,1,1]
	s_wait_loadcnt 0x0
	v_mov_b32_e32 v20, v48
	s_delay_alu instid0(VALU_DEP_2) | instskip(SKIP_1) | instid1(VALU_DEP_3)
	v_pk_fma_f32 v[14:15], v[52:53], v[22:23], v[14:15] op_sel_hi:[0,1,1]
	v_mov_b32_e32 v23, v48
	v_pk_fma_f32 v[16:17], v[36:37], v[20:21], v[16:17] op_sel_hi:[0,1,1]
	v_mov_b32_e32 v20, v49
	s_delay_alu instid0(VALU_DEP_2) | instskip(SKIP_1) | instid1(VALU_DEP_2)
	v_pk_fma_f32 v[16:17], v[36:37], v[22:23], v[16:17] op_sel:[1,0,0]
	v_mov_b32_e32 v23, v49
	v_pk_fma_f32 v[16:17], v[38:39], v[20:21], v[16:17] op_sel_hi:[0,1,1]
	v_mov_b32_e32 v20, v50
	s_delay_alu instid0(VALU_DEP_2) | instskip(SKIP_1) | instid1(VALU_DEP_2)
	v_pk_fma_f32 v[16:17], v[32:33], v[22:23], v[16:17] op_sel_hi:[0,1,1]
	v_mov_b32_e32 v23, v50
	v_pk_fma_f32 v[16:17], v[40:41], v[20:21], v[16:17] op_sel_hi:[0,1,1]
	v_mov_b32_e32 v20, v51
	s_delay_alu instid0(VALU_DEP_2) | instskip(SKIP_1) | instid1(VALU_DEP_2)
	v_pk_fma_f32 v[16:17], v[40:41], v[22:23], v[16:17] op_sel:[1,0,0]
	v_mov_b32_e32 v23, v51
	v_pk_fma_f32 v[16:17], v[42:43], v[20:21], v[16:17] op_sel_hi:[0,1,1]
	s_delay_alu instid0(VALU_DEP_1)
	v_pk_fma_f32 v[16:17], v[52:53], v[22:23], v[16:17] op_sel_hi:[0,1,1]
	s_and_not1_b32 exec_lo, exec_lo, s10
	s_cbranch_execnz .LBB122_13
; %bb.14:
	s_or_b32 exec_lo, exec_lo, s10
.LBB122_15:
	s_delay_alu instid0(SALU_CYCLE_1) | instskip(NEXT) | instid1(SALU_CYCLE_1)
	s_or_b32 exec_lo, exec_lo, s7
	s_mov_b32 s7, exec_lo
	v_cmpx_lt_u32_e32 47, v26
	s_cbranch_execz .LBB122_19
; %bb.16:
	v_mov_b32_e32 v21, 0
	v_bfrev_b32_e32 v22, 1
	s_mov_b32 s10, 0
.LBB122_17:                             ; =>This Inner Loop Header: Depth=1
	global_load_b32 v20, v25, s[8:9] scale_offset
	s_clause 0x6
	global_load_b128 v[26:29], v[18:19], off
	global_load_b128 v[30:33], v[18:19], off offset:16
	global_load_b128 v[34:37], v[18:19], off offset:48
	;; [unrolled: 1-line block ×6, first 2 shown]
	s_clause 0x2
	global_load_b32 v65, v25, s[8:9] offset:64 scale_offset
	global_load_b32 v72, v25, s[8:9] offset:128 scale_offset
	;; [unrolled: 1-line block ×3, first 2 shown]
	s_wait_xcnt 0x0
	v_add_nc_u32_e32 v25, 64, v25
	s_delay_alu instid0(VALU_DEP_1)
	v_cmp_ge_i32_e32 vcc_lo, v25, v1
	s_or_b32 s10, vcc_lo, s10
	s_wait_loadcnt 0xa
	v_subrev_nc_u32_e32 v54, s12, v20
	s_wait_loadcnt 0x9
	v_dual_mov_b32 v20, v26 :: v_dual_mov_b32 v23, v26
	s_delay_alu instid0(VALU_DEP_2) | instskip(NEXT) | instid1(VALU_DEP_1)
	v_lshlrev_b32_e32 v54, 2, v54
	v_ashrrev_i32_e32 v55, 31, v54
	s_wait_kmcnt 0x0
	s_delay_alu instid0(VALU_DEP_1)
	v_lshl_add_u64 v[62:63], v[54:55], 3, s[4:5]
	s_clause 0x1
	global_load_b128 v[54:57], v[62:63], off
	global_load_b128 v[58:61], v[62:63], off offset:16
	s_wait_loadcnt 0x1
	v_pk_fma_f32 v[10:11], v[54:55], v[20:21], v[10:11] op_sel_hi:[0,1,1]
	s_wait_xcnt 0x0
	v_dual_mov_b32 v20, v27 :: v_dual_mov_b32 v62, v57
	s_wait_loadcnt 0x0
	v_mov_b32_e32 v64, v61
	v_pk_fma_f32 v[10:11], v[54:55], v[22:23], v[10:11] op_sel:[1,0,0]
	v_mov_b32_e32 v23, v27
	s_delay_alu instid0(VALU_DEP_2) | instskip(SKIP_1) | instid1(VALU_DEP_2)
	v_pk_fma_f32 v[10:11], v[56:57], v[20:21], v[10:11] op_sel_hi:[0,1,1]
	v_mov_b32_e32 v20, v28
	v_pk_fma_f32 v[10:11], v[62:63], v[22:23], v[10:11] op_sel_hi:[0,1,1]
	v_mov_b32_e32 v23, v28
	s_delay_alu instid0(VALU_DEP_2) | instskip(SKIP_1) | instid1(VALU_DEP_2)
	v_pk_fma_f32 v[10:11], v[58:59], v[20:21], v[10:11] op_sel_hi:[0,1,1]
	v_mov_b32_e32 v20, v29
	v_pk_fma_f32 v[10:11], v[58:59], v[22:23], v[10:11] op_sel:[1,0,0]
	v_mov_b32_e32 v23, v29
	global_load_b128 v[26:29], v[18:19], off offset:1024
	v_pk_fma_f32 v[10:11], v[60:61], v[20:21], v[10:11] op_sel_hi:[0,1,1]
	v_mov_b32_e32 v20, v30
	s_delay_alu instid0(VALU_DEP_2) | instskip(SKIP_1) | instid1(VALU_DEP_3)
	v_pk_fma_f32 v[66:67], v[64:65], v[22:23], v[10:11] op_sel_hi:[0,1,1]
	v_mov_b32_e32 v23, v30
	v_pk_fma_f32 v[10:11], v[54:55], v[20:21], v[12:13] op_sel_hi:[0,1,1]
	v_mov_b32_e32 v20, v31
	s_delay_alu instid0(VALU_DEP_2) | instskip(SKIP_1) | instid1(VALU_DEP_2)
	v_pk_fma_f32 v[10:11], v[54:55], v[22:23], v[10:11] op_sel:[1,0,0]
	v_mov_b32_e32 v23, v31
	v_pk_fma_f32 v[10:11], v[56:57], v[20:21], v[10:11] op_sel_hi:[0,1,1]
	v_mov_b32_e32 v20, v32
	s_delay_alu instid0(VALU_DEP_2) | instskip(SKIP_1) | instid1(VALU_DEP_2)
	v_pk_fma_f32 v[10:11], v[62:63], v[22:23], v[10:11] op_sel_hi:[0,1,1]
	v_mov_b32_e32 v23, v32
	v_pk_fma_f32 v[10:11], v[58:59], v[20:21], v[10:11] op_sel_hi:[0,1,1]
	v_mov_b32_e32 v20, v33
	s_delay_alu instid0(VALU_DEP_2) | instskip(SKIP_4) | instid1(VALU_DEP_2)
	v_pk_fma_f32 v[30:31], v[58:59], v[22:23], v[10:11] op_sel:[1,0,0]
	v_mov_b32_e32 v23, v33
	global_load_b128 v[10:13], v[18:19], off offset:2064
	v_pk_fma_f32 v[30:31], v[60:61], v[20:21], v[30:31] op_sel_hi:[0,1,1]
	v_mov_b32_e32 v20, v38
	v_pk_fma_f32 v[68:69], v[64:65], v[22:23], v[30:31] op_sel_hi:[0,1,1]
	v_mov_b32_e32 v23, v38
	s_delay_alu instid0(VALU_DEP_3) | instskip(SKIP_4) | instid1(VALU_DEP_2)
	v_pk_fma_f32 v[14:15], v[54:55], v[20:21], v[14:15] op_sel_hi:[0,1,1]
	v_mov_b32_e32 v20, v39
	global_load_b128 v[30:33], v[18:19], off offset:2048
	v_pk_fma_f32 v[14:15], v[54:55], v[22:23], v[14:15] op_sel:[1,0,0]
	v_mov_b32_e32 v23, v39
	v_pk_fma_f32 v[14:15], v[56:57], v[20:21], v[14:15] op_sel_hi:[0,1,1]
	v_mov_b32_e32 v20, v40
	s_delay_alu instid0(VALU_DEP_2) | instskip(SKIP_2) | instid1(VALU_DEP_3)
	v_pk_fma_f32 v[14:15], v[62:63], v[22:23], v[14:15] op_sel_hi:[0,1,1]
	v_mov_b32_e32 v23, v40
	v_subrev_nc_u32_e32 v40, s12, v72
	v_pk_fma_f32 v[14:15], v[58:59], v[20:21], v[14:15] op_sel_hi:[0,1,1]
	v_mov_b32_e32 v20, v41
	s_delay_alu instid0(VALU_DEP_2) | instskip(SKIP_1) | instid1(VALU_DEP_2)
	v_pk_fma_f32 v[14:15], v[58:59], v[22:23], v[14:15] op_sel:[1,0,0]
	v_mov_b32_e32 v23, v41
	v_pk_fma_f32 v[14:15], v[60:61], v[20:21], v[14:15] op_sel_hi:[0,1,1]
	v_mov_b32_e32 v20, v34
	s_delay_alu instid0(VALU_DEP_2) | instskip(SKIP_1) | instid1(VALU_DEP_3)
	v_pk_fma_f32 v[70:71], v[64:65], v[22:23], v[14:15] op_sel_hi:[0,1,1]
	v_mov_b32_e32 v23, v34
	v_pk_fma_f32 v[14:15], v[54:55], v[20:21], v[16:17] op_sel_hi:[0,1,1]
	v_mov_b32_e32 v20, v35
	s_delay_alu instid0(VALU_DEP_2) | instskip(SKIP_1) | instid1(VALU_DEP_2)
	v_pk_fma_f32 v[14:15], v[54:55], v[22:23], v[14:15] op_sel:[1,0,0]
	v_mov_b32_e32 v23, v35
	v_pk_fma_f32 v[38:39], v[56:57], v[20:21], v[14:15] op_sel_hi:[0,1,1]
	v_subrev_nc_u32_e32 v20, s12, v65
	global_load_b128 v[14:17], v[18:19], off offset:2080
	v_pk_fma_f32 v[38:39], v[62:63], v[22:23], v[38:39] op_sel_hi:[0,1,1]
	v_dual_lshlrev_b32 v34, 2, v20 :: v_dual_mov_b32 v20, v36
	v_dual_mov_b32 v23, v36 :: v_dual_lshlrev_b32 v40, 2, v40
	s_delay_alu instid0(VALU_DEP_1) | instskip(NEXT) | instid1(VALU_DEP_1)
	v_dual_ashrrev_i32 v35, 31, v34 :: v_dual_ashrrev_i32 v41, 31, v40
	v_lshl_add_u64 v[54:55], v[34:35], 3, s[4:5]
	s_delay_alu instid0(VALU_DEP_4) | instskip(SKIP_1) | instid1(VALU_DEP_4)
	v_pk_fma_f32 v[34:35], v[58:59], v[20:21], v[38:39] op_sel_hi:[0,1,1]
	v_mov_b32_e32 v20, v37
	v_lshl_add_u64 v[56:57], v[40:41], 3, s[4:5]
	s_delay_alu instid0(VALU_DEP_3)
	v_pk_fma_f32 v[38:39], v[58:59], v[22:23], v[34:35] op_sel:[1,0,0]
	v_mov_b32_e32 v23, v37
	global_load_b128 v[34:37], v[54:55], off
	v_pk_fma_f32 v[58:59], v[60:61], v[20:21], v[38:39] op_sel_hi:[0,1,1]
	global_load_b128 v[38:41], v[54:55], off offset:16
	v_pk_fma_f32 v[58:59], v[64:65], v[22:23], v[58:59] op_sel_hi:[0,1,1]
	s_wait_loadcnt 0x5
	v_dual_mov_b32 v20, v26 :: v_dual_mov_b32 v23, v26
	s_wait_loadcnt 0x1
	s_wait_xcnt 0x0
	v_mov_b32_e32 v54, v37
	s_delay_alu instid0(VALU_DEP_2) | instskip(SKIP_2) | instid1(VALU_DEP_2)
	v_pk_fma_f32 v[60:61], v[34:35], v[20:21], v[66:67] op_sel_hi:[0,1,1]
	s_wait_loadcnt 0x0
	v_dual_mov_b32 v20, v27 :: v_dual_mov_b32 v62, v41
	v_pk_fma_f32 v[60:61], v[34:35], v[22:23], v[60:61] op_sel:[1,0,0]
	v_mov_b32_e32 v23, v27
	s_delay_alu instid0(VALU_DEP_2) | instskip(SKIP_1) | instid1(VALU_DEP_2)
	v_pk_fma_f32 v[26:27], v[36:37], v[20:21], v[60:61] op_sel_hi:[0,1,1]
	v_mov_b32_e32 v20, v28
	v_pk_fma_f32 v[26:27], v[54:55], v[22:23], v[26:27] op_sel_hi:[0,1,1]
	v_mov_b32_e32 v23, v28
	s_delay_alu instid0(VALU_DEP_2) | instskip(SKIP_1) | instid1(VALU_DEP_2)
	v_pk_fma_f32 v[26:27], v[38:39], v[20:21], v[26:27] op_sel_hi:[0,1,1]
	v_mov_b32_e32 v20, v29
	v_pk_fma_f32 v[60:61], v[38:39], v[22:23], v[26:27] op_sel:[1,0,0]
	v_mov_b32_e32 v23, v29
	global_load_b128 v[26:29], v[56:57], off
	v_pk_fma_f32 v[60:61], v[40:41], v[20:21], v[60:61] op_sel_hi:[0,1,1]
	v_mov_b32_e32 v20, v50
	s_delay_alu instid0(VALU_DEP_2) | instskip(SKIP_1) | instid1(VALU_DEP_3)
	v_pk_fma_f32 v[60:61], v[62:63], v[22:23], v[60:61] op_sel_hi:[0,1,1]
	v_mov_b32_e32 v23, v50
	v_pk_fma_f32 v[64:65], v[34:35], v[20:21], v[68:69] op_sel_hi:[0,1,1]
	v_mov_b32_e32 v20, v51
	s_delay_alu instid0(VALU_DEP_2) | instskip(SKIP_1) | instid1(VALU_DEP_2)
	v_pk_fma_f32 v[64:65], v[34:35], v[22:23], v[64:65] op_sel:[1,0,0]
	v_mov_b32_e32 v23, v51
	v_pk_fma_f32 v[50:51], v[36:37], v[20:21], v[64:65] op_sel_hi:[0,1,1]
	v_mov_b32_e32 v20, v52
	s_delay_alu instid0(VALU_DEP_2) | instskip(SKIP_1) | instid1(VALU_DEP_2)
	v_pk_fma_f32 v[50:51], v[54:55], v[22:23], v[50:51] op_sel_hi:[0,1,1]
	v_mov_b32_e32 v23, v52
	v_pk_fma_f32 v[50:51], v[38:39], v[20:21], v[50:51] op_sel_hi:[0,1,1]
	v_mov_b32_e32 v20, v53
	s_delay_alu instid0(VALU_DEP_2)
	v_pk_fma_f32 v[64:65], v[38:39], v[22:23], v[50:51] op_sel:[1,0,0]
	v_mov_b32_e32 v23, v53
	global_load_b128 v[50:53], v[56:57], off offset:16
	s_wait_xcnt 0x0
	v_pk_fma_f32 v[56:57], v[40:41], v[20:21], v[64:65] op_sel_hi:[0,1,1]
	v_mov_b32_e32 v20, v46
	s_delay_alu instid0(VALU_DEP_2) | instskip(SKIP_1) | instid1(VALU_DEP_3)
	v_pk_fma_f32 v[64:65], v[62:63], v[22:23], v[56:57] op_sel_hi:[0,1,1]
	v_mov_b32_e32 v23, v46
	v_pk_fma_f32 v[56:57], v[34:35], v[20:21], v[70:71] op_sel_hi:[0,1,1]
	v_mov_b32_e32 v20, v47
	s_delay_alu instid0(VALU_DEP_2) | instskip(SKIP_1) | instid1(VALU_DEP_2)
	v_pk_fma_f32 v[56:57], v[34:35], v[22:23], v[56:57] op_sel:[1,0,0]
	v_mov_b32_e32 v23, v47
	v_pk_fma_f32 v[46:47], v[36:37], v[20:21], v[56:57] op_sel_hi:[0,1,1]
	v_mov_b32_e32 v20, v48
	s_delay_alu instid0(VALU_DEP_2) | instskip(SKIP_1) | instid1(VALU_DEP_2)
	v_pk_fma_f32 v[46:47], v[54:55], v[22:23], v[46:47] op_sel_hi:[0,1,1]
	v_mov_b32_e32 v23, v48
	v_pk_fma_f32 v[46:47], v[38:39], v[20:21], v[46:47] op_sel_hi:[0,1,1]
	v_mov_b32_e32 v20, v49
	s_delay_alu instid0(VALU_DEP_2) | instskip(SKIP_4) | instid1(VALU_DEP_2)
	v_pk_fma_f32 v[56:57], v[38:39], v[22:23], v[46:47] op_sel:[1,0,0]
	v_mov_b32_e32 v23, v49
	global_load_b128 v[46:49], v[18:19], off offset:2096
	v_pk_fma_f32 v[56:57], v[40:41], v[20:21], v[56:57] op_sel_hi:[0,1,1]
	v_mov_b32_e32 v20, v42
	v_pk_fma_f32 v[66:67], v[62:63], v[22:23], v[56:57] op_sel_hi:[0,1,1]
	v_mov_b32_e32 v23, v42
	s_delay_alu instid0(VALU_DEP_3) | instskip(SKIP_1) | instid1(VALU_DEP_2)
	v_pk_fma_f32 v[56:57], v[34:35], v[20:21], v[58:59] op_sel_hi:[0,1,1]
	v_mov_b32_e32 v20, v43
	v_pk_fma_f32 v[34:35], v[34:35], v[22:23], v[56:57] op_sel:[1,0,0]
	v_mov_b32_e32 v23, v43
	s_delay_alu instid0(VALU_DEP_2) | instskip(SKIP_4) | instid1(VALU_DEP_1)
	v_pk_fma_f32 v[56:57], v[36:37], v[20:21], v[34:35] op_sel_hi:[0,1,1]
	v_subrev_nc_u32_e32 v20, s12, v73
	global_load_b128 v[34:37], v[18:19], off offset:3072
	v_pk_fma_f32 v[42:43], v[54:55], v[22:23], v[56:57] op_sel_hi:[0,1,1]
	v_dual_lshlrev_b32 v58, 2, v20 :: v_dual_mov_b32 v20, v44
	v_dual_mov_b32 v23, v44 :: v_dual_ashrrev_i32 v59, 31, v58
	s_delay_alu instid0(VALU_DEP_2) | instskip(SKIP_1) | instid1(VALU_DEP_3)
	v_pk_fma_f32 v[42:43], v[38:39], v[20:21], v[42:43] op_sel_hi:[0,1,1]
	v_mov_b32_e32 v20, v45
	v_lshl_add_u64 v[58:59], v[58:59], 3, s[4:5]
	s_delay_alu instid0(VALU_DEP_3)
	v_pk_fma_f32 v[38:39], v[38:39], v[22:23], v[42:43] op_sel:[1,0,0]
	v_mov_b32_e32 v23, v45
	s_clause 0x1
	global_load_b128 v[54:57], v[58:59], off
	global_load_b128 v[42:45], v[58:59], off offset:16
	s_wait_xcnt 0x0
	v_pk_fma_f32 v[58:59], v[40:41], v[20:21], v[38:39] op_sel_hi:[0,1,1]
	global_load_b128 v[38:41], v[18:19], off offset:3088
	v_mov_b32_e32 v20, v30
	v_pk_fma_f32 v[62:63], v[62:63], v[22:23], v[58:59] op_sel_hi:[0,1,1]
	s_wait_loadcnt 0x6
	v_dual_mov_b32 v23, v30 :: v_dual_mov_b32 v68, v29
	s_delay_alu instid0(VALU_DEP_3) | instskip(SKIP_1) | instid1(VALU_DEP_2)
	v_pk_fma_f32 v[58:59], v[26:27], v[20:21], v[60:61] op_sel_hi:[0,1,1]
	v_mov_b32_e32 v20, v31
	v_pk_fma_f32 v[58:59], v[26:27], v[22:23], v[58:59] op_sel:[1,0,0]
	v_mov_b32_e32 v23, v31
	s_delay_alu instid0(VALU_DEP_2) | instskip(SKIP_1) | instid1(VALU_DEP_2)
	v_pk_fma_f32 v[30:31], v[28:29], v[20:21], v[58:59] op_sel_hi:[0,1,1]
	v_mov_b32_e32 v20, v32
	v_pk_fma_f32 v[30:31], v[68:69], v[22:23], v[30:31] op_sel_hi:[0,1,1]
	v_mov_b32_e32 v23, v32
	s_wait_loadcnt 0x5
	s_delay_alu instid0(VALU_DEP_2) | instskip(SKIP_1) | instid1(VALU_DEP_2)
	v_pk_fma_f32 v[30:31], v[50:51], v[20:21], v[30:31] op_sel_hi:[0,1,1]
	v_dual_mov_b32 v20, v33 :: v_dual_mov_b32 v70, v53
	v_pk_fma_f32 v[58:59], v[50:51], v[22:23], v[30:31] op_sel:[1,0,0]
	v_mov_b32_e32 v23, v33
	global_load_b128 v[30:33], v[18:19], off offset:3104
	v_pk_fma_f32 v[58:59], v[52:53], v[20:21], v[58:59] op_sel_hi:[0,1,1]
	v_mov_b32_e32 v20, v10
	s_delay_alu instid0(VALU_DEP_2) | instskip(SKIP_1) | instid1(VALU_DEP_3)
	v_pk_fma_f32 v[72:73], v[70:71], v[22:23], v[58:59] op_sel_hi:[0,1,1]
	v_mov_b32_e32 v23, v10
	v_pk_fma_f32 v[58:59], v[26:27], v[20:21], v[64:65] op_sel_hi:[0,1,1]
	v_mov_b32_e32 v20, v11
	s_delay_alu instid0(VALU_DEP_2) | instskip(SKIP_1) | instid1(VALU_DEP_2)
	v_pk_fma_f32 v[58:59], v[26:27], v[22:23], v[58:59] op_sel:[1,0,0]
	v_mov_b32_e32 v23, v11
	v_pk_fma_f32 v[10:11], v[28:29], v[20:21], v[58:59] op_sel_hi:[0,1,1]
	global_load_b128 v[58:61], v[18:19], off offset:3120
	v_mov_b32_e32 v20, v12
	s_wait_xcnt 0x0
	v_add_nc_u64_e32 v[18:19], 0x1000, v[18:19]
	v_pk_fma_f32 v[10:11], v[68:69], v[22:23], v[10:11] op_sel_hi:[0,1,1]
	v_mov_b32_e32 v23, v12
	s_delay_alu instid0(VALU_DEP_2) | instskip(SKIP_1) | instid1(VALU_DEP_2)
	v_pk_fma_f32 v[10:11], v[50:51], v[20:21], v[10:11] op_sel_hi:[0,1,1]
	v_mov_b32_e32 v20, v13
	v_pk_fma_f32 v[10:11], v[50:51], v[22:23], v[10:11] op_sel:[1,0,0]
	v_mov_b32_e32 v23, v13
	s_delay_alu instid0(VALU_DEP_2) | instskip(SKIP_1) | instid1(VALU_DEP_2)
	v_pk_fma_f32 v[10:11], v[52:53], v[20:21], v[10:11] op_sel_hi:[0,1,1]
	v_mov_b32_e32 v20, v14
	v_pk_fma_f32 v[12:13], v[70:71], v[22:23], v[10:11] op_sel_hi:[0,1,1]
	v_mov_b32_e32 v23, v14
	s_delay_alu instid0(VALU_DEP_3) | instskip(SKIP_1) | instid1(VALU_DEP_2)
	v_pk_fma_f32 v[10:11], v[26:27], v[20:21], v[66:67] op_sel_hi:[0,1,1]
	v_mov_b32_e32 v20, v15
	v_pk_fma_f32 v[10:11], v[26:27], v[22:23], v[10:11] op_sel:[1,0,0]
	v_mov_b32_e32 v23, v15
	s_delay_alu instid0(VALU_DEP_2) | instskip(SKIP_1) | instid1(VALU_DEP_2)
	v_pk_fma_f32 v[10:11], v[28:29], v[20:21], v[10:11] op_sel_hi:[0,1,1]
	v_mov_b32_e32 v20, v16
	v_pk_fma_f32 v[10:11], v[68:69], v[22:23], v[10:11] op_sel_hi:[0,1,1]
	v_mov_b32_e32 v23, v16
	s_delay_alu instid0(VALU_DEP_2)
	v_pk_fma_f32 v[10:11], v[50:51], v[20:21], v[10:11] op_sel_hi:[0,1,1]
	s_wait_loadcnt 0x4
	v_dual_mov_b32 v20, v17 :: v_dual_mov_b32 v16, v57
	s_wait_loadcnt 0x3
	v_mov_b32_e32 v64, v45
	v_pk_fma_f32 v[10:11], v[50:51], v[22:23], v[10:11] op_sel:[1,0,0]
	v_mov_b32_e32 v23, v17
	s_delay_alu instid0(VALU_DEP_2) | instskip(SKIP_1) | instid1(VALU_DEP_2)
	v_pk_fma_f32 v[10:11], v[52:53], v[20:21], v[10:11] op_sel_hi:[0,1,1]
	v_mov_b32_e32 v20, v46
	v_pk_fma_f32 v[14:15], v[70:71], v[22:23], v[10:11] op_sel_hi:[0,1,1]
	v_mov_b32_e32 v23, v46
	s_delay_alu instid0(VALU_DEP_3) | instskip(SKIP_1) | instid1(VALU_DEP_2)
	v_pk_fma_f32 v[10:11], v[26:27], v[20:21], v[62:63] op_sel_hi:[0,1,1]
	v_mov_b32_e32 v20, v47
	v_pk_fma_f32 v[10:11], v[26:27], v[22:23], v[10:11] op_sel:[1,0,0]
	v_mov_b32_e32 v23, v47
	s_delay_alu instid0(VALU_DEP_2) | instskip(SKIP_1) | instid1(VALU_DEP_2)
	v_pk_fma_f32 v[10:11], v[28:29], v[20:21], v[10:11] op_sel_hi:[0,1,1]
	v_mov_b32_e32 v20, v48
	v_pk_fma_f32 v[10:11], v[68:69], v[22:23], v[10:11] op_sel_hi:[0,1,1]
	v_mov_b32_e32 v23, v48
	s_delay_alu instid0(VALU_DEP_2) | instskip(SKIP_1) | instid1(VALU_DEP_2)
	v_pk_fma_f32 v[10:11], v[50:51], v[20:21], v[10:11] op_sel_hi:[0,1,1]
	v_mov_b32_e32 v20, v49
	v_pk_fma_f32 v[10:11], v[50:51], v[22:23], v[10:11] op_sel:[1,0,0]
	v_mov_b32_e32 v23, v49
	s_delay_alu instid0(VALU_DEP_2) | instskip(SKIP_1) | instid1(VALU_DEP_2)
	v_pk_fma_f32 v[10:11], v[52:53], v[20:21], v[10:11] op_sel_hi:[0,1,1]
	v_mov_b32_e32 v20, v34
	v_pk_fma_f32 v[26:27], v[70:71], v[22:23], v[10:11] op_sel_hi:[0,1,1]
	v_mov_b32_e32 v23, v34
	s_delay_alu instid0(VALU_DEP_3) | instskip(SKIP_1) | instid1(VALU_DEP_2)
	v_pk_fma_f32 v[10:11], v[54:55], v[20:21], v[72:73] op_sel_hi:[0,1,1]
	v_mov_b32_e32 v20, v35
	v_pk_fma_f32 v[10:11], v[54:55], v[22:23], v[10:11] op_sel:[1,0,0]
	v_mov_b32_e32 v23, v35
	s_delay_alu instid0(VALU_DEP_2) | instskip(SKIP_1) | instid1(VALU_DEP_2)
	v_pk_fma_f32 v[10:11], v[56:57], v[20:21], v[10:11] op_sel_hi:[0,1,1]
	v_mov_b32_e32 v20, v36
	v_pk_fma_f32 v[10:11], v[16:17], v[22:23], v[10:11] op_sel_hi:[0,1,1]
	v_mov_b32_e32 v23, v36
	s_delay_alu instid0(VALU_DEP_2) | instskip(SKIP_1) | instid1(VALU_DEP_2)
	v_pk_fma_f32 v[10:11], v[42:43], v[20:21], v[10:11] op_sel_hi:[0,1,1]
	v_mov_b32_e32 v20, v37
	v_pk_fma_f32 v[10:11], v[42:43], v[22:23], v[10:11] op_sel:[1,0,0]
	v_mov_b32_e32 v23, v37
	s_delay_alu instid0(VALU_DEP_2) | instskip(SKIP_2) | instid1(VALU_DEP_2)
	v_pk_fma_f32 v[10:11], v[44:45], v[20:21], v[10:11] op_sel_hi:[0,1,1]
	s_wait_loadcnt 0x2
	v_mov_b32_e32 v20, v38
	v_pk_fma_f32 v[10:11], v[64:65], v[22:23], v[10:11] op_sel_hi:[0,1,1]
	v_mov_b32_e32 v23, v38
	s_delay_alu instid0(VALU_DEP_3) | instskip(SKIP_1) | instid1(VALU_DEP_2)
	v_pk_fma_f32 v[12:13], v[54:55], v[20:21], v[12:13] op_sel_hi:[0,1,1]
	v_mov_b32_e32 v20, v39
	v_pk_fma_f32 v[12:13], v[54:55], v[22:23], v[12:13] op_sel:[1,0,0]
	v_mov_b32_e32 v23, v39
	s_delay_alu instid0(VALU_DEP_2) | instskip(SKIP_1) | instid1(VALU_DEP_2)
	v_pk_fma_f32 v[12:13], v[56:57], v[20:21], v[12:13] op_sel_hi:[0,1,1]
	v_mov_b32_e32 v20, v40
	v_pk_fma_f32 v[12:13], v[16:17], v[22:23], v[12:13] op_sel_hi:[0,1,1]
	v_mov_b32_e32 v23, v40
	s_delay_alu instid0(VALU_DEP_2) | instskip(SKIP_1) | instid1(VALU_DEP_2)
	v_pk_fma_f32 v[12:13], v[42:43], v[20:21], v[12:13] op_sel_hi:[0,1,1]
	v_mov_b32_e32 v20, v41
	v_pk_fma_f32 v[12:13], v[42:43], v[22:23], v[12:13] op_sel:[1,0,0]
	v_mov_b32_e32 v23, v41
	s_delay_alu instid0(VALU_DEP_2) | instskip(NEXT) | instid1(VALU_DEP_1)
	v_pk_fma_f32 v[12:13], v[44:45], v[20:21], v[12:13] op_sel_hi:[0,1,1]
	v_pk_fma_f32 v[12:13], v[64:65], v[22:23], v[12:13] op_sel_hi:[0,1,1]
	s_wait_loadcnt 0x1
	v_dual_mov_b32 v20, v30 :: v_dual_mov_b32 v23, v30
	s_delay_alu instid0(VALU_DEP_1) | instskip(SKIP_1) | instid1(VALU_DEP_2)
	v_pk_fma_f32 v[14:15], v[54:55], v[20:21], v[14:15] op_sel_hi:[0,1,1]
	v_mov_b32_e32 v20, v31
	v_pk_fma_f32 v[14:15], v[54:55], v[22:23], v[14:15] op_sel:[1,0,0]
	v_mov_b32_e32 v23, v31
	s_delay_alu instid0(VALU_DEP_2) | instskip(SKIP_1) | instid1(VALU_DEP_2)
	v_pk_fma_f32 v[14:15], v[56:57], v[20:21], v[14:15] op_sel_hi:[0,1,1]
	v_mov_b32_e32 v20, v32
	v_pk_fma_f32 v[14:15], v[16:17], v[22:23], v[14:15] op_sel_hi:[0,1,1]
	v_mov_b32_e32 v23, v32
	s_delay_alu instid0(VALU_DEP_2) | instskip(SKIP_1) | instid1(VALU_DEP_2)
	v_pk_fma_f32 v[14:15], v[42:43], v[20:21], v[14:15] op_sel_hi:[0,1,1]
	v_mov_b32_e32 v20, v33
	v_pk_fma_f32 v[14:15], v[42:43], v[22:23], v[14:15] op_sel:[1,0,0]
	v_mov_b32_e32 v23, v33
	s_delay_alu instid0(VALU_DEP_2) | instskip(SKIP_2) | instid1(VALU_DEP_2)
	v_pk_fma_f32 v[14:15], v[44:45], v[20:21], v[14:15] op_sel_hi:[0,1,1]
	s_wait_loadcnt 0x0
	v_mov_b32_e32 v20, v58
	v_pk_fma_f32 v[14:15], v[64:65], v[22:23], v[14:15] op_sel_hi:[0,1,1]
	v_mov_b32_e32 v23, v58
	s_delay_alu instid0(VALU_DEP_3) | instskip(SKIP_1) | instid1(VALU_DEP_2)
	v_pk_fma_f32 v[26:27], v[54:55], v[20:21], v[26:27] op_sel_hi:[0,1,1]
	v_mov_b32_e32 v20, v59
	v_pk_fma_f32 v[26:27], v[54:55], v[22:23], v[26:27] op_sel:[1,0,0]
	v_mov_b32_e32 v23, v59
	s_delay_alu instid0(VALU_DEP_2) | instskip(SKIP_1) | instid1(VALU_DEP_2)
	v_pk_fma_f32 v[26:27], v[56:57], v[20:21], v[26:27] op_sel_hi:[0,1,1]
	v_mov_b32_e32 v20, v60
	v_pk_fma_f32 v[16:17], v[16:17], v[22:23], v[26:27] op_sel_hi:[0,1,1]
	v_mov_b32_e32 v23, v60
	s_delay_alu instid0(VALU_DEP_2) | instskip(SKIP_1) | instid1(VALU_DEP_2)
	v_pk_fma_f32 v[16:17], v[42:43], v[20:21], v[16:17] op_sel_hi:[0,1,1]
	v_mov_b32_e32 v20, v61
	v_pk_fma_f32 v[16:17], v[42:43], v[22:23], v[16:17] op_sel:[1,0,0]
	v_mov_b32_e32 v23, v61
	s_delay_alu instid0(VALU_DEP_2) | instskip(NEXT) | instid1(VALU_DEP_1)
	v_pk_fma_f32 v[16:17], v[44:45], v[20:21], v[16:17] op_sel_hi:[0,1,1]
	v_pk_fma_f32 v[16:17], v[64:65], v[22:23], v[16:17] op_sel_hi:[0,1,1]
	s_and_not1_b32 exec_lo, exec_lo, s10
	s_cbranch_execnz .LBB122_17
; %bb.18:
	s_or_b32 exec_lo, exec_lo, s10
.LBB122_19:
	s_delay_alu instid0(SALU_CYCLE_1)
	s_or_b32 exec_lo, exec_lo, s7
.LBB122_20:
	s_delay_alu instid0(SALU_CYCLE_1)
	s_or_b32 exec_lo, exec_lo, s6
	s_cbranch_execz .LBB122_22
	s_branch .LBB122_33
.LBB122_21:
                                        ; implicit-def: $vgpr11
                                        ; implicit-def: $vgpr13
                                        ; implicit-def: $vgpr15
                                        ; implicit-def: $vgpr17
.LBB122_22:
	v_dual_mov_b32 v11, 0 :: v_dual_mov_b32 v10, 0
	v_dual_mov_b32 v13, 0 :: v_dual_mov_b32 v12, 0
	;; [unrolled: 1-line block ×4, first 2 shown]
	s_and_saveexec_b32 s6, s3
	s_cbranch_execz .LBB122_32
; %bb.23:
	v_add_nc_u32_e32 v10, v24, v7
	v_not_b32_e32 v11, v24
	v_mov_b64_e32 v[12:13], 0
	v_mov_b64_e32 v[14:15], 0
	;; [unrolled: 1-line block ×3, first 2 shown]
	v_subrev_nc_u32_e32 v10, s12, v10
	s_mov_b32 s3, exec_lo
	s_delay_alu instid0(VALU_DEP_1) | instskip(NEXT) | instid1(VALU_DEP_1)
	v_add_max_i32_e64 v10, v10, 16, v1
	v_add3_u32 v10, s12, v10, v11
	s_delay_alu instid0(VALU_DEP_1) | instskip(SKIP_1) | instid1(VALU_DEP_2)
	v_sub_nc_u32_e32 v22, v10, v7
	v_mov_b64_e32 v[10:11], 0
	v_and_b32_e32 v18, 48, v22
	s_delay_alu instid0(VALU_DEP_1)
	v_cmpx_ne_u32_e32 48, v18
	s_cbranch_execz .LBB122_27
; %bb.24:
	v_dual_mov_b32 v19, 0 :: v_dual_lshrrev_b32 v10, 4, v22
	v_bfrev_b32_e32 v20, 1
	s_mov_b32 s7, 0
	s_delay_alu instid0(VALU_DEP_2) | instskip(SKIP_2) | instid1(VALU_DEP_3)
	v_dual_add_nc_u32 v10, 1, v10 :: v_dual_mov_b32 v16, v19
	v_dual_mov_b32 v17, v19 :: v_dual_mov_b32 v14, v19
	v_dual_mov_b32 v12, v19 :: v_dual_mov_b32 v13, v19
	v_dual_mov_b32 v15, v19 :: v_dual_bitop2_b32 v11, 3, v10 bitop3:0x40
	s_delay_alu instid0(VALU_DEP_1)
	v_dual_mov_b32 v10, v19 :: v_dual_sub_nc_u32 v23, 0, v11
	v_mov_b32_e32 v11, v19
.LBB122_25:                             ; =>This Inner Loop Header: Depth=1
	global_load_b32 v18, v0, s[8:9] scale_offset
	s_clause 0x1
	global_load_b128 v[24:27], v[8:9], off offset:16
	global_load_b128 v[28:31], v[8:9], off
	s_wait_xcnt 0x2
	v_add_nc_u32_e32 v0, 16, v0
	v_add_co_u32 v23, s10, v23, 1
	s_or_b32 s7, s10, s7
	s_wait_loadcnt 0x2
	v_subrev_nc_u32_e32 v18, s12, v18
	s_wait_loadcnt 0x0
	s_delay_alu instid0(VALU_DEP_1) | instskip(NEXT) | instid1(VALU_DEP_1)
	v_dual_mov_b32 v21, v28 :: v_dual_lshlrev_b32 v32, 2, v18
	v_dual_mov_b32 v18, v28 :: v_dual_ashrrev_i32 v33, 31, v32
	s_wait_kmcnt 0x0
	s_delay_alu instid0(VALU_DEP_1)
	v_lshl_add_u64 v[48:49], v[32:33], 3, s[4:5]
	s_clause 0x1
	global_load_b128 v[32:35], v[48:49], off
	global_load_b128 v[36:39], v[48:49], off offset:16
	s_clause 0x1
	global_load_b128 v[40:43], v[8:9], off offset:32
	global_load_b128 v[44:47], v[8:9], off offset:48
	s_wait_xcnt 0x0
	v_add_nc_u64_e32 v[8:9], 0x400, v[8:9]
	s_wait_loadcnt 0x3
	v_pk_fma_f32 v[10:11], v[32:33], v[18:19], v[10:11] op_sel_hi:[0,1,1]
	v_dual_mov_b32 v18, v24 :: v_dual_mov_b32 v28, v35
	s_wait_loadcnt 0x2
	v_mov_b32_e32 v48, v39
	s_delay_alu instid0(VALU_DEP_3) | instskip(SKIP_1) | instid1(VALU_DEP_2)
	v_pk_fma_f32 v[10:11], v[32:33], v[20:21], v[10:11] op_sel:[1,0,0]
	v_mov_b32_e32 v21, v24
	v_pk_fma_f32 v[10:11], v[34:35], v[18:19], v[10:11] op_sel_hi:[0,1,1]
	s_wait_loadcnt 0x1
	v_mov_b32_e32 v18, v40
	s_delay_alu instid0(VALU_DEP_2) | instskip(SKIP_1) | instid1(VALU_DEP_2)
	v_pk_fma_f32 v[10:11], v[28:29], v[20:21], v[10:11] op_sel_hi:[0,1,1]
	v_mov_b32_e32 v21, v40
	v_pk_fma_f32 v[10:11], v[36:37], v[18:19], v[10:11] op_sel_hi:[0,1,1]
	s_wait_loadcnt 0x0
	v_mov_b32_e32 v18, v44
	s_delay_alu instid0(VALU_DEP_2) | instskip(SKIP_1) | instid1(VALU_DEP_2)
	v_pk_fma_f32 v[10:11], v[36:37], v[20:21], v[10:11] op_sel:[1,0,0]
	v_mov_b32_e32 v21, v44
	v_pk_fma_f32 v[10:11], v[38:39], v[18:19], v[10:11] op_sel_hi:[0,1,1]
	v_mov_b32_e32 v18, v29
	s_delay_alu instid0(VALU_DEP_2) | instskip(SKIP_1) | instid1(VALU_DEP_3)
	v_pk_fma_f32 v[10:11], v[48:49], v[20:21], v[10:11] op_sel_hi:[0,1,1]
	v_mov_b32_e32 v21, v29
	v_pk_fma_f32 v[12:13], v[32:33], v[18:19], v[12:13] op_sel_hi:[0,1,1]
	v_mov_b32_e32 v18, v25
	s_delay_alu instid0(VALU_DEP_2) | instskip(SKIP_1) | instid1(VALU_DEP_2)
	v_pk_fma_f32 v[12:13], v[32:33], v[20:21], v[12:13] op_sel:[1,0,0]
	v_mov_b32_e32 v21, v25
	v_pk_fma_f32 v[12:13], v[34:35], v[18:19], v[12:13] op_sel_hi:[0,1,1]
	v_mov_b32_e32 v18, v41
	s_delay_alu instid0(VALU_DEP_2) | instskip(SKIP_1) | instid1(VALU_DEP_2)
	v_pk_fma_f32 v[12:13], v[28:29], v[20:21], v[12:13] op_sel_hi:[0,1,1]
	v_mov_b32_e32 v21, v41
	v_pk_fma_f32 v[12:13], v[36:37], v[18:19], v[12:13] op_sel_hi:[0,1,1]
	v_mov_b32_e32 v18, v45
	s_delay_alu instid0(VALU_DEP_2) | instskip(SKIP_1) | instid1(VALU_DEP_2)
	v_pk_fma_f32 v[12:13], v[36:37], v[20:21], v[12:13] op_sel:[1,0,0]
	v_mov_b32_e32 v21, v45
	v_pk_fma_f32 v[12:13], v[38:39], v[18:19], v[12:13] op_sel_hi:[0,1,1]
	v_mov_b32_e32 v18, v30
	s_delay_alu instid0(VALU_DEP_2) | instskip(SKIP_1) | instid1(VALU_DEP_3)
	v_pk_fma_f32 v[12:13], v[48:49], v[20:21], v[12:13] op_sel_hi:[0,1,1]
	v_mov_b32_e32 v21, v30
	v_pk_fma_f32 v[14:15], v[32:33], v[18:19], v[14:15] op_sel_hi:[0,1,1]
	v_mov_b32_e32 v18, v26
	s_delay_alu instid0(VALU_DEP_2) | instskip(SKIP_1) | instid1(VALU_DEP_2)
	v_pk_fma_f32 v[14:15], v[32:33], v[20:21], v[14:15] op_sel:[1,0,0]
	v_mov_b32_e32 v21, v26
	v_pk_fma_f32 v[14:15], v[34:35], v[18:19], v[14:15] op_sel_hi:[0,1,1]
	v_mov_b32_e32 v18, v42
	s_delay_alu instid0(VALU_DEP_2) | instskip(SKIP_1) | instid1(VALU_DEP_2)
	v_pk_fma_f32 v[14:15], v[28:29], v[20:21], v[14:15] op_sel_hi:[0,1,1]
	v_mov_b32_e32 v21, v42
	v_pk_fma_f32 v[14:15], v[36:37], v[18:19], v[14:15] op_sel_hi:[0,1,1]
	;; [unrolled: 20-line block ×3, first 2 shown]
	v_mov_b32_e32 v18, v47
	s_delay_alu instid0(VALU_DEP_2) | instskip(SKIP_1) | instid1(VALU_DEP_2)
	v_pk_fma_f32 v[16:17], v[36:37], v[20:21], v[16:17] op_sel:[1,0,0]
	v_mov_b32_e32 v21, v47
	v_pk_fma_f32 v[16:17], v[38:39], v[18:19], v[16:17] op_sel_hi:[0,1,1]
	s_delay_alu instid0(VALU_DEP_1)
	v_pk_fma_f32 v[16:17], v[48:49], v[20:21], v[16:17] op_sel_hi:[0,1,1]
	s_and_not1_b32 exec_lo, exec_lo, s7
	s_cbranch_execnz .LBB122_25
; %bb.26:
	s_or_b32 exec_lo, exec_lo, s7
.LBB122_27:
	s_delay_alu instid0(SALU_CYCLE_1) | instskip(NEXT) | instid1(SALU_CYCLE_1)
	s_or_b32 exec_lo, exec_lo, s3
	s_mov_b32 s3, exec_lo
	v_cmpx_lt_u32_e32 47, v22
	s_cbranch_execz .LBB122_31
; %bb.28:
	v_mov_b32_e32 v19, 0
	v_bfrev_b32_e32 v20, 1
	s_mov_b32 s7, 0
.LBB122_29:                             ; =>This Inner Loop Header: Depth=1
	global_load_b32 v18, v0, s[8:9] scale_offset
	s_clause 0x6
	global_load_b128 v[22:25], v[8:9], off
	global_load_b128 v[26:29], v[8:9], off offset:16
	global_load_b128 v[30:33], v[8:9], off offset:48
	;; [unrolled: 1-line block ×6, first 2 shown]
	s_clause 0x2
	global_load_b32 v61, v0, s[8:9] offset:64 scale_offset
	global_load_b32 v68, v0, s[8:9] offset:128 scale_offset
	global_load_b32 v69, v0, s[8:9] offset:192 scale_offset
	s_wait_xcnt 0x0
	v_add_nc_u32_e32 v0, 64, v0
	s_delay_alu instid0(VALU_DEP_1)
	v_cmp_ge_i32_e32 vcc_lo, v0, v1
	s_or_b32 s7, vcc_lo, s7
	s_wait_loadcnt 0xa
	v_subrev_nc_u32_e32 v50, s12, v18
	s_wait_loadcnt 0x9
	v_dual_mov_b32 v18, v22 :: v_dual_mov_b32 v21, v22
	s_delay_alu instid0(VALU_DEP_2) | instskip(NEXT) | instid1(VALU_DEP_1)
	v_lshlrev_b32_e32 v50, 2, v50
	v_ashrrev_i32_e32 v51, 31, v50
	s_wait_kmcnt 0x0
	s_delay_alu instid0(VALU_DEP_1)
	v_lshl_add_u64 v[58:59], v[50:51], 3, s[4:5]
	s_clause 0x1
	global_load_b128 v[50:53], v[58:59], off
	global_load_b128 v[54:57], v[58:59], off offset:16
	s_wait_loadcnt 0x1
	v_pk_fma_f32 v[10:11], v[50:51], v[18:19], v[10:11] op_sel_hi:[0,1,1]
	s_wait_xcnt 0x0
	v_dual_mov_b32 v18, v26 :: v_dual_mov_b32 v58, v53
	s_wait_loadcnt 0x0
	v_mov_b32_e32 v60, v57
	v_pk_fma_f32 v[10:11], v[50:51], v[20:21], v[10:11] op_sel:[1,0,0]
	v_mov_b32_e32 v21, v26
	s_delay_alu instid0(VALU_DEP_2) | instskip(SKIP_1) | instid1(VALU_DEP_2)
	v_pk_fma_f32 v[10:11], v[52:53], v[18:19], v[10:11] op_sel_hi:[0,1,1]
	v_mov_b32_e32 v18, v34
	v_pk_fma_f32 v[10:11], v[58:59], v[20:21], v[10:11] op_sel_hi:[0,1,1]
	v_mov_b32_e32 v21, v34
	s_delay_alu instid0(VALU_DEP_2) | instskip(SKIP_1) | instid1(VALU_DEP_2)
	v_pk_fma_f32 v[10:11], v[54:55], v[18:19], v[10:11] op_sel_hi:[0,1,1]
	v_mov_b32_e32 v18, v30
	v_pk_fma_f32 v[10:11], v[54:55], v[20:21], v[10:11] op_sel:[1,0,0]
	v_mov_b32_e32 v21, v30
	s_delay_alu instid0(VALU_DEP_2) | instskip(SKIP_1) | instid1(VALU_DEP_2)
	v_pk_fma_f32 v[10:11], v[56:57], v[18:19], v[10:11] op_sel_hi:[0,1,1]
	v_mov_b32_e32 v18, v23
	v_pk_fma_f32 v[62:63], v[60:61], v[20:21], v[10:11] op_sel_hi:[0,1,1]
	v_mov_b32_e32 v21, v23
	s_delay_alu instid0(VALU_DEP_3) | instskip(SKIP_1) | instid1(VALU_DEP_2)
	v_pk_fma_f32 v[10:11], v[50:51], v[18:19], v[12:13] op_sel_hi:[0,1,1]
	v_mov_b32_e32 v18, v27
	v_pk_fma_f32 v[10:11], v[50:51], v[20:21], v[10:11] op_sel:[1,0,0]
	v_mov_b32_e32 v21, v27
	s_delay_alu instid0(VALU_DEP_2) | instskip(SKIP_1) | instid1(VALU_DEP_2)
	v_pk_fma_f32 v[10:11], v[52:53], v[18:19], v[10:11] op_sel_hi:[0,1,1]
	v_mov_b32_e32 v18, v35
	v_pk_fma_f32 v[10:11], v[58:59], v[20:21], v[10:11] op_sel_hi:[0,1,1]
	v_mov_b32_e32 v21, v35
	s_delay_alu instid0(VALU_DEP_2) | instskip(SKIP_1) | instid1(VALU_DEP_2)
	v_pk_fma_f32 v[10:11], v[54:55], v[18:19], v[10:11] op_sel_hi:[0,1,1]
	v_mov_b32_e32 v18, v31
	v_pk_fma_f32 v[10:11], v[54:55], v[20:21], v[10:11] op_sel:[1,0,0]
	v_mov_b32_e32 v21, v31
	s_delay_alu instid0(VALU_DEP_2) | instskip(SKIP_1) | instid1(VALU_DEP_2)
	v_pk_fma_f32 v[10:11], v[56:57], v[18:19], v[10:11] op_sel_hi:[0,1,1]
	v_mov_b32_e32 v18, v24
	v_pk_fma_f32 v[64:65], v[60:61], v[20:21], v[10:11] op_sel_hi:[0,1,1]
	v_mov_b32_e32 v21, v24
	s_delay_alu instid0(VALU_DEP_3) | instskip(SKIP_1) | instid1(VALU_DEP_2)
	v_pk_fma_f32 v[10:11], v[50:51], v[18:19], v[14:15] op_sel_hi:[0,1,1]
	v_mov_b32_e32 v18, v28
	v_pk_fma_f32 v[10:11], v[50:51], v[20:21], v[10:11] op_sel:[1,0,0]
	v_mov_b32_e32 v21, v28
	s_delay_alu instid0(VALU_DEP_2) | instskip(SKIP_1) | instid1(VALU_DEP_2)
	v_pk_fma_f32 v[10:11], v[52:53], v[18:19], v[10:11] op_sel_hi:[0,1,1]
	v_mov_b32_e32 v18, v36
	v_pk_fma_f32 v[10:11], v[58:59], v[20:21], v[10:11] op_sel_hi:[0,1,1]
	v_mov_b32_e32 v21, v36
	s_delay_alu instid0(VALU_DEP_2) | instskip(SKIP_1) | instid1(VALU_DEP_2)
	v_pk_fma_f32 v[10:11], v[54:55], v[18:19], v[10:11] op_sel_hi:[0,1,1]
	v_mov_b32_e32 v18, v32
	v_pk_fma_f32 v[10:11], v[54:55], v[20:21], v[10:11] op_sel:[1,0,0]
	v_mov_b32_e32 v21, v32
	v_subrev_nc_u32_e32 v32, s12, v61
	s_delay_alu instid0(VALU_DEP_3) | instskip(NEXT) | instid1(VALU_DEP_2)
	v_pk_fma_f32 v[10:11], v[56:57], v[18:19], v[10:11] op_sel_hi:[0,1,1]
	v_dual_mov_b32 v18, v25 :: v_dual_lshlrev_b32 v34, 2, v32
	s_delay_alu instid0(VALU_DEP_2) | instskip(SKIP_1) | instid1(VALU_DEP_3)
	v_pk_fma_f32 v[66:67], v[60:61], v[20:21], v[10:11] op_sel_hi:[0,1,1]
	v_mov_b32_e32 v21, v25
	v_pk_fma_f32 v[14:15], v[50:51], v[18:19], v[16:17] op_sel_hi:[0,1,1]
	v_mov_b32_e32 v18, v29
	global_load_b128 v[10:13], v[8:9], off offset:1024
	v_pk_fma_f32 v[22:23], v[50:51], v[20:21], v[14:15] op_sel:[1,0,0]
	v_mov_b32_e32 v21, v29
	global_load_b128 v[14:17], v[8:9], off offset:2096
	v_pk_fma_f32 v[26:27], v[52:53], v[18:19], v[22:23] op_sel_hi:[0,1,1]
	v_mov_b32_e32 v18, v37
	global_load_b128 v[22:25], v[8:9], off offset:2080
	v_pk_fma_f32 v[30:31], v[58:59], v[20:21], v[26:27] op_sel_hi:[0,1,1]
	;; [unrolled: 3-line block ×3, first 2 shown]
	v_dual_mov_b32 v18, v33 :: v_dual_ashrrev_i32 v35, 31, v34
	s_delay_alu instid0(VALU_DEP_2) | instskip(SKIP_1) | instid1(VALU_DEP_3)
	v_pk_fma_f32 v[36:37], v[54:55], v[20:21], v[30:31] op_sel:[1,0,0]
	v_mov_b32_e32 v21, v33
	v_lshl_add_u64 v[34:35], v[34:35], 3, s[4:5]
	s_delay_alu instid0(VALU_DEP_3)
	v_pk_fma_f32 v[50:51], v[56:57], v[18:19], v[36:37] op_sel_hi:[0,1,1]
	s_clause 0x1
	global_load_b128 v[30:33], v[34:35], off
	global_load_b128 v[34:37], v[34:35], off offset:16
	v_pk_fma_f32 v[50:51], v[60:61], v[20:21], v[50:51] op_sel_hi:[0,1,1]
	s_wait_loadcnt 0x5
	v_dual_mov_b32 v18, v10 :: v_dual_mov_b32 v21, v10
	s_wait_loadcnt 0x1
	s_delay_alu instid0(VALU_DEP_1) | instskip(SKIP_3) | instid1(VALU_DEP_3)
	v_pk_fma_f32 v[56:57], v[30:31], v[18:19], v[62:63] op_sel_hi:[0,1,1]
	v_dual_mov_b32 v18, v46 :: v_dual_mov_b32 v52, v33
	s_wait_loadcnt 0x0
	v_mov_b32_e32 v54, v37
	v_pk_fma_f32 v[56:57], v[30:31], v[20:21], v[56:57] op_sel:[1,0,0]
	v_mov_b32_e32 v21, v46
	s_delay_alu instid0(VALU_DEP_2) | instskip(SKIP_1) | instid1(VALU_DEP_2)
	v_pk_fma_f32 v[56:57], v[32:33], v[18:19], v[56:57] op_sel_hi:[0,1,1]
	v_mov_b32_e32 v18, v42
	v_pk_fma_f32 v[56:57], v[52:53], v[20:21], v[56:57] op_sel_hi:[0,1,1]
	v_mov_b32_e32 v21, v42
	s_delay_alu instid0(VALU_DEP_2) | instskip(SKIP_1) | instid1(VALU_DEP_2)
	v_pk_fma_f32 v[56:57], v[34:35], v[18:19], v[56:57] op_sel_hi:[0,1,1]
	v_mov_b32_e32 v18, v38
	v_pk_fma_f32 v[56:57], v[34:35], v[20:21], v[56:57] op_sel:[1,0,0]
	v_mov_b32_e32 v21, v38
	s_delay_alu instid0(VALU_DEP_2) | instskip(SKIP_1) | instid1(VALU_DEP_2)
	v_pk_fma_f32 v[56:57], v[36:37], v[18:19], v[56:57] op_sel_hi:[0,1,1]
	v_mov_b32_e32 v18, v11
	v_pk_fma_f32 v[56:57], v[54:55], v[20:21], v[56:57] op_sel_hi:[0,1,1]
	v_mov_b32_e32 v21, v11
	s_delay_alu instid0(VALU_DEP_3) | instskip(SKIP_1) | instid1(VALU_DEP_2)
	v_pk_fma_f32 v[58:59], v[30:31], v[18:19], v[64:65] op_sel_hi:[0,1,1]
	v_mov_b32_e32 v18, v47
	v_pk_fma_f32 v[10:11], v[30:31], v[20:21], v[58:59] op_sel:[1,0,0]
	v_mov_b32_e32 v21, v47
	s_delay_alu instid0(VALU_DEP_2) | instskip(SKIP_1) | instid1(VALU_DEP_2)
	v_pk_fma_f32 v[10:11], v[32:33], v[18:19], v[10:11] op_sel_hi:[0,1,1]
	v_mov_b32_e32 v18, v43
	v_pk_fma_f32 v[10:11], v[52:53], v[20:21], v[10:11] op_sel_hi:[0,1,1]
	v_mov_b32_e32 v21, v43
	s_delay_alu instid0(VALU_DEP_2) | instskip(SKIP_1) | instid1(VALU_DEP_2)
	v_pk_fma_f32 v[10:11], v[34:35], v[18:19], v[10:11] op_sel_hi:[0,1,1]
	v_mov_b32_e32 v18, v39
	v_pk_fma_f32 v[10:11], v[34:35], v[20:21], v[10:11] op_sel:[1,0,0]
	v_mov_b32_e32 v21, v39
	s_delay_alu instid0(VALU_DEP_2) | instskip(SKIP_1) | instid1(VALU_DEP_2)
	v_pk_fma_f32 v[10:11], v[36:37], v[18:19], v[10:11] op_sel_hi:[0,1,1]
	v_mov_b32_e32 v18, v12
	v_pk_fma_f32 v[58:59], v[54:55], v[20:21], v[10:11] op_sel_hi:[0,1,1]
	v_mov_b32_e32 v21, v12
	s_delay_alu instid0(VALU_DEP_3) | instskip(SKIP_1) | instid1(VALU_DEP_2)
	v_pk_fma_f32 v[10:11], v[30:31], v[18:19], v[66:67] op_sel_hi:[0,1,1]
	v_mov_b32_e32 v18, v48
	v_pk_fma_f32 v[10:11], v[30:31], v[20:21], v[10:11] op_sel:[1,0,0]
	v_mov_b32_e32 v21, v48
	s_delay_alu instid0(VALU_DEP_2) | instskip(SKIP_1) | instid1(VALU_DEP_2)
	v_pk_fma_f32 v[10:11], v[32:33], v[18:19], v[10:11] op_sel_hi:[0,1,1]
	v_mov_b32_e32 v18, v44
	v_pk_fma_f32 v[10:11], v[52:53], v[20:21], v[10:11] op_sel_hi:[0,1,1]
	v_mov_b32_e32 v21, v44
	s_delay_alu instid0(VALU_DEP_2) | instskip(SKIP_1) | instid1(VALU_DEP_2)
	v_pk_fma_f32 v[10:11], v[34:35], v[18:19], v[10:11] op_sel_hi:[0,1,1]
	v_mov_b32_e32 v18, v40
	v_pk_fma_f32 v[10:11], v[34:35], v[20:21], v[10:11] op_sel:[1,0,0]
	v_mov_b32_e32 v21, v40
	v_subrev_nc_u32_e32 v40, s12, v69
	s_delay_alu instid0(VALU_DEP_3) | instskip(SKIP_2) | instid1(VALU_DEP_3)
	v_pk_fma_f32 v[10:11], v[36:37], v[18:19], v[10:11] op_sel_hi:[0,1,1]
	v_mov_b32_e32 v18, v13
	v_subrev_nc_u32_e32 v37, s12, v68
	v_pk_fma_f32 v[60:61], v[54:55], v[20:21], v[10:11] op_sel_hi:[0,1,1]
	v_mov_b32_e32 v21, v13
	s_delay_alu instid0(VALU_DEP_4) | instskip(NEXT) | instid1(VALU_DEP_4)
	v_pk_fma_f32 v[38:39], v[30:31], v[18:19], v[50:51] op_sel_hi:[0,1,1]
	v_dual_mov_b32 v18, v49 :: v_dual_lshlrev_b32 v50, 2, v37
	global_load_b128 v[10:13], v[8:9], off offset:2048
	v_pk_fma_f32 v[30:31], v[30:31], v[20:21], v[38:39] op_sel:[1,0,0]
	v_mov_b32_e32 v21, v49
	global_load_b128 v[46:49], v[8:9], off offset:3088
	v_pk_fma_f32 v[38:39], v[32:33], v[18:19], v[30:31] op_sel_hi:[0,1,1]
	v_mov_b32_e32 v18, v45
	global_load_b128 v[30:33], v[8:9], off offset:3072
	v_pk_fma_f32 v[38:39], v[52:53], v[20:21], v[38:39] op_sel_hi:[0,1,1]
	v_dual_lshlrev_b32 v52, 2, v40 :: v_dual_ashrrev_i32 v51, 31, v50
	v_mov_b32_e32 v21, v45
	global_load_b128 v[42:45], v[8:9], off offset:3104
	v_pk_fma_f32 v[38:39], v[34:35], v[18:19], v[38:39] op_sel_hi:[0,1,1]
	v_ashrrev_i32_e32 v53, 31, v52
	v_lshl_add_u64 v[50:51], v[50:51], 3, s[4:5]
	v_mov_b32_e32 v18, v41
	s_delay_alu instid0(VALU_DEP_4)
	v_pk_fma_f32 v[34:35], v[34:35], v[20:21], v[38:39] op_sel:[1,0,0]
	v_mov_b32_e32 v21, v41
	global_load_b128 v[38:41], v[50:51], off
	v_lshl_add_u64 v[62:63], v[52:53], 3, s[4:5]
	v_pk_fma_f32 v[52:53], v[36:37], v[18:19], v[34:35] op_sel_hi:[0,1,1]
	global_load_b128 v[34:37], v[50:51], off offset:16
	v_pk_fma_f32 v[54:55], v[54:55], v[20:21], v[52:53] op_sel_hi:[0,1,1]
	s_wait_loadcnt 0x5
	v_dual_mov_b32 v18, v10 :: v_dual_mov_b32 v21, v10
	s_wait_loadcnt 0x1
	s_wait_xcnt 0x0
	s_delay_alu instid0(VALU_DEP_1) | instskip(SKIP_3) | instid1(VALU_DEP_3)
	v_pk_fma_f32 v[50:51], v[38:39], v[18:19], v[56:57] op_sel_hi:[0,1,1]
	v_dual_mov_b32 v18, v26 :: v_dual_mov_b32 v64, v41
	s_wait_loadcnt 0x0
	v_mov_b32_e32 v66, v37
	v_pk_fma_f32 v[50:51], v[38:39], v[20:21], v[50:51] op_sel:[1,0,0]
	v_mov_b32_e32 v21, v26
	s_delay_alu instid0(VALU_DEP_2) | instskip(SKIP_1) | instid1(VALU_DEP_2)
	v_pk_fma_f32 v[50:51], v[40:41], v[18:19], v[50:51] op_sel_hi:[0,1,1]
	v_mov_b32_e32 v18, v22
	v_pk_fma_f32 v[50:51], v[64:65], v[20:21], v[50:51] op_sel_hi:[0,1,1]
	v_mov_b32_e32 v21, v22
	s_delay_alu instid0(VALU_DEP_2) | instskip(SKIP_1) | instid1(VALU_DEP_2)
	v_pk_fma_f32 v[50:51], v[34:35], v[18:19], v[50:51] op_sel_hi:[0,1,1]
	v_mov_b32_e32 v18, v14
	v_pk_fma_f32 v[50:51], v[34:35], v[20:21], v[50:51] op_sel:[1,0,0]
	v_mov_b32_e32 v21, v14
	s_delay_alu instid0(VALU_DEP_2) | instskip(SKIP_1) | instid1(VALU_DEP_2)
	v_pk_fma_f32 v[50:51], v[36:37], v[18:19], v[50:51] op_sel_hi:[0,1,1]
	v_mov_b32_e32 v18, v11
	v_pk_fma_f32 v[56:57], v[66:67], v[20:21], v[50:51] op_sel_hi:[0,1,1]
	v_mov_b32_e32 v21, v11
	s_delay_alu instid0(VALU_DEP_3) | instskip(SKIP_1) | instid1(VALU_DEP_2)
	v_pk_fma_f32 v[50:51], v[38:39], v[18:19], v[58:59] op_sel_hi:[0,1,1]
	v_mov_b32_e32 v18, v27
	v_pk_fma_f32 v[10:11], v[38:39], v[20:21], v[50:51] op_sel:[1,0,0]
	v_mov_b32_e32 v21, v27
	global_load_b128 v[50:53], v[62:63], off
	v_pk_fma_f32 v[10:11], v[40:41], v[18:19], v[10:11] op_sel_hi:[0,1,1]
	v_mov_b32_e32 v18, v23
	s_delay_alu instid0(VALU_DEP_2) | instskip(SKIP_1) | instid1(VALU_DEP_2)
	v_pk_fma_f32 v[10:11], v[64:65], v[20:21], v[10:11] op_sel_hi:[0,1,1]
	v_mov_b32_e32 v21, v23
	v_pk_fma_f32 v[10:11], v[34:35], v[18:19], v[10:11] op_sel_hi:[0,1,1]
	v_mov_b32_e32 v18, v15
	s_delay_alu instid0(VALU_DEP_2) | instskip(SKIP_1) | instid1(VALU_DEP_2)
	v_pk_fma_f32 v[10:11], v[34:35], v[20:21], v[10:11] op_sel:[1,0,0]
	v_mov_b32_e32 v21, v15
	v_pk_fma_f32 v[10:11], v[36:37], v[18:19], v[10:11] op_sel_hi:[0,1,1]
	v_mov_b32_e32 v18, v12
	s_delay_alu instid0(VALU_DEP_2) | instskip(SKIP_1) | instid1(VALU_DEP_3)
	v_pk_fma_f32 v[14:15], v[66:67], v[20:21], v[10:11] op_sel_hi:[0,1,1]
	v_mov_b32_e32 v21, v12
	v_pk_fma_f32 v[10:11], v[38:39], v[18:19], v[60:61] op_sel_hi:[0,1,1]
	v_mov_b32_e32 v18, v28
	s_delay_alu instid0(VALU_DEP_2) | instskip(SKIP_1) | instid1(VALU_DEP_2)
	v_pk_fma_f32 v[10:11], v[38:39], v[20:21], v[10:11] op_sel:[1,0,0]
	v_mov_b32_e32 v21, v28
	v_pk_fma_f32 v[10:11], v[40:41], v[18:19], v[10:11] op_sel_hi:[0,1,1]
	v_mov_b32_e32 v18, v24
	s_delay_alu instid0(VALU_DEP_2) | instskip(SKIP_1) | instid1(VALU_DEP_2)
	v_pk_fma_f32 v[10:11], v[64:65], v[20:21], v[10:11] op_sel_hi:[0,1,1]
	v_mov_b32_e32 v21, v24
	v_pk_fma_f32 v[10:11], v[34:35], v[18:19], v[10:11] op_sel_hi:[0,1,1]
	v_mov_b32_e32 v18, v16
	s_delay_alu instid0(VALU_DEP_2) | instskip(SKIP_1) | instid1(VALU_DEP_2)
	v_pk_fma_f32 v[10:11], v[34:35], v[20:21], v[10:11] op_sel:[1,0,0]
	v_mov_b32_e32 v21, v16
	v_pk_fma_f32 v[10:11], v[36:37], v[18:19], v[10:11] op_sel_hi:[0,1,1]
	v_mov_b32_e32 v18, v13
	s_delay_alu instid0(VALU_DEP_2) | instskip(SKIP_1) | instid1(VALU_DEP_3)
	v_pk_fma_f32 v[22:23], v[66:67], v[20:21], v[10:11] op_sel_hi:[0,1,1]
	v_mov_b32_e32 v21, v13
	v_pk_fma_f32 v[10:11], v[38:39], v[18:19], v[54:55] op_sel_hi:[0,1,1]
	v_mov_b32_e32 v18, v29
	s_delay_alu instid0(VALU_DEP_2)
	v_pk_fma_f32 v[10:11], v[38:39], v[20:21], v[10:11] op_sel:[1,0,0]
	v_mov_b32_e32 v21, v29
	global_load_b128 v[26:29], v[62:63], off offset:16
	v_pk_fma_f32 v[10:11], v[40:41], v[18:19], v[10:11] op_sel_hi:[0,1,1]
	global_load_b128 v[38:41], v[8:9], off offset:3120
	v_mov_b32_e32 v18, v25
	s_wait_xcnt 0x0
	v_add_nc_u64_e32 v[8:9], 0x1000, v[8:9]
	v_pk_fma_f32 v[10:11], v[64:65], v[20:21], v[10:11] op_sel_hi:[0,1,1]
	v_mov_b32_e32 v21, v25
	s_delay_alu instid0(VALU_DEP_2) | instskip(SKIP_1) | instid1(VALU_DEP_2)
	v_pk_fma_f32 v[10:11], v[34:35], v[18:19], v[10:11] op_sel_hi:[0,1,1]
	v_mov_b32_e32 v18, v17
	v_pk_fma_f32 v[10:11], v[34:35], v[20:21], v[10:11] op_sel:[1,0,0]
	v_mov_b32_e32 v21, v17
	s_delay_alu instid0(VALU_DEP_2) | instskip(SKIP_1) | instid1(VALU_DEP_2)
	v_pk_fma_f32 v[10:11], v[36:37], v[18:19], v[10:11] op_sel_hi:[0,1,1]
	v_mov_b32_e32 v18, v30
	v_pk_fma_f32 v[34:35], v[66:67], v[20:21], v[10:11] op_sel_hi:[0,1,1]
	v_mov_b32_e32 v21, v30
	s_wait_loadcnt 0x2
	s_delay_alu instid0(VALU_DEP_3) | instskip(SKIP_1) | instid1(VALU_DEP_2)
	v_pk_fma_f32 v[10:11], v[50:51], v[18:19], v[56:57] op_sel_hi:[0,1,1]
	v_dual_mov_b32 v18, v46 :: v_dual_mov_b32 v16, v53
	v_pk_fma_f32 v[10:11], v[50:51], v[20:21], v[10:11] op_sel:[1,0,0]
	v_mov_b32_e32 v21, v46
	s_delay_alu instid0(VALU_DEP_2) | instskip(SKIP_2) | instid1(VALU_DEP_2)
	v_pk_fma_f32 v[10:11], v[52:53], v[18:19], v[10:11] op_sel_hi:[0,1,1]
	s_wait_loadcnt 0x1
	v_dual_mov_b32 v18, v42 :: v_dual_mov_b32 v24, v29
	v_pk_fma_f32 v[10:11], v[16:17], v[20:21], v[10:11] op_sel_hi:[0,1,1]
	v_mov_b32_e32 v21, v42
	s_delay_alu instid0(VALU_DEP_2) | instskip(SKIP_2) | instid1(VALU_DEP_2)
	v_pk_fma_f32 v[10:11], v[26:27], v[18:19], v[10:11] op_sel_hi:[0,1,1]
	s_wait_loadcnt 0x0
	v_mov_b32_e32 v18, v38
	v_pk_fma_f32 v[10:11], v[26:27], v[20:21], v[10:11] op_sel:[1,0,0]
	v_mov_b32_e32 v21, v38
	s_delay_alu instid0(VALU_DEP_2) | instskip(SKIP_1) | instid1(VALU_DEP_2)
	v_pk_fma_f32 v[10:11], v[28:29], v[18:19], v[10:11] op_sel_hi:[0,1,1]
	v_mov_b32_e32 v18, v31
	v_pk_fma_f32 v[10:11], v[24:25], v[20:21], v[10:11] op_sel_hi:[0,1,1]
	v_mov_b32_e32 v21, v31
	s_delay_alu instid0(VALU_DEP_3) | instskip(SKIP_1) | instid1(VALU_DEP_2)
	v_pk_fma_f32 v[12:13], v[50:51], v[18:19], v[14:15] op_sel_hi:[0,1,1]
	v_mov_b32_e32 v18, v47
	v_pk_fma_f32 v[12:13], v[50:51], v[20:21], v[12:13] op_sel:[1,0,0]
	v_mov_b32_e32 v21, v47
	s_delay_alu instid0(VALU_DEP_2) | instskip(SKIP_1) | instid1(VALU_DEP_2)
	v_pk_fma_f32 v[12:13], v[52:53], v[18:19], v[12:13] op_sel_hi:[0,1,1]
	v_mov_b32_e32 v18, v43
	v_pk_fma_f32 v[12:13], v[16:17], v[20:21], v[12:13] op_sel_hi:[0,1,1]
	v_mov_b32_e32 v21, v43
	s_delay_alu instid0(VALU_DEP_2) | instskip(SKIP_1) | instid1(VALU_DEP_2)
	v_pk_fma_f32 v[12:13], v[26:27], v[18:19], v[12:13] op_sel_hi:[0,1,1]
	v_mov_b32_e32 v18, v39
	v_pk_fma_f32 v[12:13], v[26:27], v[20:21], v[12:13] op_sel:[1,0,0]
	v_mov_b32_e32 v21, v39
	s_delay_alu instid0(VALU_DEP_2) | instskip(SKIP_1) | instid1(VALU_DEP_2)
	v_pk_fma_f32 v[12:13], v[28:29], v[18:19], v[12:13] op_sel_hi:[0,1,1]
	v_mov_b32_e32 v18, v32
	v_pk_fma_f32 v[12:13], v[24:25], v[20:21], v[12:13] op_sel_hi:[0,1,1]
	v_mov_b32_e32 v21, v32
	s_delay_alu instid0(VALU_DEP_3) | instskip(SKIP_1) | instid1(VALU_DEP_2)
	v_pk_fma_f32 v[14:15], v[50:51], v[18:19], v[22:23] op_sel_hi:[0,1,1]
	v_mov_b32_e32 v18, v48
	v_pk_fma_f32 v[14:15], v[50:51], v[20:21], v[14:15] op_sel:[1,0,0]
	v_mov_b32_e32 v21, v48
	s_delay_alu instid0(VALU_DEP_2) | instskip(SKIP_1) | instid1(VALU_DEP_2)
	v_pk_fma_f32 v[14:15], v[52:53], v[18:19], v[14:15] op_sel_hi:[0,1,1]
	v_mov_b32_e32 v18, v44
	v_pk_fma_f32 v[14:15], v[16:17], v[20:21], v[14:15] op_sel_hi:[0,1,1]
	v_mov_b32_e32 v21, v44
	s_delay_alu instid0(VALU_DEP_2) | instskip(SKIP_1) | instid1(VALU_DEP_2)
	v_pk_fma_f32 v[14:15], v[26:27], v[18:19], v[14:15] op_sel_hi:[0,1,1]
	;; [unrolled: 20-line block ×3, first 2 shown]
	v_mov_b32_e32 v18, v41
	v_pk_fma_f32 v[16:17], v[26:27], v[20:21], v[16:17] op_sel:[1,0,0]
	v_mov_b32_e32 v21, v41
	s_delay_alu instid0(VALU_DEP_2) | instskip(NEXT) | instid1(VALU_DEP_1)
	v_pk_fma_f32 v[16:17], v[28:29], v[18:19], v[16:17] op_sel_hi:[0,1,1]
	v_pk_fma_f32 v[16:17], v[24:25], v[20:21], v[16:17] op_sel_hi:[0,1,1]
	s_and_not1_b32 exec_lo, exec_lo, s7
	s_cbranch_execnz .LBB122_29
; %bb.30:
	s_or_b32 exec_lo, exec_lo, s7
.LBB122_31:
	s_delay_alu instid0(SALU_CYCLE_1)
	s_or_b32 exec_lo, exec_lo, s3
.LBB122_32:
	s_delay_alu instid0(SALU_CYCLE_1)
	s_or_b32 exec_lo, exec_lo, s6
.LBB122_33:
	v_mbcnt_lo_u32_b32 v0, -1, 0
	s_delay_alu instid0(VALU_DEP_1) | instskip(SKIP_1) | instid1(VALU_DEP_1)
	v_xor_b32_e32 v23, 4, v0
	v_xor_b32_e32 v1, 8, v0
	v_cmp_gt_i32_e32 vcc_lo, 32, v1
	v_cndmask_b32_e32 v1, v0, v1, vcc_lo
	s_delay_alu instid0(VALU_DEP_4) | instskip(SKIP_1) | instid1(VALU_DEP_1)
	v_cmp_gt_i32_e32 vcc_lo, 32, v23
	v_cndmask_b32_e32 v23, v0, v23, vcc_lo
	v_dual_lshlrev_b32 v23, 2, v23 :: v_dual_lshlrev_b32 v1, 2, v1
	ds_bpermute_b32 v8, v1, v10
	s_wait_dscnt 0x0
	v_add_f32_e32 v8, v10, v8
	ds_bpermute_b32 v9, v1, v11
	ds_bpermute_b32 v18, v1, v12
	;; [unrolled: 1-line block ×7, first 2 shown]
	s_wait_dscnt 0x5
	v_dual_add_f32 v9, v11, v9 :: v_dual_add_f32 v10, v12, v18
	s_wait_dscnt 0x3
	v_dual_add_f32 v11, v13, v19 :: v_dual_add_f32 v12, v14, v20
	s_wait_dscnt 0x2
	v_add_f32_e32 v13, v15, v21
	ds_bpermute_b32 v15, v23, v8
	s_wait_dscnt 0x1
	v_dual_add_f32 v14, v16, v22 :: v_dual_add_f32 v1, v17, v1
	ds_bpermute_b32 v16, v23, v9
	ds_bpermute_b32 v17, v23, v10
	;; [unrolled: 1-line block ×7, first 2 shown]
	s_wait_dscnt 0x7
	v_dual_add_f32 v8, v8, v15 :: v_dual_bitop2_b32 v23, 2, v0 bitop3:0x14
	s_delay_alu instid0(VALU_DEP_1)
	v_cmp_gt_i32_e32 vcc_lo, 32, v23
	s_wait_dscnt 0x5
	v_dual_add_f32 v9, v9, v16 :: v_dual_add_f32 v10, v10, v17
	s_wait_dscnt 0x3
	v_dual_add_f32 v11, v11, v18 :: v_dual_add_f32 v12, v12, v19
	s_wait_dscnt 0x2
	v_dual_cndmask_b32 v23, v0, v23, vcc_lo :: v_dual_add_f32 v13, v13, v20
	s_wait_dscnt 0x0
	v_dual_add_f32 v14, v14, v21 :: v_dual_add_f32 v15, v1, v22
	s_delay_alu instid0(VALU_DEP_2)
	v_lshlrev_b32_e32 v23, 2, v23
	ds_bpermute_b32 v1, v23, v8
	ds_bpermute_b32 v16, v23, v9
	;; [unrolled: 1-line block ×8, first 2 shown]
	v_xor_b32_e32 v23, 1, v0
	s_delay_alu instid0(VALU_DEP_1) | instskip(SKIP_3) | instid1(VALU_DEP_2)
	v_cmp_gt_i32_e32 vcc_lo, 32, v23
	v_cndmask_b32_e32 v0, v0, v23, vcc_lo
	v_cmp_eq_u32_e32 vcc_lo, 15, v7
	s_wait_dscnt 0x7
	v_dual_add_f32 v0, v8, v1 :: v_dual_lshlrev_b32 v23, 2, v0
	s_wait_dscnt 0x5
	v_dual_add_f32 v1, v9, v16 :: v_dual_add_f32 v8, v10, v17
	s_wait_dscnt 0x3
	v_dual_add_f32 v9, v11, v18 :: v_dual_add_f32 v10, v12, v19
	;; [unrolled: 2-line block ×3, first 2 shown]
	s_wait_dscnt 0x0
	v_add_f32_e32 v13, v15, v22
	ds_bpermute_b32 v14, v23, v0
	ds_bpermute_b32 v15, v23, v1
	;; [unrolled: 1-line block ×8, first 2 shown]
	s_and_b32 exec_lo, exec_lo, vcc_lo
	s_cbranch_execz .LBB122_6
; %bb.34:
	s_load_b64 s[0:1], s[0:1], 0x50
	v_cmp_eq_f32_e32 vcc_lo, 0, v4
	s_wait_dscnt 0x6
	v_dual_add_f32 v0, v0, v14 :: v_dual_add_f32 v22, v1, v15
	s_wait_dscnt 0x4
	v_dual_add_f32 v8, v8, v16 :: v_dual_add_f32 v20, v9, v17
	;; [unrolled: 2-line block ×4, first 2 shown]
	v_xor_b32_e32 v18, 0x80000000, v3
	v_lshlrev_b32_e32 v6, 2, v6
	s_xor_b32 s2, s2, -1
	s_delay_alu instid0(SALU_CYCLE_1) | instskip(NEXT) | instid1(SALU_CYCLE_1)
	s_and_b32 s2, vcc_lo, s2
	s_and_saveexec_b32 s3, s2
	s_delay_alu instid0(SALU_CYCLE_1)
	s_xor_b32 s2, exec_lo, s3
	s_cbranch_execz .LBB122_36
; %bb.35:
	v_dual_mov_b32 v19, v2 :: v_dual_ashrrev_i32 v7, 31, v6
	s_delay_alu instid0(VALU_DEP_1)
	v_pk_mul_f32 v[4:5], v[22:23], v[18:19] op_sel_hi:[0,1]
	v_pk_mul_f32 v[20:21], v[20:21], v[18:19] op_sel_hi:[0,1]
	;; [unrolled: 1-line block ×4, first 2 shown]
	s_wait_kmcnt 0x0
	v_lshl_add_u64 v[18:19], v[6:7], 3, s[0:1]
	v_pk_fma_f32 v[4:5], v[2:3], v[0:1], v[4:5] op_sel_hi:[1,0,1]
	v_pk_fma_f32 v[6:7], v[2:3], v[8:9], v[20:21] op_sel_hi:[1,0,1]
	;; [unrolled: 1-line block ×4, first 2 shown]
                                        ; implicit-def: $vgpr22
                                        ; implicit-def: $vgpr8
                                        ; implicit-def: $vgpr20
                                        ; implicit-def: $vgpr10
                                        ; implicit-def: $vgpr16
                                        ; implicit-def: $vgpr12
                                        ; implicit-def: $vgpr14
	s_clause 0x1
	global_store_b128 v[18:19], v[4:7], off
	global_store_b128 v[18:19], v[0:3], off offset:16
                                        ; implicit-def: $vgpr0
                                        ; implicit-def: $vgpr2_vgpr3
                                        ; implicit-def: $vgpr4_vgpr5
                                        ; implicit-def: $vgpr18
                                        ; implicit-def: $vgpr6
.LBB122_36:
	s_wait_xcnt 0x0
	s_and_not1_saveexec_b32 s2, s2
	s_cbranch_execz .LBB122_6
; %bb.37:
	v_dual_ashrrev_i32 v7, 31, v6 :: v_dual_mov_b32 v19, v2
	s_wait_kmcnt 0x0
	s_delay_alu instid0(VALU_DEP_1) | instskip(NEXT) | instid1(VALU_DEP_2)
	v_lshl_add_u64 v[32:33], v[6:7], 3, s[0:1]
	v_pk_mul_f32 v[6:7], v[22:23], v[18:19] op_sel_hi:[0,1]
	v_pk_mul_f32 v[20:21], v[20:21], v[18:19] op_sel_hi:[0,1]
	;; [unrolled: 1-line block ×4, first 2 shown]
	s_clause 0x1
	global_load_b128 v[24:27], v[32:33], off
	global_load_b128 v[28:31], v[32:33], off offset:16
	v_pk_fma_f32 v[0:1], v[2:3], v[0:1], v[6:7] op_sel_hi:[1,0,1]
	v_pk_fma_f32 v[6:7], v[2:3], v[8:9], v[20:21] op_sel_hi:[1,0,1]
	;; [unrolled: 1-line block ×4, first 2 shown]
	v_xor_b32_e32 v22, 0x80000000, v5
	s_wait_loadcnt 0x1
	v_dual_mov_b32 v23, v4 :: v_dual_mov_b32 v10, v27
	v_pk_fma_f32 v[0:1], v[4:5], v[24:25], v[0:1] op_sel_hi:[1,0,1]
	v_pk_fma_f32 v[6:7], v[4:5], v[26:27], v[6:7] op_sel_hi:[1,0,1]
	s_wait_loadcnt 0x0
	v_pk_fma_f32 v[8:9], v[4:5], v[28:29], v[8:9] op_sel_hi:[1,0,1]
	v_pk_fma_f32 v[12:13], v[4:5], v[30:31], v[2:3] op_sel_hi:[1,0,1]
	v_mov_b32_e32 v14, v31
	v_pk_fma_f32 v[0:1], v[22:23], v[24:25], v[0:1] op_sel:[0,1,0]
	v_pk_fma_f32 v[2:3], v[22:23], v[10:11], v[6:7] op_sel_hi:[1,0,1]
	v_pk_fma_f32 v[4:5], v[22:23], v[28:29], v[8:9] op_sel:[0,1,0]
	s_delay_alu instid0(VALU_DEP_4)
	v_pk_fma_f32 v[6:7], v[22:23], v[14:15], v[12:13] op_sel_hi:[1,0,1]
	s_clause 0x1
	global_store_b128 v[32:33], v[0:3], off
	global_store_b128 v[32:33], v[4:7], off offset:16
	s_sendmsg sendmsg(MSG_DEALLOC_VGPRS)
	s_endpgm
	.section	.rodata,"a",@progbits
	.p2align	6, 0x0
	.amdhsa_kernel _ZN9rocsparseL18bsrxmvn_4x4_kernelILj128ELj16E21rocsparse_complex_numIfEiifS2_S2_EEvT3_20rocsparse_direction_NS_24const_host_device_scalarIT1_EES3_PKS3_PKT2_SC_S9_PKT4_PKT5_S7_PT6_21rocsparse_index_base_b
		.amdhsa_group_segment_fixed_size 0
		.amdhsa_private_segment_fixed_size 0
		.amdhsa_kernarg_size 96
		.amdhsa_user_sgpr_count 2
		.amdhsa_user_sgpr_dispatch_ptr 0
		.amdhsa_user_sgpr_queue_ptr 0
		.amdhsa_user_sgpr_kernarg_segment_ptr 1
		.amdhsa_user_sgpr_dispatch_id 0
		.amdhsa_user_sgpr_kernarg_preload_length 0
		.amdhsa_user_sgpr_kernarg_preload_offset 0
		.amdhsa_user_sgpr_private_segment_size 0
		.amdhsa_wavefront_size32 1
		.amdhsa_uses_dynamic_stack 0
		.amdhsa_enable_private_segment 0
		.amdhsa_system_sgpr_workgroup_id_x 1
		.amdhsa_system_sgpr_workgroup_id_y 0
		.amdhsa_system_sgpr_workgroup_id_z 0
		.amdhsa_system_sgpr_workgroup_info 0
		.amdhsa_system_vgpr_workitem_id 0
		.amdhsa_next_free_vgpr 74
		.amdhsa_next_free_sgpr 16
		.amdhsa_named_barrier_count 0
		.amdhsa_reserve_vcc 1
		.amdhsa_float_round_mode_32 0
		.amdhsa_float_round_mode_16_64 0
		.amdhsa_float_denorm_mode_32 3
		.amdhsa_float_denorm_mode_16_64 3
		.amdhsa_fp16_overflow 0
		.amdhsa_memory_ordered 1
		.amdhsa_forward_progress 1
		.amdhsa_inst_pref_size 64
		.amdhsa_round_robin_scheduling 0
		.amdhsa_exception_fp_ieee_invalid_op 0
		.amdhsa_exception_fp_denorm_src 0
		.amdhsa_exception_fp_ieee_div_zero 0
		.amdhsa_exception_fp_ieee_overflow 0
		.amdhsa_exception_fp_ieee_underflow 0
		.amdhsa_exception_fp_ieee_inexact 0
		.amdhsa_exception_int_div_zero 0
	.end_amdhsa_kernel
	.section	.text._ZN9rocsparseL18bsrxmvn_4x4_kernelILj128ELj16E21rocsparse_complex_numIfEiifS2_S2_EEvT3_20rocsparse_direction_NS_24const_host_device_scalarIT1_EES3_PKS3_PKT2_SC_S9_PKT4_PKT5_S7_PT6_21rocsparse_index_base_b,"axG",@progbits,_ZN9rocsparseL18bsrxmvn_4x4_kernelILj128ELj16E21rocsparse_complex_numIfEiifS2_S2_EEvT3_20rocsparse_direction_NS_24const_host_device_scalarIT1_EES3_PKS3_PKT2_SC_S9_PKT4_PKT5_S7_PT6_21rocsparse_index_base_b,comdat
.Lfunc_end122:
	.size	_ZN9rocsparseL18bsrxmvn_4x4_kernelILj128ELj16E21rocsparse_complex_numIfEiifS2_S2_EEvT3_20rocsparse_direction_NS_24const_host_device_scalarIT1_EES3_PKS3_PKT2_SC_S9_PKT4_PKT5_S7_PT6_21rocsparse_index_base_b, .Lfunc_end122-_ZN9rocsparseL18bsrxmvn_4x4_kernelILj128ELj16E21rocsparse_complex_numIfEiifS2_S2_EEvT3_20rocsparse_direction_NS_24const_host_device_scalarIT1_EES3_PKS3_PKT2_SC_S9_PKT4_PKT5_S7_PT6_21rocsparse_index_base_b
                                        ; -- End function
	.set _ZN9rocsparseL18bsrxmvn_4x4_kernelILj128ELj16E21rocsparse_complex_numIfEiifS2_S2_EEvT3_20rocsparse_direction_NS_24const_host_device_scalarIT1_EES3_PKS3_PKT2_SC_S9_PKT4_PKT5_S7_PT6_21rocsparse_index_base_b.num_vgpr, 74
	.set _ZN9rocsparseL18bsrxmvn_4x4_kernelILj128ELj16E21rocsparse_complex_numIfEiifS2_S2_EEvT3_20rocsparse_direction_NS_24const_host_device_scalarIT1_EES3_PKS3_PKT2_SC_S9_PKT4_PKT5_S7_PT6_21rocsparse_index_base_b.num_agpr, 0
	.set _ZN9rocsparseL18bsrxmvn_4x4_kernelILj128ELj16E21rocsparse_complex_numIfEiifS2_S2_EEvT3_20rocsparse_direction_NS_24const_host_device_scalarIT1_EES3_PKS3_PKT2_SC_S9_PKT4_PKT5_S7_PT6_21rocsparse_index_base_b.numbered_sgpr, 16
	.set _ZN9rocsparseL18bsrxmvn_4x4_kernelILj128ELj16E21rocsparse_complex_numIfEiifS2_S2_EEvT3_20rocsparse_direction_NS_24const_host_device_scalarIT1_EES3_PKS3_PKT2_SC_S9_PKT4_PKT5_S7_PT6_21rocsparse_index_base_b.num_named_barrier, 0
	.set _ZN9rocsparseL18bsrxmvn_4x4_kernelILj128ELj16E21rocsparse_complex_numIfEiifS2_S2_EEvT3_20rocsparse_direction_NS_24const_host_device_scalarIT1_EES3_PKS3_PKT2_SC_S9_PKT4_PKT5_S7_PT6_21rocsparse_index_base_b.private_seg_size, 0
	.set _ZN9rocsparseL18bsrxmvn_4x4_kernelILj128ELj16E21rocsparse_complex_numIfEiifS2_S2_EEvT3_20rocsparse_direction_NS_24const_host_device_scalarIT1_EES3_PKS3_PKT2_SC_S9_PKT4_PKT5_S7_PT6_21rocsparse_index_base_b.uses_vcc, 1
	.set _ZN9rocsparseL18bsrxmvn_4x4_kernelILj128ELj16E21rocsparse_complex_numIfEiifS2_S2_EEvT3_20rocsparse_direction_NS_24const_host_device_scalarIT1_EES3_PKS3_PKT2_SC_S9_PKT4_PKT5_S7_PT6_21rocsparse_index_base_b.uses_flat_scratch, 1
	.set _ZN9rocsparseL18bsrxmvn_4x4_kernelILj128ELj16E21rocsparse_complex_numIfEiifS2_S2_EEvT3_20rocsparse_direction_NS_24const_host_device_scalarIT1_EES3_PKS3_PKT2_SC_S9_PKT4_PKT5_S7_PT6_21rocsparse_index_base_b.has_dyn_sized_stack, 0
	.set _ZN9rocsparseL18bsrxmvn_4x4_kernelILj128ELj16E21rocsparse_complex_numIfEiifS2_S2_EEvT3_20rocsparse_direction_NS_24const_host_device_scalarIT1_EES3_PKS3_PKT2_SC_S9_PKT4_PKT5_S7_PT6_21rocsparse_index_base_b.has_recursion, 0
	.set _ZN9rocsparseL18bsrxmvn_4x4_kernelILj128ELj16E21rocsparse_complex_numIfEiifS2_S2_EEvT3_20rocsparse_direction_NS_24const_host_device_scalarIT1_EES3_PKS3_PKT2_SC_S9_PKT4_PKT5_S7_PT6_21rocsparse_index_base_b.has_indirect_call, 0
	.section	.AMDGPU.csdata,"",@progbits
; Kernel info:
; codeLenInByte = 8172
; TotalNumSgprs: 18
; NumVgprs: 74
; ScratchSize: 0
; MemoryBound: 0
; FloatMode: 240
; IeeeMode: 1
; LDSByteSize: 0 bytes/workgroup (compile time only)
; SGPRBlocks: 0
; VGPRBlocks: 4
; NumSGPRsForWavesPerEU: 18
; NumVGPRsForWavesPerEU: 74
; NamedBarCnt: 0
; Occupancy: 12
; WaveLimiterHint : 1
; COMPUTE_PGM_RSRC2:SCRATCH_EN: 0
; COMPUTE_PGM_RSRC2:USER_SGPR: 2
; COMPUTE_PGM_RSRC2:TRAP_HANDLER: 0
; COMPUTE_PGM_RSRC2:TGID_X_EN: 1
; COMPUTE_PGM_RSRC2:TGID_Y_EN: 0
; COMPUTE_PGM_RSRC2:TGID_Z_EN: 0
; COMPUTE_PGM_RSRC2:TIDIG_COMP_CNT: 0
	.section	.text._ZN9rocsparseL18bsrxmvn_4x4_kernelILj128ELj32E21rocsparse_complex_numIfEiifS2_S2_EEvT3_20rocsparse_direction_NS_24const_host_device_scalarIT1_EES3_PKS3_PKT2_SC_S9_PKT4_PKT5_S7_PT6_21rocsparse_index_base_b,"axG",@progbits,_ZN9rocsparseL18bsrxmvn_4x4_kernelILj128ELj32E21rocsparse_complex_numIfEiifS2_S2_EEvT3_20rocsparse_direction_NS_24const_host_device_scalarIT1_EES3_PKS3_PKT2_SC_S9_PKT4_PKT5_S7_PT6_21rocsparse_index_base_b,comdat
	.globl	_ZN9rocsparseL18bsrxmvn_4x4_kernelILj128ELj32E21rocsparse_complex_numIfEiifS2_S2_EEvT3_20rocsparse_direction_NS_24const_host_device_scalarIT1_EES3_PKS3_PKT2_SC_S9_PKT4_PKT5_S7_PT6_21rocsparse_index_base_b ; -- Begin function _ZN9rocsparseL18bsrxmvn_4x4_kernelILj128ELj32E21rocsparse_complex_numIfEiifS2_S2_EEvT3_20rocsparse_direction_NS_24const_host_device_scalarIT1_EES3_PKS3_PKT2_SC_S9_PKT4_PKT5_S7_PT6_21rocsparse_index_base_b
	.p2align	8
	.type	_ZN9rocsparseL18bsrxmvn_4x4_kernelILj128ELj32E21rocsparse_complex_numIfEiifS2_S2_EEvT3_20rocsparse_direction_NS_24const_host_device_scalarIT1_EES3_PKS3_PKT2_SC_S9_PKT4_PKT5_S7_PT6_21rocsparse_index_base_b,@function
_ZN9rocsparseL18bsrxmvn_4x4_kernelILj128ELj32E21rocsparse_complex_numIfEiifS2_S2_EEvT3_20rocsparse_direction_NS_24const_host_device_scalarIT1_EES3_PKS3_PKT2_SC_S9_PKT4_PKT5_S7_PT6_21rocsparse_index_base_b: ; @_ZN9rocsparseL18bsrxmvn_4x4_kernelILj128ELj32E21rocsparse_complex_numIfEiifS2_S2_EEvT3_20rocsparse_direction_NS_24const_host_device_scalarIT1_EES3_PKS3_PKT2_SC_S9_PKT4_PKT5_S7_PT6_21rocsparse_index_base_b
; %bb.0:
	s_clause 0x2
	s_load_b64 s[12:13], s[0:1], 0x58
	s_load_b64 s[2:3], s[0:1], 0x8
	;; [unrolled: 1-line block ×3, first 2 shown]
	v_mov_b32_e32 v1, 0
	s_add_nc_u64 s[6:7], s[0:1], 8
	s_add_nc_u64 s[8:9], s[0:1], 0x48
	s_wait_kmcnt 0x0
	s_bitcmp1_b32 s13, 0
	s_cselect_b32 s3, s7, s3
	s_cselect_b32 s2, s6, s2
	;; [unrolled: 1-line block ×4, first 2 shown]
	s_clause 0x1
	flat_load_b64 v[2:3], v1, s[2:3]
	flat_load_b64 v[4:5], v1, s[4:5]
	s_wait_loadcnt_dscnt 0x101
	v_cmp_neq_f32_e32 vcc_lo, 0, v2
	v_cmp_neq_f32_e64 s3, 0, v3
	s_wait_loadcnt_dscnt 0x0
	v_cmp_neq_f32_e64 s4, 1.0, v4
	v_cmp_neq_f32_e64 s2, 0, v5
	s_or_b32 s5, vcc_lo, s3
	s_mov_b32 s3, 0
	s_or_b32 s4, s4, s2
	s_delay_alu instid0(SALU_CYCLE_1) | instskip(NEXT) | instid1(SALU_CYCLE_1)
	s_or_b32 s4, s5, s4
	s_and_saveexec_b32 s5, s4
	s_cbranch_execz .LBB123_6
; %bb.1:
	s_clause 0x1
	s_load_b64 s[4:5], s[0:1], 0x18
	s_load_b64 s[14:15], s[0:1], 0x0
	s_bfe_u32 s6, ttmp6, 0x4000c
	s_and_b32 s7, ttmp6, 15
	s_add_co_i32 s6, s6, 1
	s_getreg_b32 s8, hwreg(HW_REG_IB_STS2, 6, 4)
	s_mul_i32 s6, ttmp9, s6
	v_lshrrev_b32_e32 v1, 5, v0
	s_add_co_i32 s7, s7, s6
	s_cmp_eq_u32 s8, 0
	s_cselect_b32 s6, ttmp9, s7
	s_delay_alu instid0(VALU_DEP_1) | instid1(SALU_CYCLE_1)
	v_lshl_or_b32 v6, s6, 2, v1
	s_wait_kmcnt 0x0
	s_cmp_lg_u64 s[4:5], 0
	s_cbranch_scc0 .LBB123_7
; %bb.2:
	s_load_b32 s3, s[0:1], 0x10
	s_mov_b32 s6, 0
                                        ; implicit-def: $vgpr1
	s_wait_kmcnt 0x0
	v_cmp_gt_i32_e32 vcc_lo, s3, v6
	s_mov_b32 s3, 0
	s_and_saveexec_b32 s7, vcc_lo
	s_delay_alu instid0(SALU_CYCLE_1)
	s_xor_b32 s7, exec_lo, s7
	s_cbranch_execz .LBB123_4
; %bb.3:
	global_load_b32 v1, v6, s[4:5] scale_offset
	s_mov_b32 s3, exec_lo
	s_wait_loadcnt 0x0
	v_subrev_nc_u32_e32 v1, s12, v1
.LBB123_4:
	s_or_b32 exec_lo, exec_lo, s7
	s_delay_alu instid0(SALU_CYCLE_1)
	s_and_b32 vcc_lo, exec_lo, s6
	s_cbranch_vccz .LBB123_8
.LBB123_5:
	v_cmp_gt_i32_e32 vcc_lo, s14, v6
	s_and_not1_b32 s3, s3, exec_lo
	s_and_b32 s4, vcc_lo, exec_lo
	s_delay_alu instid0(SALU_CYCLE_1) | instskip(NEXT) | instid1(SALU_CYCLE_1)
	s_or_b32 s3, s3, s4
	s_and_b32 exec_lo, exec_lo, s3
	s_cbranch_execnz .LBB123_9
.LBB123_6:
	s_sendmsg sendmsg(MSG_DEALLOC_VGPRS)
	s_endpgm
.LBB123_7:
                                        ; implicit-def: $vgpr1
	s_cbranch_execnz .LBB123_5
.LBB123_8:
	s_delay_alu instid0(VALU_DEP_1)
	v_mov_b32_e32 v6, v1
	s_and_b32 exec_lo, exec_lo, s3
	s_cbranch_execz .LBB123_6
.LBB123_9:
	s_load_b256 s[4:11], s[0:1], 0x20
	s_wait_kmcnt 0x0
	s_cmp_eq_u64 s[6:7], 0
	global_load_b32 v24, v6, s[4:5] scale_offset
	s_cselect_b32 vcc_lo, -1, 0
	v_ashrrev_i32_e32 v7, 31, v6
	s_cmp_eq_u32 s15, 1
	s_delay_alu instid0(VALU_DEP_1) | instskip(SKIP_1) | instid1(VALU_DEP_2)
	v_lshlrev_b64_e32 v[8:9], 2, v[6:7]
	v_and_b32_e32 v7, 31, v0
	v_add_nc_u64_e32 v[10:11], s[4:5], v[8:9]
	v_add_nc_u64_e32 v[8:9], s[6:7], v[8:9]
	s_wait_xcnt 0x0
	s_load_b64 s[4:5], s[0:1], 0x40
	s_delay_alu instid0(VALU_DEP_2) | instskip(NEXT) | instid1(VALU_DEP_1)
	v_add_nc_u64_e32 v[10:11], 4, v[10:11]
	v_dual_cndmask_b32 v9, v9, v11 :: v_dual_cndmask_b32 v8, v8, v10
	global_load_b32 v10, v[8:9], off
	s_wait_loadcnt 0x1
	v_subrev_nc_u32_e32 v0, s12, v24
	s_delay_alu instid0(VALU_DEP_1) | instskip(NEXT) | instid1(VALU_DEP_1)
	v_add_nc_u32_e32 v0, v0, v7
	v_ashrrev_i32_e32 v1, 31, v0
	s_wait_xcnt 0x0
	s_delay_alu instid0(VALU_DEP_1) | instskip(NEXT) | instid1(VALU_DEP_1)
	v_lshlrev_b64_e32 v[8:9], 6, v[0:1]
	v_add_nc_u64_e32 v[8:9], s[10:11], v[8:9]
	s_wait_loadcnt 0x0
	v_subrev_nc_u32_e32 v1, s12, v10
	s_delay_alu instid0(VALU_DEP_1)
	v_cmp_lt_i32_e64 s3, v0, v1
	s_cbranch_scc1 .LBB123_21
; %bb.10:
	v_dual_mov_b32 v11, 0 :: v_dual_mov_b32 v10, 0
	v_dual_mov_b32 v13, 0 :: v_dual_mov_b32 v12, 0
	;; [unrolled: 1-line block ×4, first 2 shown]
	s_and_saveexec_b32 s6, s3
	s_cbranch_execz .LBB123_20
; %bb.11:
	v_add_nc_u32_e32 v10, v24, v7
	v_not_b32_e32 v11, v24
	v_mov_b64_e32 v[12:13], 0
	v_mov_b64_e32 v[14:15], 0
	;; [unrolled: 1-line block ×3, first 2 shown]
	v_subrev_nc_u32_e32 v10, s12, v10
	v_mov_b64_e32 v[18:19], v[8:9]
	s_mov_b32 s7, exec_lo
	v_mov_b32_e32 v25, v0
	s_delay_alu instid0(VALU_DEP_3) | instskip(NEXT) | instid1(VALU_DEP_1)
	v_add_max_i32_e64 v10, v10, 32, v1
	v_add3_u32 v10, s12, v10, v11
	s_delay_alu instid0(VALU_DEP_1) | instskip(SKIP_1) | instid1(VALU_DEP_2)
	v_sub_nc_u32_e32 v26, v10, v7
	v_mov_b64_e32 v[10:11], 0
	v_and_b32_e32 v20, 0x60, v26
	s_delay_alu instid0(VALU_DEP_1)
	v_cmpx_ne_u32_e32 0x60, v20
	s_cbranch_execz .LBB123_15
; %bb.12:
	v_dual_mov_b32 v21, 0 :: v_dual_lshrrev_b32 v10, 5, v26
	v_mov_b32_e32 v25, v0
	v_mov_b64_e32 v[18:19], v[8:9]
	v_bfrev_b32_e32 v22, 1
	s_delay_alu instid0(VALU_DEP_4) | instskip(SKIP_2) | instid1(VALU_DEP_3)
	v_dual_add_nc_u32 v10, 1, v10 :: v_dual_mov_b32 v14, v21
	v_dual_mov_b32 v16, v21 :: v_dual_mov_b32 v17, v21
	v_dual_mov_b32 v15, v21 :: v_dual_mov_b32 v12, v21
	v_dual_mov_b32 v13, v21 :: v_dual_bitop2_b32 v11, 3, v10 bitop3:0x40
	v_mov_b32_e32 v10, v21
	s_mov_b32 s10, 0
	s_delay_alu instid0(VALU_DEP_2)
	v_dual_sub_nc_u32 v27, 0, v11 :: v_dual_mov_b32 v11, v21
.LBB123_13:                             ; =>This Inner Loop Header: Depth=1
	global_load_b32 v20, v25, s[8:9] scale_offset
	s_clause 0x1
	global_load_b128 v[28:31], v[18:19], off offset:16
	global_load_b128 v[32:35], v[18:19], off
	s_wait_xcnt 0x2
	v_add_nc_u32_e32 v25, 32, v25
	v_add_co_u32 v27, s11, v27, 1
	s_or_b32 s10, s11, s10
	s_wait_loadcnt 0x2
	v_subrev_nc_u32_e32 v20, s12, v20
	s_wait_loadcnt 0x0
	s_delay_alu instid0(VALU_DEP_1) | instskip(NEXT) | instid1(VALU_DEP_1)
	v_dual_mov_b32 v23, v32 :: v_dual_lshlrev_b32 v36, 2, v20
	v_dual_mov_b32 v20, v32 :: v_dual_ashrrev_i32 v37, 31, v36
	s_wait_kmcnt 0x0
	s_delay_alu instid0(VALU_DEP_1)
	v_lshl_add_u64 v[52:53], v[36:37], 3, s[4:5]
	s_clause 0x1
	global_load_b128 v[36:39], v[52:53], off
	global_load_b128 v[40:43], v[52:53], off offset:16
	s_clause 0x1
	global_load_b128 v[44:47], v[18:19], off offset:32
	global_load_b128 v[48:51], v[18:19], off offset:48
	s_wait_xcnt 0x0
	v_add_nc_u64_e32 v[18:19], 0x800, v[18:19]
	s_wait_loadcnt 0x3
	v_pk_fma_f32 v[10:11], v[36:37], v[20:21], v[10:11] op_sel_hi:[0,1,1]
	v_dual_mov_b32 v20, v33 :: v_dual_mov_b32 v32, v39
	s_wait_loadcnt 0x2
	v_mov_b32_e32 v52, v43
	s_delay_alu instid0(VALU_DEP_3) | instskip(SKIP_1) | instid1(VALU_DEP_2)
	v_pk_fma_f32 v[10:11], v[36:37], v[22:23], v[10:11] op_sel:[1,0,0]
	v_mov_b32_e32 v23, v33
	v_pk_fma_f32 v[10:11], v[38:39], v[20:21], v[10:11] op_sel_hi:[0,1,1]
	v_mov_b32_e32 v20, v34
	s_delay_alu instid0(VALU_DEP_2) | instskip(SKIP_1) | instid1(VALU_DEP_2)
	v_pk_fma_f32 v[10:11], v[32:33], v[22:23], v[10:11] op_sel_hi:[0,1,1]
	v_mov_b32_e32 v23, v34
	v_pk_fma_f32 v[10:11], v[40:41], v[20:21], v[10:11] op_sel_hi:[0,1,1]
	v_mov_b32_e32 v20, v35
	s_delay_alu instid0(VALU_DEP_2) | instskip(SKIP_1) | instid1(VALU_DEP_2)
	v_pk_fma_f32 v[10:11], v[40:41], v[22:23], v[10:11] op_sel:[1,0,0]
	v_mov_b32_e32 v23, v35
	v_pk_fma_f32 v[10:11], v[42:43], v[20:21], v[10:11] op_sel_hi:[0,1,1]
	v_mov_b32_e32 v20, v28
	s_delay_alu instid0(VALU_DEP_2) | instskip(SKIP_1) | instid1(VALU_DEP_3)
	v_pk_fma_f32 v[10:11], v[52:53], v[22:23], v[10:11] op_sel_hi:[0,1,1]
	v_mov_b32_e32 v23, v28
	v_pk_fma_f32 v[12:13], v[36:37], v[20:21], v[12:13] op_sel_hi:[0,1,1]
	v_mov_b32_e32 v20, v29
	s_delay_alu instid0(VALU_DEP_2) | instskip(SKIP_1) | instid1(VALU_DEP_2)
	v_pk_fma_f32 v[12:13], v[36:37], v[22:23], v[12:13] op_sel:[1,0,0]
	v_mov_b32_e32 v23, v29
	v_pk_fma_f32 v[12:13], v[38:39], v[20:21], v[12:13] op_sel_hi:[0,1,1]
	v_mov_b32_e32 v20, v30
	s_delay_alu instid0(VALU_DEP_2) | instskip(SKIP_1) | instid1(VALU_DEP_2)
	v_pk_fma_f32 v[12:13], v[32:33], v[22:23], v[12:13] op_sel_hi:[0,1,1]
	v_mov_b32_e32 v23, v30
	v_pk_fma_f32 v[12:13], v[40:41], v[20:21], v[12:13] op_sel_hi:[0,1,1]
	v_mov_b32_e32 v20, v31
	s_delay_alu instid0(VALU_DEP_2) | instskip(SKIP_1) | instid1(VALU_DEP_2)
	v_pk_fma_f32 v[12:13], v[40:41], v[22:23], v[12:13] op_sel:[1,0,0]
	v_mov_b32_e32 v23, v31
	v_pk_fma_f32 v[12:13], v[42:43], v[20:21], v[12:13] op_sel_hi:[0,1,1]
	s_wait_loadcnt 0x1
	v_mov_b32_e32 v20, v44
	s_delay_alu instid0(VALU_DEP_2) | instskip(SKIP_1) | instid1(VALU_DEP_3)
	v_pk_fma_f32 v[12:13], v[52:53], v[22:23], v[12:13] op_sel_hi:[0,1,1]
	v_mov_b32_e32 v23, v44
	v_pk_fma_f32 v[14:15], v[36:37], v[20:21], v[14:15] op_sel_hi:[0,1,1]
	v_mov_b32_e32 v20, v45
	s_delay_alu instid0(VALU_DEP_2) | instskip(SKIP_1) | instid1(VALU_DEP_2)
	v_pk_fma_f32 v[14:15], v[36:37], v[22:23], v[14:15] op_sel:[1,0,0]
	v_mov_b32_e32 v23, v45
	v_pk_fma_f32 v[14:15], v[38:39], v[20:21], v[14:15] op_sel_hi:[0,1,1]
	v_mov_b32_e32 v20, v46
	s_delay_alu instid0(VALU_DEP_2) | instskip(SKIP_1) | instid1(VALU_DEP_2)
	v_pk_fma_f32 v[14:15], v[32:33], v[22:23], v[14:15] op_sel_hi:[0,1,1]
	v_mov_b32_e32 v23, v46
	v_pk_fma_f32 v[14:15], v[40:41], v[20:21], v[14:15] op_sel_hi:[0,1,1]
	v_mov_b32_e32 v20, v47
	s_delay_alu instid0(VALU_DEP_2) | instskip(SKIP_1) | instid1(VALU_DEP_2)
	v_pk_fma_f32 v[14:15], v[40:41], v[22:23], v[14:15] op_sel:[1,0,0]
	v_mov_b32_e32 v23, v47
	v_pk_fma_f32 v[14:15], v[42:43], v[20:21], v[14:15] op_sel_hi:[0,1,1]
	s_wait_loadcnt 0x0
	v_mov_b32_e32 v20, v48
	s_delay_alu instid0(VALU_DEP_2) | instskip(SKIP_1) | instid1(VALU_DEP_3)
	v_pk_fma_f32 v[14:15], v[52:53], v[22:23], v[14:15] op_sel_hi:[0,1,1]
	v_mov_b32_e32 v23, v48
	v_pk_fma_f32 v[16:17], v[36:37], v[20:21], v[16:17] op_sel_hi:[0,1,1]
	v_mov_b32_e32 v20, v49
	s_delay_alu instid0(VALU_DEP_2) | instskip(SKIP_1) | instid1(VALU_DEP_2)
	v_pk_fma_f32 v[16:17], v[36:37], v[22:23], v[16:17] op_sel:[1,0,0]
	v_mov_b32_e32 v23, v49
	v_pk_fma_f32 v[16:17], v[38:39], v[20:21], v[16:17] op_sel_hi:[0,1,1]
	v_mov_b32_e32 v20, v50
	s_delay_alu instid0(VALU_DEP_2) | instskip(SKIP_1) | instid1(VALU_DEP_2)
	v_pk_fma_f32 v[16:17], v[32:33], v[22:23], v[16:17] op_sel_hi:[0,1,1]
	v_mov_b32_e32 v23, v50
	v_pk_fma_f32 v[16:17], v[40:41], v[20:21], v[16:17] op_sel_hi:[0,1,1]
	v_mov_b32_e32 v20, v51
	s_delay_alu instid0(VALU_DEP_2) | instskip(SKIP_1) | instid1(VALU_DEP_2)
	v_pk_fma_f32 v[16:17], v[40:41], v[22:23], v[16:17] op_sel:[1,0,0]
	v_mov_b32_e32 v23, v51
	v_pk_fma_f32 v[16:17], v[42:43], v[20:21], v[16:17] op_sel_hi:[0,1,1]
	s_delay_alu instid0(VALU_DEP_1)
	v_pk_fma_f32 v[16:17], v[52:53], v[22:23], v[16:17] op_sel_hi:[0,1,1]
	s_and_not1_b32 exec_lo, exec_lo, s10
	s_cbranch_execnz .LBB123_13
; %bb.14:
	s_or_b32 exec_lo, exec_lo, s10
.LBB123_15:
	s_delay_alu instid0(SALU_CYCLE_1) | instskip(NEXT) | instid1(SALU_CYCLE_1)
	s_or_b32 exec_lo, exec_lo, s7
	s_mov_b32 s7, exec_lo
	v_cmpx_lt_u32_e32 0x5f, v26
	s_cbranch_execz .LBB123_19
; %bb.16:
	v_mov_b32_e32 v21, 0
	v_bfrev_b32_e32 v22, 1
	s_mov_b32 s10, 0
.LBB123_17:                             ; =>This Inner Loop Header: Depth=1
	global_load_b32 v20, v25, s[8:9] scale_offset
	s_clause 0x6
	global_load_b128 v[26:29], v[18:19], off
	global_load_b128 v[30:33], v[18:19], off offset:16
	global_load_b128 v[34:37], v[18:19], off offset:48
	;; [unrolled: 1-line block ×6, first 2 shown]
	s_clause 0x2
	global_load_b32 v65, v25, s[8:9] offset:128 scale_offset
	global_load_b32 v72, v25, s[8:9] offset:256 scale_offset
	;; [unrolled: 1-line block ×3, first 2 shown]
	s_wait_xcnt 0x0
	v_add_nc_u32_e32 v25, 0x80, v25
	s_delay_alu instid0(VALU_DEP_1)
	v_cmp_ge_i32_e32 vcc_lo, v25, v1
	s_or_b32 s10, vcc_lo, s10
	s_wait_loadcnt 0xa
	v_subrev_nc_u32_e32 v54, s12, v20
	s_wait_loadcnt 0x9
	v_dual_mov_b32 v20, v26 :: v_dual_mov_b32 v23, v26
	s_delay_alu instid0(VALU_DEP_2) | instskip(NEXT) | instid1(VALU_DEP_1)
	v_lshlrev_b32_e32 v54, 2, v54
	v_ashrrev_i32_e32 v55, 31, v54
	s_wait_kmcnt 0x0
	s_delay_alu instid0(VALU_DEP_1)
	v_lshl_add_u64 v[62:63], v[54:55], 3, s[4:5]
	s_clause 0x1
	global_load_b128 v[54:57], v[62:63], off
	global_load_b128 v[58:61], v[62:63], off offset:16
	s_wait_loadcnt 0x1
	v_pk_fma_f32 v[10:11], v[54:55], v[20:21], v[10:11] op_sel_hi:[0,1,1]
	s_wait_xcnt 0x0
	v_dual_mov_b32 v20, v27 :: v_dual_mov_b32 v62, v57
	s_wait_loadcnt 0x0
	v_mov_b32_e32 v64, v61
	v_pk_fma_f32 v[10:11], v[54:55], v[22:23], v[10:11] op_sel:[1,0,0]
	v_mov_b32_e32 v23, v27
	s_delay_alu instid0(VALU_DEP_2) | instskip(SKIP_1) | instid1(VALU_DEP_2)
	v_pk_fma_f32 v[10:11], v[56:57], v[20:21], v[10:11] op_sel_hi:[0,1,1]
	v_mov_b32_e32 v20, v28
	v_pk_fma_f32 v[10:11], v[62:63], v[22:23], v[10:11] op_sel_hi:[0,1,1]
	v_mov_b32_e32 v23, v28
	s_delay_alu instid0(VALU_DEP_2) | instskip(SKIP_1) | instid1(VALU_DEP_2)
	v_pk_fma_f32 v[10:11], v[58:59], v[20:21], v[10:11] op_sel_hi:[0,1,1]
	v_mov_b32_e32 v20, v29
	v_pk_fma_f32 v[10:11], v[58:59], v[22:23], v[10:11] op_sel:[1,0,0]
	v_mov_b32_e32 v23, v29
	global_load_b128 v[26:29], v[18:19], off offset:2048
	v_pk_fma_f32 v[10:11], v[60:61], v[20:21], v[10:11] op_sel_hi:[0,1,1]
	v_mov_b32_e32 v20, v30
	s_delay_alu instid0(VALU_DEP_2) | instskip(SKIP_1) | instid1(VALU_DEP_3)
	v_pk_fma_f32 v[66:67], v[64:65], v[22:23], v[10:11] op_sel_hi:[0,1,1]
	v_mov_b32_e32 v23, v30
	v_pk_fma_f32 v[10:11], v[54:55], v[20:21], v[12:13] op_sel_hi:[0,1,1]
	v_mov_b32_e32 v20, v31
	s_delay_alu instid0(VALU_DEP_2) | instskip(SKIP_1) | instid1(VALU_DEP_2)
	v_pk_fma_f32 v[10:11], v[54:55], v[22:23], v[10:11] op_sel:[1,0,0]
	v_mov_b32_e32 v23, v31
	v_pk_fma_f32 v[10:11], v[56:57], v[20:21], v[10:11] op_sel_hi:[0,1,1]
	v_mov_b32_e32 v20, v32
	s_delay_alu instid0(VALU_DEP_2) | instskip(SKIP_1) | instid1(VALU_DEP_2)
	v_pk_fma_f32 v[10:11], v[62:63], v[22:23], v[10:11] op_sel_hi:[0,1,1]
	v_mov_b32_e32 v23, v32
	v_pk_fma_f32 v[10:11], v[58:59], v[20:21], v[10:11] op_sel_hi:[0,1,1]
	v_mov_b32_e32 v20, v33
	s_delay_alu instid0(VALU_DEP_2) | instskip(SKIP_4) | instid1(VALU_DEP_2)
	v_pk_fma_f32 v[30:31], v[58:59], v[22:23], v[10:11] op_sel:[1,0,0]
	v_mov_b32_e32 v23, v33
	global_load_b128 v[10:13], v[18:19], off offset:4112
	v_pk_fma_f32 v[30:31], v[60:61], v[20:21], v[30:31] op_sel_hi:[0,1,1]
	v_mov_b32_e32 v20, v38
	v_pk_fma_f32 v[68:69], v[64:65], v[22:23], v[30:31] op_sel_hi:[0,1,1]
	v_mov_b32_e32 v23, v38
	s_delay_alu instid0(VALU_DEP_3) | instskip(SKIP_4) | instid1(VALU_DEP_2)
	v_pk_fma_f32 v[14:15], v[54:55], v[20:21], v[14:15] op_sel_hi:[0,1,1]
	v_mov_b32_e32 v20, v39
	global_load_b128 v[30:33], v[18:19], off offset:4096
	v_pk_fma_f32 v[14:15], v[54:55], v[22:23], v[14:15] op_sel:[1,0,0]
	v_mov_b32_e32 v23, v39
	v_pk_fma_f32 v[14:15], v[56:57], v[20:21], v[14:15] op_sel_hi:[0,1,1]
	v_mov_b32_e32 v20, v40
	s_delay_alu instid0(VALU_DEP_2) | instskip(SKIP_2) | instid1(VALU_DEP_3)
	v_pk_fma_f32 v[14:15], v[62:63], v[22:23], v[14:15] op_sel_hi:[0,1,1]
	v_mov_b32_e32 v23, v40
	v_subrev_nc_u32_e32 v40, s12, v72
	v_pk_fma_f32 v[14:15], v[58:59], v[20:21], v[14:15] op_sel_hi:[0,1,1]
	v_mov_b32_e32 v20, v41
	s_delay_alu instid0(VALU_DEP_2) | instskip(SKIP_1) | instid1(VALU_DEP_2)
	v_pk_fma_f32 v[14:15], v[58:59], v[22:23], v[14:15] op_sel:[1,0,0]
	v_mov_b32_e32 v23, v41
	v_pk_fma_f32 v[14:15], v[60:61], v[20:21], v[14:15] op_sel_hi:[0,1,1]
	v_mov_b32_e32 v20, v34
	s_delay_alu instid0(VALU_DEP_2) | instskip(SKIP_1) | instid1(VALU_DEP_3)
	v_pk_fma_f32 v[70:71], v[64:65], v[22:23], v[14:15] op_sel_hi:[0,1,1]
	v_mov_b32_e32 v23, v34
	v_pk_fma_f32 v[14:15], v[54:55], v[20:21], v[16:17] op_sel_hi:[0,1,1]
	v_mov_b32_e32 v20, v35
	s_delay_alu instid0(VALU_DEP_2) | instskip(SKIP_1) | instid1(VALU_DEP_2)
	v_pk_fma_f32 v[14:15], v[54:55], v[22:23], v[14:15] op_sel:[1,0,0]
	v_mov_b32_e32 v23, v35
	v_pk_fma_f32 v[38:39], v[56:57], v[20:21], v[14:15] op_sel_hi:[0,1,1]
	v_subrev_nc_u32_e32 v20, s12, v65
	global_load_b128 v[14:17], v[18:19], off offset:4128
	v_pk_fma_f32 v[38:39], v[62:63], v[22:23], v[38:39] op_sel_hi:[0,1,1]
	v_dual_lshlrev_b32 v34, 2, v20 :: v_dual_mov_b32 v20, v36
	v_dual_mov_b32 v23, v36 :: v_dual_lshlrev_b32 v40, 2, v40
	s_delay_alu instid0(VALU_DEP_1) | instskip(NEXT) | instid1(VALU_DEP_1)
	v_dual_ashrrev_i32 v35, 31, v34 :: v_dual_ashrrev_i32 v41, 31, v40
	v_lshl_add_u64 v[54:55], v[34:35], 3, s[4:5]
	s_delay_alu instid0(VALU_DEP_4) | instskip(SKIP_1) | instid1(VALU_DEP_4)
	v_pk_fma_f32 v[34:35], v[58:59], v[20:21], v[38:39] op_sel_hi:[0,1,1]
	v_mov_b32_e32 v20, v37
	v_lshl_add_u64 v[56:57], v[40:41], 3, s[4:5]
	s_delay_alu instid0(VALU_DEP_3)
	v_pk_fma_f32 v[38:39], v[58:59], v[22:23], v[34:35] op_sel:[1,0,0]
	v_mov_b32_e32 v23, v37
	global_load_b128 v[34:37], v[54:55], off
	v_pk_fma_f32 v[58:59], v[60:61], v[20:21], v[38:39] op_sel_hi:[0,1,1]
	global_load_b128 v[38:41], v[54:55], off offset:16
	v_pk_fma_f32 v[58:59], v[64:65], v[22:23], v[58:59] op_sel_hi:[0,1,1]
	s_wait_loadcnt 0x5
	v_dual_mov_b32 v20, v26 :: v_dual_mov_b32 v23, v26
	s_wait_loadcnt 0x1
	s_wait_xcnt 0x0
	v_mov_b32_e32 v54, v37
	s_delay_alu instid0(VALU_DEP_2) | instskip(SKIP_2) | instid1(VALU_DEP_2)
	v_pk_fma_f32 v[60:61], v[34:35], v[20:21], v[66:67] op_sel_hi:[0,1,1]
	s_wait_loadcnt 0x0
	v_dual_mov_b32 v20, v27 :: v_dual_mov_b32 v62, v41
	v_pk_fma_f32 v[60:61], v[34:35], v[22:23], v[60:61] op_sel:[1,0,0]
	v_mov_b32_e32 v23, v27
	s_delay_alu instid0(VALU_DEP_2) | instskip(SKIP_1) | instid1(VALU_DEP_2)
	v_pk_fma_f32 v[26:27], v[36:37], v[20:21], v[60:61] op_sel_hi:[0,1,1]
	v_mov_b32_e32 v20, v28
	v_pk_fma_f32 v[26:27], v[54:55], v[22:23], v[26:27] op_sel_hi:[0,1,1]
	v_mov_b32_e32 v23, v28
	s_delay_alu instid0(VALU_DEP_2) | instskip(SKIP_1) | instid1(VALU_DEP_2)
	v_pk_fma_f32 v[26:27], v[38:39], v[20:21], v[26:27] op_sel_hi:[0,1,1]
	v_mov_b32_e32 v20, v29
	v_pk_fma_f32 v[60:61], v[38:39], v[22:23], v[26:27] op_sel:[1,0,0]
	v_mov_b32_e32 v23, v29
	global_load_b128 v[26:29], v[56:57], off
	v_pk_fma_f32 v[60:61], v[40:41], v[20:21], v[60:61] op_sel_hi:[0,1,1]
	v_mov_b32_e32 v20, v50
	s_delay_alu instid0(VALU_DEP_2) | instskip(SKIP_1) | instid1(VALU_DEP_3)
	v_pk_fma_f32 v[60:61], v[62:63], v[22:23], v[60:61] op_sel_hi:[0,1,1]
	v_mov_b32_e32 v23, v50
	v_pk_fma_f32 v[64:65], v[34:35], v[20:21], v[68:69] op_sel_hi:[0,1,1]
	v_mov_b32_e32 v20, v51
	s_delay_alu instid0(VALU_DEP_2) | instskip(SKIP_1) | instid1(VALU_DEP_2)
	v_pk_fma_f32 v[64:65], v[34:35], v[22:23], v[64:65] op_sel:[1,0,0]
	v_mov_b32_e32 v23, v51
	v_pk_fma_f32 v[50:51], v[36:37], v[20:21], v[64:65] op_sel_hi:[0,1,1]
	v_mov_b32_e32 v20, v52
	s_delay_alu instid0(VALU_DEP_2) | instskip(SKIP_1) | instid1(VALU_DEP_2)
	v_pk_fma_f32 v[50:51], v[54:55], v[22:23], v[50:51] op_sel_hi:[0,1,1]
	v_mov_b32_e32 v23, v52
	v_pk_fma_f32 v[50:51], v[38:39], v[20:21], v[50:51] op_sel_hi:[0,1,1]
	v_mov_b32_e32 v20, v53
	s_delay_alu instid0(VALU_DEP_2)
	v_pk_fma_f32 v[64:65], v[38:39], v[22:23], v[50:51] op_sel:[1,0,0]
	v_mov_b32_e32 v23, v53
	global_load_b128 v[50:53], v[56:57], off offset:16
	s_wait_xcnt 0x0
	v_pk_fma_f32 v[56:57], v[40:41], v[20:21], v[64:65] op_sel_hi:[0,1,1]
	v_mov_b32_e32 v20, v46
	s_delay_alu instid0(VALU_DEP_2) | instskip(SKIP_1) | instid1(VALU_DEP_3)
	v_pk_fma_f32 v[64:65], v[62:63], v[22:23], v[56:57] op_sel_hi:[0,1,1]
	v_mov_b32_e32 v23, v46
	v_pk_fma_f32 v[56:57], v[34:35], v[20:21], v[70:71] op_sel_hi:[0,1,1]
	v_mov_b32_e32 v20, v47
	s_delay_alu instid0(VALU_DEP_2) | instskip(SKIP_1) | instid1(VALU_DEP_2)
	v_pk_fma_f32 v[56:57], v[34:35], v[22:23], v[56:57] op_sel:[1,0,0]
	v_mov_b32_e32 v23, v47
	v_pk_fma_f32 v[46:47], v[36:37], v[20:21], v[56:57] op_sel_hi:[0,1,1]
	v_mov_b32_e32 v20, v48
	s_delay_alu instid0(VALU_DEP_2) | instskip(SKIP_1) | instid1(VALU_DEP_2)
	v_pk_fma_f32 v[46:47], v[54:55], v[22:23], v[46:47] op_sel_hi:[0,1,1]
	v_mov_b32_e32 v23, v48
	v_pk_fma_f32 v[46:47], v[38:39], v[20:21], v[46:47] op_sel_hi:[0,1,1]
	v_mov_b32_e32 v20, v49
	s_delay_alu instid0(VALU_DEP_2) | instskip(SKIP_4) | instid1(VALU_DEP_2)
	v_pk_fma_f32 v[56:57], v[38:39], v[22:23], v[46:47] op_sel:[1,0,0]
	v_mov_b32_e32 v23, v49
	global_load_b128 v[46:49], v[18:19], off offset:4144
	v_pk_fma_f32 v[56:57], v[40:41], v[20:21], v[56:57] op_sel_hi:[0,1,1]
	v_mov_b32_e32 v20, v42
	v_pk_fma_f32 v[66:67], v[62:63], v[22:23], v[56:57] op_sel_hi:[0,1,1]
	v_mov_b32_e32 v23, v42
	s_delay_alu instid0(VALU_DEP_3) | instskip(SKIP_1) | instid1(VALU_DEP_2)
	v_pk_fma_f32 v[56:57], v[34:35], v[20:21], v[58:59] op_sel_hi:[0,1,1]
	v_mov_b32_e32 v20, v43
	v_pk_fma_f32 v[34:35], v[34:35], v[22:23], v[56:57] op_sel:[1,0,0]
	v_mov_b32_e32 v23, v43
	s_delay_alu instid0(VALU_DEP_2) | instskip(SKIP_4) | instid1(VALU_DEP_1)
	v_pk_fma_f32 v[56:57], v[36:37], v[20:21], v[34:35] op_sel_hi:[0,1,1]
	v_subrev_nc_u32_e32 v20, s12, v73
	global_load_b128 v[34:37], v[18:19], off offset:6144
	v_pk_fma_f32 v[42:43], v[54:55], v[22:23], v[56:57] op_sel_hi:[0,1,1]
	v_dual_lshlrev_b32 v58, 2, v20 :: v_dual_mov_b32 v20, v44
	v_dual_mov_b32 v23, v44 :: v_dual_ashrrev_i32 v59, 31, v58
	s_delay_alu instid0(VALU_DEP_2) | instskip(SKIP_1) | instid1(VALU_DEP_3)
	v_pk_fma_f32 v[42:43], v[38:39], v[20:21], v[42:43] op_sel_hi:[0,1,1]
	v_mov_b32_e32 v20, v45
	v_lshl_add_u64 v[58:59], v[58:59], 3, s[4:5]
	s_delay_alu instid0(VALU_DEP_3)
	v_pk_fma_f32 v[38:39], v[38:39], v[22:23], v[42:43] op_sel:[1,0,0]
	v_mov_b32_e32 v23, v45
	s_clause 0x1
	global_load_b128 v[54:57], v[58:59], off
	global_load_b128 v[42:45], v[58:59], off offset:16
	s_wait_xcnt 0x0
	v_pk_fma_f32 v[58:59], v[40:41], v[20:21], v[38:39] op_sel_hi:[0,1,1]
	global_load_b128 v[38:41], v[18:19], off offset:6160
	v_mov_b32_e32 v20, v30
	v_pk_fma_f32 v[62:63], v[62:63], v[22:23], v[58:59] op_sel_hi:[0,1,1]
	s_wait_loadcnt 0x6
	v_dual_mov_b32 v23, v30 :: v_dual_mov_b32 v68, v29
	s_delay_alu instid0(VALU_DEP_3) | instskip(SKIP_1) | instid1(VALU_DEP_2)
	v_pk_fma_f32 v[58:59], v[26:27], v[20:21], v[60:61] op_sel_hi:[0,1,1]
	v_mov_b32_e32 v20, v31
	v_pk_fma_f32 v[58:59], v[26:27], v[22:23], v[58:59] op_sel:[1,0,0]
	v_mov_b32_e32 v23, v31
	s_delay_alu instid0(VALU_DEP_2) | instskip(SKIP_1) | instid1(VALU_DEP_2)
	v_pk_fma_f32 v[30:31], v[28:29], v[20:21], v[58:59] op_sel_hi:[0,1,1]
	v_mov_b32_e32 v20, v32
	v_pk_fma_f32 v[30:31], v[68:69], v[22:23], v[30:31] op_sel_hi:[0,1,1]
	v_mov_b32_e32 v23, v32
	s_wait_loadcnt 0x5
	s_delay_alu instid0(VALU_DEP_2) | instskip(SKIP_1) | instid1(VALU_DEP_2)
	v_pk_fma_f32 v[30:31], v[50:51], v[20:21], v[30:31] op_sel_hi:[0,1,1]
	v_dual_mov_b32 v20, v33 :: v_dual_mov_b32 v70, v53
	v_pk_fma_f32 v[58:59], v[50:51], v[22:23], v[30:31] op_sel:[1,0,0]
	v_mov_b32_e32 v23, v33
	global_load_b128 v[30:33], v[18:19], off offset:6176
	v_pk_fma_f32 v[58:59], v[52:53], v[20:21], v[58:59] op_sel_hi:[0,1,1]
	v_mov_b32_e32 v20, v10
	s_delay_alu instid0(VALU_DEP_2) | instskip(SKIP_1) | instid1(VALU_DEP_3)
	v_pk_fma_f32 v[72:73], v[70:71], v[22:23], v[58:59] op_sel_hi:[0,1,1]
	v_mov_b32_e32 v23, v10
	v_pk_fma_f32 v[58:59], v[26:27], v[20:21], v[64:65] op_sel_hi:[0,1,1]
	v_mov_b32_e32 v20, v11
	s_delay_alu instid0(VALU_DEP_2) | instskip(SKIP_1) | instid1(VALU_DEP_2)
	v_pk_fma_f32 v[58:59], v[26:27], v[22:23], v[58:59] op_sel:[1,0,0]
	v_mov_b32_e32 v23, v11
	v_pk_fma_f32 v[10:11], v[28:29], v[20:21], v[58:59] op_sel_hi:[0,1,1]
	global_load_b128 v[58:61], v[18:19], off offset:6192
	v_mov_b32_e32 v20, v12
	s_wait_xcnt 0x0
	v_add_nc_u64_e32 v[18:19], 0x2000, v[18:19]
	v_pk_fma_f32 v[10:11], v[68:69], v[22:23], v[10:11] op_sel_hi:[0,1,1]
	v_mov_b32_e32 v23, v12
	s_delay_alu instid0(VALU_DEP_2) | instskip(SKIP_1) | instid1(VALU_DEP_2)
	v_pk_fma_f32 v[10:11], v[50:51], v[20:21], v[10:11] op_sel_hi:[0,1,1]
	v_mov_b32_e32 v20, v13
	v_pk_fma_f32 v[10:11], v[50:51], v[22:23], v[10:11] op_sel:[1,0,0]
	v_mov_b32_e32 v23, v13
	s_delay_alu instid0(VALU_DEP_2) | instskip(SKIP_1) | instid1(VALU_DEP_2)
	v_pk_fma_f32 v[10:11], v[52:53], v[20:21], v[10:11] op_sel_hi:[0,1,1]
	v_mov_b32_e32 v20, v14
	v_pk_fma_f32 v[12:13], v[70:71], v[22:23], v[10:11] op_sel_hi:[0,1,1]
	v_mov_b32_e32 v23, v14
	s_delay_alu instid0(VALU_DEP_3) | instskip(SKIP_1) | instid1(VALU_DEP_2)
	v_pk_fma_f32 v[10:11], v[26:27], v[20:21], v[66:67] op_sel_hi:[0,1,1]
	v_mov_b32_e32 v20, v15
	v_pk_fma_f32 v[10:11], v[26:27], v[22:23], v[10:11] op_sel:[1,0,0]
	v_mov_b32_e32 v23, v15
	s_delay_alu instid0(VALU_DEP_2) | instskip(SKIP_1) | instid1(VALU_DEP_2)
	v_pk_fma_f32 v[10:11], v[28:29], v[20:21], v[10:11] op_sel_hi:[0,1,1]
	v_mov_b32_e32 v20, v16
	v_pk_fma_f32 v[10:11], v[68:69], v[22:23], v[10:11] op_sel_hi:[0,1,1]
	v_mov_b32_e32 v23, v16
	s_delay_alu instid0(VALU_DEP_2)
	v_pk_fma_f32 v[10:11], v[50:51], v[20:21], v[10:11] op_sel_hi:[0,1,1]
	s_wait_loadcnt 0x4
	v_dual_mov_b32 v20, v17 :: v_dual_mov_b32 v16, v57
	s_wait_loadcnt 0x3
	v_mov_b32_e32 v64, v45
	v_pk_fma_f32 v[10:11], v[50:51], v[22:23], v[10:11] op_sel:[1,0,0]
	v_mov_b32_e32 v23, v17
	s_delay_alu instid0(VALU_DEP_2) | instskip(SKIP_1) | instid1(VALU_DEP_2)
	v_pk_fma_f32 v[10:11], v[52:53], v[20:21], v[10:11] op_sel_hi:[0,1,1]
	v_mov_b32_e32 v20, v46
	v_pk_fma_f32 v[14:15], v[70:71], v[22:23], v[10:11] op_sel_hi:[0,1,1]
	v_mov_b32_e32 v23, v46
	s_delay_alu instid0(VALU_DEP_3) | instskip(SKIP_1) | instid1(VALU_DEP_2)
	v_pk_fma_f32 v[10:11], v[26:27], v[20:21], v[62:63] op_sel_hi:[0,1,1]
	v_mov_b32_e32 v20, v47
	v_pk_fma_f32 v[10:11], v[26:27], v[22:23], v[10:11] op_sel:[1,0,0]
	v_mov_b32_e32 v23, v47
	s_delay_alu instid0(VALU_DEP_2) | instskip(SKIP_1) | instid1(VALU_DEP_2)
	v_pk_fma_f32 v[10:11], v[28:29], v[20:21], v[10:11] op_sel_hi:[0,1,1]
	v_mov_b32_e32 v20, v48
	v_pk_fma_f32 v[10:11], v[68:69], v[22:23], v[10:11] op_sel_hi:[0,1,1]
	v_mov_b32_e32 v23, v48
	s_delay_alu instid0(VALU_DEP_2) | instskip(SKIP_1) | instid1(VALU_DEP_2)
	v_pk_fma_f32 v[10:11], v[50:51], v[20:21], v[10:11] op_sel_hi:[0,1,1]
	v_mov_b32_e32 v20, v49
	v_pk_fma_f32 v[10:11], v[50:51], v[22:23], v[10:11] op_sel:[1,0,0]
	v_mov_b32_e32 v23, v49
	s_delay_alu instid0(VALU_DEP_2) | instskip(SKIP_1) | instid1(VALU_DEP_2)
	v_pk_fma_f32 v[10:11], v[52:53], v[20:21], v[10:11] op_sel_hi:[0,1,1]
	v_mov_b32_e32 v20, v34
	v_pk_fma_f32 v[26:27], v[70:71], v[22:23], v[10:11] op_sel_hi:[0,1,1]
	v_mov_b32_e32 v23, v34
	s_delay_alu instid0(VALU_DEP_3) | instskip(SKIP_1) | instid1(VALU_DEP_2)
	v_pk_fma_f32 v[10:11], v[54:55], v[20:21], v[72:73] op_sel_hi:[0,1,1]
	v_mov_b32_e32 v20, v35
	v_pk_fma_f32 v[10:11], v[54:55], v[22:23], v[10:11] op_sel:[1,0,0]
	v_mov_b32_e32 v23, v35
	s_delay_alu instid0(VALU_DEP_2) | instskip(SKIP_1) | instid1(VALU_DEP_2)
	v_pk_fma_f32 v[10:11], v[56:57], v[20:21], v[10:11] op_sel_hi:[0,1,1]
	v_mov_b32_e32 v20, v36
	v_pk_fma_f32 v[10:11], v[16:17], v[22:23], v[10:11] op_sel_hi:[0,1,1]
	v_mov_b32_e32 v23, v36
	s_delay_alu instid0(VALU_DEP_2) | instskip(SKIP_1) | instid1(VALU_DEP_2)
	v_pk_fma_f32 v[10:11], v[42:43], v[20:21], v[10:11] op_sel_hi:[0,1,1]
	v_mov_b32_e32 v20, v37
	v_pk_fma_f32 v[10:11], v[42:43], v[22:23], v[10:11] op_sel:[1,0,0]
	v_mov_b32_e32 v23, v37
	s_delay_alu instid0(VALU_DEP_2) | instskip(SKIP_2) | instid1(VALU_DEP_2)
	v_pk_fma_f32 v[10:11], v[44:45], v[20:21], v[10:11] op_sel_hi:[0,1,1]
	s_wait_loadcnt 0x2
	v_mov_b32_e32 v20, v38
	v_pk_fma_f32 v[10:11], v[64:65], v[22:23], v[10:11] op_sel_hi:[0,1,1]
	v_mov_b32_e32 v23, v38
	s_delay_alu instid0(VALU_DEP_3) | instskip(SKIP_1) | instid1(VALU_DEP_2)
	v_pk_fma_f32 v[12:13], v[54:55], v[20:21], v[12:13] op_sel_hi:[0,1,1]
	v_mov_b32_e32 v20, v39
	v_pk_fma_f32 v[12:13], v[54:55], v[22:23], v[12:13] op_sel:[1,0,0]
	v_mov_b32_e32 v23, v39
	s_delay_alu instid0(VALU_DEP_2) | instskip(SKIP_1) | instid1(VALU_DEP_2)
	v_pk_fma_f32 v[12:13], v[56:57], v[20:21], v[12:13] op_sel_hi:[0,1,1]
	v_mov_b32_e32 v20, v40
	v_pk_fma_f32 v[12:13], v[16:17], v[22:23], v[12:13] op_sel_hi:[0,1,1]
	v_mov_b32_e32 v23, v40
	s_delay_alu instid0(VALU_DEP_2) | instskip(SKIP_1) | instid1(VALU_DEP_2)
	v_pk_fma_f32 v[12:13], v[42:43], v[20:21], v[12:13] op_sel_hi:[0,1,1]
	v_mov_b32_e32 v20, v41
	v_pk_fma_f32 v[12:13], v[42:43], v[22:23], v[12:13] op_sel:[1,0,0]
	v_mov_b32_e32 v23, v41
	s_delay_alu instid0(VALU_DEP_2) | instskip(NEXT) | instid1(VALU_DEP_1)
	v_pk_fma_f32 v[12:13], v[44:45], v[20:21], v[12:13] op_sel_hi:[0,1,1]
	v_pk_fma_f32 v[12:13], v[64:65], v[22:23], v[12:13] op_sel_hi:[0,1,1]
	s_wait_loadcnt 0x1
	v_dual_mov_b32 v20, v30 :: v_dual_mov_b32 v23, v30
	s_delay_alu instid0(VALU_DEP_1) | instskip(SKIP_1) | instid1(VALU_DEP_2)
	v_pk_fma_f32 v[14:15], v[54:55], v[20:21], v[14:15] op_sel_hi:[0,1,1]
	v_mov_b32_e32 v20, v31
	v_pk_fma_f32 v[14:15], v[54:55], v[22:23], v[14:15] op_sel:[1,0,0]
	v_mov_b32_e32 v23, v31
	s_delay_alu instid0(VALU_DEP_2) | instskip(SKIP_1) | instid1(VALU_DEP_2)
	v_pk_fma_f32 v[14:15], v[56:57], v[20:21], v[14:15] op_sel_hi:[0,1,1]
	v_mov_b32_e32 v20, v32
	v_pk_fma_f32 v[14:15], v[16:17], v[22:23], v[14:15] op_sel_hi:[0,1,1]
	v_mov_b32_e32 v23, v32
	s_delay_alu instid0(VALU_DEP_2) | instskip(SKIP_1) | instid1(VALU_DEP_2)
	v_pk_fma_f32 v[14:15], v[42:43], v[20:21], v[14:15] op_sel_hi:[0,1,1]
	v_mov_b32_e32 v20, v33
	v_pk_fma_f32 v[14:15], v[42:43], v[22:23], v[14:15] op_sel:[1,0,0]
	v_mov_b32_e32 v23, v33
	s_delay_alu instid0(VALU_DEP_2) | instskip(SKIP_2) | instid1(VALU_DEP_2)
	v_pk_fma_f32 v[14:15], v[44:45], v[20:21], v[14:15] op_sel_hi:[0,1,1]
	s_wait_loadcnt 0x0
	v_mov_b32_e32 v20, v58
	v_pk_fma_f32 v[14:15], v[64:65], v[22:23], v[14:15] op_sel_hi:[0,1,1]
	v_mov_b32_e32 v23, v58
	s_delay_alu instid0(VALU_DEP_3) | instskip(SKIP_1) | instid1(VALU_DEP_2)
	v_pk_fma_f32 v[26:27], v[54:55], v[20:21], v[26:27] op_sel_hi:[0,1,1]
	v_mov_b32_e32 v20, v59
	v_pk_fma_f32 v[26:27], v[54:55], v[22:23], v[26:27] op_sel:[1,0,0]
	v_mov_b32_e32 v23, v59
	s_delay_alu instid0(VALU_DEP_2) | instskip(SKIP_1) | instid1(VALU_DEP_2)
	v_pk_fma_f32 v[26:27], v[56:57], v[20:21], v[26:27] op_sel_hi:[0,1,1]
	v_mov_b32_e32 v20, v60
	v_pk_fma_f32 v[16:17], v[16:17], v[22:23], v[26:27] op_sel_hi:[0,1,1]
	v_mov_b32_e32 v23, v60
	s_delay_alu instid0(VALU_DEP_2) | instskip(SKIP_1) | instid1(VALU_DEP_2)
	v_pk_fma_f32 v[16:17], v[42:43], v[20:21], v[16:17] op_sel_hi:[0,1,1]
	v_mov_b32_e32 v20, v61
	v_pk_fma_f32 v[16:17], v[42:43], v[22:23], v[16:17] op_sel:[1,0,0]
	v_mov_b32_e32 v23, v61
	s_delay_alu instid0(VALU_DEP_2) | instskip(NEXT) | instid1(VALU_DEP_1)
	v_pk_fma_f32 v[16:17], v[44:45], v[20:21], v[16:17] op_sel_hi:[0,1,1]
	v_pk_fma_f32 v[16:17], v[64:65], v[22:23], v[16:17] op_sel_hi:[0,1,1]
	s_and_not1_b32 exec_lo, exec_lo, s10
	s_cbranch_execnz .LBB123_17
; %bb.18:
	s_or_b32 exec_lo, exec_lo, s10
.LBB123_19:
	s_delay_alu instid0(SALU_CYCLE_1)
	s_or_b32 exec_lo, exec_lo, s7
.LBB123_20:
	s_delay_alu instid0(SALU_CYCLE_1)
	s_or_b32 exec_lo, exec_lo, s6
	s_cbranch_execz .LBB123_22
	s_branch .LBB123_33
.LBB123_21:
                                        ; implicit-def: $vgpr11
                                        ; implicit-def: $vgpr13
                                        ; implicit-def: $vgpr15
                                        ; implicit-def: $vgpr17
.LBB123_22:
	v_dual_mov_b32 v11, 0 :: v_dual_mov_b32 v10, 0
	v_dual_mov_b32 v13, 0 :: v_dual_mov_b32 v12, 0
	;; [unrolled: 1-line block ×4, first 2 shown]
	s_and_saveexec_b32 s6, s3
	s_cbranch_execz .LBB123_32
; %bb.23:
	v_add_nc_u32_e32 v10, v24, v7
	v_not_b32_e32 v11, v24
	v_mov_b64_e32 v[12:13], 0
	v_mov_b64_e32 v[14:15], 0
	;; [unrolled: 1-line block ×3, first 2 shown]
	v_subrev_nc_u32_e32 v10, s12, v10
	s_mov_b32 s3, exec_lo
	s_delay_alu instid0(VALU_DEP_1) | instskip(NEXT) | instid1(VALU_DEP_1)
	v_add_max_i32_e64 v10, v10, 32, v1
	v_add3_u32 v10, s12, v10, v11
	s_delay_alu instid0(VALU_DEP_1) | instskip(SKIP_1) | instid1(VALU_DEP_2)
	v_sub_nc_u32_e32 v22, v10, v7
	v_mov_b64_e32 v[10:11], 0
	v_and_b32_e32 v18, 0x60, v22
	s_delay_alu instid0(VALU_DEP_1)
	v_cmpx_ne_u32_e32 0x60, v18
	s_cbranch_execz .LBB123_27
; %bb.24:
	v_dual_mov_b32 v19, 0 :: v_dual_lshrrev_b32 v10, 5, v22
	v_bfrev_b32_e32 v20, 1
	s_mov_b32 s7, 0
	s_delay_alu instid0(VALU_DEP_2) | instskip(SKIP_2) | instid1(VALU_DEP_3)
	v_dual_add_nc_u32 v10, 1, v10 :: v_dual_mov_b32 v16, v19
	v_dual_mov_b32 v17, v19 :: v_dual_mov_b32 v14, v19
	v_dual_mov_b32 v12, v19 :: v_dual_mov_b32 v13, v19
	v_dual_mov_b32 v15, v19 :: v_dual_bitop2_b32 v11, 3, v10 bitop3:0x40
	s_delay_alu instid0(VALU_DEP_1)
	v_dual_mov_b32 v10, v19 :: v_dual_sub_nc_u32 v23, 0, v11
	v_mov_b32_e32 v11, v19
.LBB123_25:                             ; =>This Inner Loop Header: Depth=1
	global_load_b32 v18, v0, s[8:9] scale_offset
	s_clause 0x1
	global_load_b128 v[24:27], v[8:9], off offset:16
	global_load_b128 v[28:31], v[8:9], off
	s_wait_xcnt 0x2
	v_add_nc_u32_e32 v0, 32, v0
	v_add_co_u32 v23, s10, v23, 1
	s_or_b32 s7, s10, s7
	s_wait_loadcnt 0x2
	v_subrev_nc_u32_e32 v18, s12, v18
	s_wait_loadcnt 0x0
	s_delay_alu instid0(VALU_DEP_1) | instskip(NEXT) | instid1(VALU_DEP_1)
	v_dual_mov_b32 v21, v28 :: v_dual_lshlrev_b32 v32, 2, v18
	v_dual_mov_b32 v18, v28 :: v_dual_ashrrev_i32 v33, 31, v32
	s_wait_kmcnt 0x0
	s_delay_alu instid0(VALU_DEP_1)
	v_lshl_add_u64 v[48:49], v[32:33], 3, s[4:5]
	s_clause 0x1
	global_load_b128 v[32:35], v[48:49], off
	global_load_b128 v[36:39], v[48:49], off offset:16
	s_clause 0x1
	global_load_b128 v[40:43], v[8:9], off offset:32
	global_load_b128 v[44:47], v[8:9], off offset:48
	s_wait_xcnt 0x0
	v_add_nc_u64_e32 v[8:9], 0x800, v[8:9]
	s_wait_loadcnt 0x3
	v_pk_fma_f32 v[10:11], v[32:33], v[18:19], v[10:11] op_sel_hi:[0,1,1]
	v_dual_mov_b32 v18, v24 :: v_dual_mov_b32 v28, v35
	s_wait_loadcnt 0x2
	v_mov_b32_e32 v48, v39
	s_delay_alu instid0(VALU_DEP_3) | instskip(SKIP_1) | instid1(VALU_DEP_2)
	v_pk_fma_f32 v[10:11], v[32:33], v[20:21], v[10:11] op_sel:[1,0,0]
	v_mov_b32_e32 v21, v24
	v_pk_fma_f32 v[10:11], v[34:35], v[18:19], v[10:11] op_sel_hi:[0,1,1]
	s_wait_loadcnt 0x1
	v_mov_b32_e32 v18, v40
	s_delay_alu instid0(VALU_DEP_2) | instskip(SKIP_1) | instid1(VALU_DEP_2)
	v_pk_fma_f32 v[10:11], v[28:29], v[20:21], v[10:11] op_sel_hi:[0,1,1]
	v_mov_b32_e32 v21, v40
	v_pk_fma_f32 v[10:11], v[36:37], v[18:19], v[10:11] op_sel_hi:[0,1,1]
	s_wait_loadcnt 0x0
	v_mov_b32_e32 v18, v44
	s_delay_alu instid0(VALU_DEP_2) | instskip(SKIP_1) | instid1(VALU_DEP_2)
	v_pk_fma_f32 v[10:11], v[36:37], v[20:21], v[10:11] op_sel:[1,0,0]
	v_mov_b32_e32 v21, v44
	v_pk_fma_f32 v[10:11], v[38:39], v[18:19], v[10:11] op_sel_hi:[0,1,1]
	v_mov_b32_e32 v18, v29
	s_delay_alu instid0(VALU_DEP_2) | instskip(SKIP_1) | instid1(VALU_DEP_3)
	v_pk_fma_f32 v[10:11], v[48:49], v[20:21], v[10:11] op_sel_hi:[0,1,1]
	v_mov_b32_e32 v21, v29
	v_pk_fma_f32 v[12:13], v[32:33], v[18:19], v[12:13] op_sel_hi:[0,1,1]
	v_mov_b32_e32 v18, v25
	s_delay_alu instid0(VALU_DEP_2) | instskip(SKIP_1) | instid1(VALU_DEP_2)
	v_pk_fma_f32 v[12:13], v[32:33], v[20:21], v[12:13] op_sel:[1,0,0]
	v_mov_b32_e32 v21, v25
	v_pk_fma_f32 v[12:13], v[34:35], v[18:19], v[12:13] op_sel_hi:[0,1,1]
	v_mov_b32_e32 v18, v41
	s_delay_alu instid0(VALU_DEP_2) | instskip(SKIP_1) | instid1(VALU_DEP_2)
	v_pk_fma_f32 v[12:13], v[28:29], v[20:21], v[12:13] op_sel_hi:[0,1,1]
	v_mov_b32_e32 v21, v41
	v_pk_fma_f32 v[12:13], v[36:37], v[18:19], v[12:13] op_sel_hi:[0,1,1]
	v_mov_b32_e32 v18, v45
	s_delay_alu instid0(VALU_DEP_2) | instskip(SKIP_1) | instid1(VALU_DEP_2)
	v_pk_fma_f32 v[12:13], v[36:37], v[20:21], v[12:13] op_sel:[1,0,0]
	v_mov_b32_e32 v21, v45
	v_pk_fma_f32 v[12:13], v[38:39], v[18:19], v[12:13] op_sel_hi:[0,1,1]
	v_mov_b32_e32 v18, v30
	s_delay_alu instid0(VALU_DEP_2) | instskip(SKIP_1) | instid1(VALU_DEP_3)
	v_pk_fma_f32 v[12:13], v[48:49], v[20:21], v[12:13] op_sel_hi:[0,1,1]
	v_mov_b32_e32 v21, v30
	v_pk_fma_f32 v[14:15], v[32:33], v[18:19], v[14:15] op_sel_hi:[0,1,1]
	v_mov_b32_e32 v18, v26
	s_delay_alu instid0(VALU_DEP_2) | instskip(SKIP_1) | instid1(VALU_DEP_2)
	v_pk_fma_f32 v[14:15], v[32:33], v[20:21], v[14:15] op_sel:[1,0,0]
	v_mov_b32_e32 v21, v26
	v_pk_fma_f32 v[14:15], v[34:35], v[18:19], v[14:15] op_sel_hi:[0,1,1]
	v_mov_b32_e32 v18, v42
	s_delay_alu instid0(VALU_DEP_2) | instskip(SKIP_1) | instid1(VALU_DEP_2)
	v_pk_fma_f32 v[14:15], v[28:29], v[20:21], v[14:15] op_sel_hi:[0,1,1]
	v_mov_b32_e32 v21, v42
	v_pk_fma_f32 v[14:15], v[36:37], v[18:19], v[14:15] op_sel_hi:[0,1,1]
	;; [unrolled: 20-line block ×3, first 2 shown]
	v_mov_b32_e32 v18, v47
	s_delay_alu instid0(VALU_DEP_2) | instskip(SKIP_1) | instid1(VALU_DEP_2)
	v_pk_fma_f32 v[16:17], v[36:37], v[20:21], v[16:17] op_sel:[1,0,0]
	v_mov_b32_e32 v21, v47
	v_pk_fma_f32 v[16:17], v[38:39], v[18:19], v[16:17] op_sel_hi:[0,1,1]
	s_delay_alu instid0(VALU_DEP_1)
	v_pk_fma_f32 v[16:17], v[48:49], v[20:21], v[16:17] op_sel_hi:[0,1,1]
	s_and_not1_b32 exec_lo, exec_lo, s7
	s_cbranch_execnz .LBB123_25
; %bb.26:
	s_or_b32 exec_lo, exec_lo, s7
.LBB123_27:
	s_delay_alu instid0(SALU_CYCLE_1) | instskip(NEXT) | instid1(SALU_CYCLE_1)
	s_or_b32 exec_lo, exec_lo, s3
	s_mov_b32 s3, exec_lo
	v_cmpx_lt_u32_e32 0x5f, v22
	s_cbranch_execz .LBB123_31
; %bb.28:
	v_mov_b32_e32 v19, 0
	v_bfrev_b32_e32 v20, 1
	s_mov_b32 s7, 0
.LBB123_29:                             ; =>This Inner Loop Header: Depth=1
	global_load_b32 v18, v0, s[8:9] scale_offset
	s_clause 0x6
	global_load_b128 v[22:25], v[8:9], off
	global_load_b128 v[26:29], v[8:9], off offset:16
	global_load_b128 v[30:33], v[8:9], off offset:48
	;; [unrolled: 1-line block ×6, first 2 shown]
	s_clause 0x2
	global_load_b32 v61, v0, s[8:9] offset:128 scale_offset
	global_load_b32 v68, v0, s[8:9] offset:256 scale_offset
	;; [unrolled: 1-line block ×3, first 2 shown]
	s_wait_xcnt 0x0
	v_add_nc_u32_e32 v0, 0x80, v0
	s_delay_alu instid0(VALU_DEP_1)
	v_cmp_ge_i32_e32 vcc_lo, v0, v1
	s_or_b32 s7, vcc_lo, s7
	s_wait_loadcnt 0xa
	v_subrev_nc_u32_e32 v50, s12, v18
	s_wait_loadcnt 0x9
	v_dual_mov_b32 v18, v22 :: v_dual_mov_b32 v21, v22
	s_delay_alu instid0(VALU_DEP_2) | instskip(NEXT) | instid1(VALU_DEP_1)
	v_lshlrev_b32_e32 v50, 2, v50
	v_ashrrev_i32_e32 v51, 31, v50
	s_wait_kmcnt 0x0
	s_delay_alu instid0(VALU_DEP_1)
	v_lshl_add_u64 v[58:59], v[50:51], 3, s[4:5]
	s_clause 0x1
	global_load_b128 v[50:53], v[58:59], off
	global_load_b128 v[54:57], v[58:59], off offset:16
	s_wait_loadcnt 0x1
	v_pk_fma_f32 v[10:11], v[50:51], v[18:19], v[10:11] op_sel_hi:[0,1,1]
	s_wait_xcnt 0x0
	v_dual_mov_b32 v18, v26 :: v_dual_mov_b32 v58, v53
	s_wait_loadcnt 0x0
	v_mov_b32_e32 v60, v57
	v_pk_fma_f32 v[10:11], v[50:51], v[20:21], v[10:11] op_sel:[1,0,0]
	v_mov_b32_e32 v21, v26
	s_delay_alu instid0(VALU_DEP_2) | instskip(SKIP_1) | instid1(VALU_DEP_2)
	v_pk_fma_f32 v[10:11], v[52:53], v[18:19], v[10:11] op_sel_hi:[0,1,1]
	v_mov_b32_e32 v18, v34
	v_pk_fma_f32 v[10:11], v[58:59], v[20:21], v[10:11] op_sel_hi:[0,1,1]
	v_mov_b32_e32 v21, v34
	s_delay_alu instid0(VALU_DEP_2) | instskip(SKIP_1) | instid1(VALU_DEP_2)
	v_pk_fma_f32 v[10:11], v[54:55], v[18:19], v[10:11] op_sel_hi:[0,1,1]
	v_mov_b32_e32 v18, v30
	v_pk_fma_f32 v[10:11], v[54:55], v[20:21], v[10:11] op_sel:[1,0,0]
	v_mov_b32_e32 v21, v30
	s_delay_alu instid0(VALU_DEP_2) | instskip(SKIP_1) | instid1(VALU_DEP_2)
	v_pk_fma_f32 v[10:11], v[56:57], v[18:19], v[10:11] op_sel_hi:[0,1,1]
	v_mov_b32_e32 v18, v23
	v_pk_fma_f32 v[62:63], v[60:61], v[20:21], v[10:11] op_sel_hi:[0,1,1]
	v_mov_b32_e32 v21, v23
	s_delay_alu instid0(VALU_DEP_3) | instskip(SKIP_1) | instid1(VALU_DEP_2)
	v_pk_fma_f32 v[10:11], v[50:51], v[18:19], v[12:13] op_sel_hi:[0,1,1]
	v_mov_b32_e32 v18, v27
	v_pk_fma_f32 v[10:11], v[50:51], v[20:21], v[10:11] op_sel:[1,0,0]
	v_mov_b32_e32 v21, v27
	s_delay_alu instid0(VALU_DEP_2) | instskip(SKIP_1) | instid1(VALU_DEP_2)
	v_pk_fma_f32 v[10:11], v[52:53], v[18:19], v[10:11] op_sel_hi:[0,1,1]
	v_mov_b32_e32 v18, v35
	v_pk_fma_f32 v[10:11], v[58:59], v[20:21], v[10:11] op_sel_hi:[0,1,1]
	v_mov_b32_e32 v21, v35
	s_delay_alu instid0(VALU_DEP_2) | instskip(SKIP_1) | instid1(VALU_DEP_2)
	v_pk_fma_f32 v[10:11], v[54:55], v[18:19], v[10:11] op_sel_hi:[0,1,1]
	v_mov_b32_e32 v18, v31
	v_pk_fma_f32 v[10:11], v[54:55], v[20:21], v[10:11] op_sel:[1,0,0]
	v_mov_b32_e32 v21, v31
	s_delay_alu instid0(VALU_DEP_2) | instskip(SKIP_1) | instid1(VALU_DEP_2)
	v_pk_fma_f32 v[10:11], v[56:57], v[18:19], v[10:11] op_sel_hi:[0,1,1]
	v_mov_b32_e32 v18, v24
	v_pk_fma_f32 v[64:65], v[60:61], v[20:21], v[10:11] op_sel_hi:[0,1,1]
	v_mov_b32_e32 v21, v24
	s_delay_alu instid0(VALU_DEP_3) | instskip(SKIP_1) | instid1(VALU_DEP_2)
	v_pk_fma_f32 v[10:11], v[50:51], v[18:19], v[14:15] op_sel_hi:[0,1,1]
	v_mov_b32_e32 v18, v28
	v_pk_fma_f32 v[10:11], v[50:51], v[20:21], v[10:11] op_sel:[1,0,0]
	v_mov_b32_e32 v21, v28
	s_delay_alu instid0(VALU_DEP_2) | instskip(SKIP_1) | instid1(VALU_DEP_2)
	v_pk_fma_f32 v[10:11], v[52:53], v[18:19], v[10:11] op_sel_hi:[0,1,1]
	v_mov_b32_e32 v18, v36
	v_pk_fma_f32 v[10:11], v[58:59], v[20:21], v[10:11] op_sel_hi:[0,1,1]
	v_mov_b32_e32 v21, v36
	s_delay_alu instid0(VALU_DEP_2) | instskip(SKIP_1) | instid1(VALU_DEP_2)
	v_pk_fma_f32 v[10:11], v[54:55], v[18:19], v[10:11] op_sel_hi:[0,1,1]
	v_mov_b32_e32 v18, v32
	v_pk_fma_f32 v[10:11], v[54:55], v[20:21], v[10:11] op_sel:[1,0,0]
	v_mov_b32_e32 v21, v32
	v_subrev_nc_u32_e32 v32, s12, v61
	s_delay_alu instid0(VALU_DEP_3) | instskip(NEXT) | instid1(VALU_DEP_2)
	v_pk_fma_f32 v[10:11], v[56:57], v[18:19], v[10:11] op_sel_hi:[0,1,1]
	v_dual_mov_b32 v18, v25 :: v_dual_lshlrev_b32 v34, 2, v32
	s_delay_alu instid0(VALU_DEP_2) | instskip(SKIP_1) | instid1(VALU_DEP_3)
	v_pk_fma_f32 v[66:67], v[60:61], v[20:21], v[10:11] op_sel_hi:[0,1,1]
	v_mov_b32_e32 v21, v25
	v_pk_fma_f32 v[14:15], v[50:51], v[18:19], v[16:17] op_sel_hi:[0,1,1]
	v_mov_b32_e32 v18, v29
	global_load_b128 v[10:13], v[8:9], off offset:2048
	v_pk_fma_f32 v[22:23], v[50:51], v[20:21], v[14:15] op_sel:[1,0,0]
	v_mov_b32_e32 v21, v29
	global_load_b128 v[14:17], v[8:9], off offset:4144
	v_pk_fma_f32 v[26:27], v[52:53], v[18:19], v[22:23] op_sel_hi:[0,1,1]
	v_mov_b32_e32 v18, v37
	global_load_b128 v[22:25], v[8:9], off offset:4128
	v_pk_fma_f32 v[30:31], v[58:59], v[20:21], v[26:27] op_sel_hi:[0,1,1]
	;; [unrolled: 3-line block ×3, first 2 shown]
	v_dual_mov_b32 v18, v33 :: v_dual_ashrrev_i32 v35, 31, v34
	s_delay_alu instid0(VALU_DEP_2) | instskip(SKIP_1) | instid1(VALU_DEP_3)
	v_pk_fma_f32 v[36:37], v[54:55], v[20:21], v[30:31] op_sel:[1,0,0]
	v_mov_b32_e32 v21, v33
	v_lshl_add_u64 v[34:35], v[34:35], 3, s[4:5]
	s_delay_alu instid0(VALU_DEP_3)
	v_pk_fma_f32 v[50:51], v[56:57], v[18:19], v[36:37] op_sel_hi:[0,1,1]
	s_clause 0x1
	global_load_b128 v[30:33], v[34:35], off
	global_load_b128 v[34:37], v[34:35], off offset:16
	v_pk_fma_f32 v[50:51], v[60:61], v[20:21], v[50:51] op_sel_hi:[0,1,1]
	s_wait_loadcnt 0x5
	v_dual_mov_b32 v18, v10 :: v_dual_mov_b32 v21, v10
	s_wait_loadcnt 0x1
	s_delay_alu instid0(VALU_DEP_1) | instskip(SKIP_3) | instid1(VALU_DEP_3)
	v_pk_fma_f32 v[56:57], v[30:31], v[18:19], v[62:63] op_sel_hi:[0,1,1]
	v_dual_mov_b32 v18, v46 :: v_dual_mov_b32 v52, v33
	s_wait_loadcnt 0x0
	v_mov_b32_e32 v54, v37
	v_pk_fma_f32 v[56:57], v[30:31], v[20:21], v[56:57] op_sel:[1,0,0]
	v_mov_b32_e32 v21, v46
	s_delay_alu instid0(VALU_DEP_2) | instskip(SKIP_1) | instid1(VALU_DEP_2)
	v_pk_fma_f32 v[56:57], v[32:33], v[18:19], v[56:57] op_sel_hi:[0,1,1]
	v_mov_b32_e32 v18, v42
	v_pk_fma_f32 v[56:57], v[52:53], v[20:21], v[56:57] op_sel_hi:[0,1,1]
	v_mov_b32_e32 v21, v42
	s_delay_alu instid0(VALU_DEP_2) | instskip(SKIP_1) | instid1(VALU_DEP_2)
	v_pk_fma_f32 v[56:57], v[34:35], v[18:19], v[56:57] op_sel_hi:[0,1,1]
	v_mov_b32_e32 v18, v38
	v_pk_fma_f32 v[56:57], v[34:35], v[20:21], v[56:57] op_sel:[1,0,0]
	v_mov_b32_e32 v21, v38
	s_delay_alu instid0(VALU_DEP_2) | instskip(SKIP_1) | instid1(VALU_DEP_2)
	v_pk_fma_f32 v[56:57], v[36:37], v[18:19], v[56:57] op_sel_hi:[0,1,1]
	v_mov_b32_e32 v18, v11
	v_pk_fma_f32 v[56:57], v[54:55], v[20:21], v[56:57] op_sel_hi:[0,1,1]
	v_mov_b32_e32 v21, v11
	s_delay_alu instid0(VALU_DEP_3) | instskip(SKIP_1) | instid1(VALU_DEP_2)
	v_pk_fma_f32 v[58:59], v[30:31], v[18:19], v[64:65] op_sel_hi:[0,1,1]
	v_mov_b32_e32 v18, v47
	v_pk_fma_f32 v[10:11], v[30:31], v[20:21], v[58:59] op_sel:[1,0,0]
	v_mov_b32_e32 v21, v47
	s_delay_alu instid0(VALU_DEP_2) | instskip(SKIP_1) | instid1(VALU_DEP_2)
	v_pk_fma_f32 v[10:11], v[32:33], v[18:19], v[10:11] op_sel_hi:[0,1,1]
	v_mov_b32_e32 v18, v43
	v_pk_fma_f32 v[10:11], v[52:53], v[20:21], v[10:11] op_sel_hi:[0,1,1]
	v_mov_b32_e32 v21, v43
	s_delay_alu instid0(VALU_DEP_2) | instskip(SKIP_1) | instid1(VALU_DEP_2)
	v_pk_fma_f32 v[10:11], v[34:35], v[18:19], v[10:11] op_sel_hi:[0,1,1]
	v_mov_b32_e32 v18, v39
	v_pk_fma_f32 v[10:11], v[34:35], v[20:21], v[10:11] op_sel:[1,0,0]
	v_mov_b32_e32 v21, v39
	s_delay_alu instid0(VALU_DEP_2) | instskip(SKIP_1) | instid1(VALU_DEP_2)
	v_pk_fma_f32 v[10:11], v[36:37], v[18:19], v[10:11] op_sel_hi:[0,1,1]
	v_mov_b32_e32 v18, v12
	v_pk_fma_f32 v[58:59], v[54:55], v[20:21], v[10:11] op_sel_hi:[0,1,1]
	v_mov_b32_e32 v21, v12
	s_delay_alu instid0(VALU_DEP_3) | instskip(SKIP_1) | instid1(VALU_DEP_2)
	v_pk_fma_f32 v[10:11], v[30:31], v[18:19], v[66:67] op_sel_hi:[0,1,1]
	v_mov_b32_e32 v18, v48
	v_pk_fma_f32 v[10:11], v[30:31], v[20:21], v[10:11] op_sel:[1,0,0]
	v_mov_b32_e32 v21, v48
	s_delay_alu instid0(VALU_DEP_2) | instskip(SKIP_1) | instid1(VALU_DEP_2)
	v_pk_fma_f32 v[10:11], v[32:33], v[18:19], v[10:11] op_sel_hi:[0,1,1]
	v_mov_b32_e32 v18, v44
	v_pk_fma_f32 v[10:11], v[52:53], v[20:21], v[10:11] op_sel_hi:[0,1,1]
	v_mov_b32_e32 v21, v44
	s_delay_alu instid0(VALU_DEP_2) | instskip(SKIP_1) | instid1(VALU_DEP_2)
	v_pk_fma_f32 v[10:11], v[34:35], v[18:19], v[10:11] op_sel_hi:[0,1,1]
	v_mov_b32_e32 v18, v40
	v_pk_fma_f32 v[10:11], v[34:35], v[20:21], v[10:11] op_sel:[1,0,0]
	v_mov_b32_e32 v21, v40
	v_subrev_nc_u32_e32 v40, s12, v69
	s_delay_alu instid0(VALU_DEP_3) | instskip(SKIP_2) | instid1(VALU_DEP_3)
	v_pk_fma_f32 v[10:11], v[36:37], v[18:19], v[10:11] op_sel_hi:[0,1,1]
	v_mov_b32_e32 v18, v13
	v_subrev_nc_u32_e32 v37, s12, v68
	v_pk_fma_f32 v[60:61], v[54:55], v[20:21], v[10:11] op_sel_hi:[0,1,1]
	v_mov_b32_e32 v21, v13
	s_delay_alu instid0(VALU_DEP_4) | instskip(NEXT) | instid1(VALU_DEP_4)
	v_pk_fma_f32 v[38:39], v[30:31], v[18:19], v[50:51] op_sel_hi:[0,1,1]
	v_dual_mov_b32 v18, v49 :: v_dual_lshlrev_b32 v50, 2, v37
	global_load_b128 v[10:13], v[8:9], off offset:4096
	v_pk_fma_f32 v[30:31], v[30:31], v[20:21], v[38:39] op_sel:[1,0,0]
	v_mov_b32_e32 v21, v49
	global_load_b128 v[46:49], v[8:9], off offset:6160
	v_pk_fma_f32 v[38:39], v[32:33], v[18:19], v[30:31] op_sel_hi:[0,1,1]
	v_mov_b32_e32 v18, v45
	global_load_b128 v[30:33], v[8:9], off offset:6144
	v_pk_fma_f32 v[38:39], v[52:53], v[20:21], v[38:39] op_sel_hi:[0,1,1]
	v_dual_lshlrev_b32 v52, 2, v40 :: v_dual_ashrrev_i32 v51, 31, v50
	v_mov_b32_e32 v21, v45
	global_load_b128 v[42:45], v[8:9], off offset:6176
	v_pk_fma_f32 v[38:39], v[34:35], v[18:19], v[38:39] op_sel_hi:[0,1,1]
	v_ashrrev_i32_e32 v53, 31, v52
	v_lshl_add_u64 v[50:51], v[50:51], 3, s[4:5]
	v_mov_b32_e32 v18, v41
	s_delay_alu instid0(VALU_DEP_4)
	v_pk_fma_f32 v[34:35], v[34:35], v[20:21], v[38:39] op_sel:[1,0,0]
	v_mov_b32_e32 v21, v41
	global_load_b128 v[38:41], v[50:51], off
	v_lshl_add_u64 v[62:63], v[52:53], 3, s[4:5]
	v_pk_fma_f32 v[52:53], v[36:37], v[18:19], v[34:35] op_sel_hi:[0,1,1]
	global_load_b128 v[34:37], v[50:51], off offset:16
	v_pk_fma_f32 v[54:55], v[54:55], v[20:21], v[52:53] op_sel_hi:[0,1,1]
	s_wait_loadcnt 0x5
	v_dual_mov_b32 v18, v10 :: v_dual_mov_b32 v21, v10
	s_wait_loadcnt 0x1
	s_wait_xcnt 0x0
	s_delay_alu instid0(VALU_DEP_1) | instskip(SKIP_3) | instid1(VALU_DEP_3)
	v_pk_fma_f32 v[50:51], v[38:39], v[18:19], v[56:57] op_sel_hi:[0,1,1]
	v_dual_mov_b32 v18, v26 :: v_dual_mov_b32 v64, v41
	s_wait_loadcnt 0x0
	v_mov_b32_e32 v66, v37
	v_pk_fma_f32 v[50:51], v[38:39], v[20:21], v[50:51] op_sel:[1,0,0]
	v_mov_b32_e32 v21, v26
	s_delay_alu instid0(VALU_DEP_2) | instskip(SKIP_1) | instid1(VALU_DEP_2)
	v_pk_fma_f32 v[50:51], v[40:41], v[18:19], v[50:51] op_sel_hi:[0,1,1]
	v_mov_b32_e32 v18, v22
	v_pk_fma_f32 v[50:51], v[64:65], v[20:21], v[50:51] op_sel_hi:[0,1,1]
	v_mov_b32_e32 v21, v22
	s_delay_alu instid0(VALU_DEP_2) | instskip(SKIP_1) | instid1(VALU_DEP_2)
	v_pk_fma_f32 v[50:51], v[34:35], v[18:19], v[50:51] op_sel_hi:[0,1,1]
	v_mov_b32_e32 v18, v14
	v_pk_fma_f32 v[50:51], v[34:35], v[20:21], v[50:51] op_sel:[1,0,0]
	v_mov_b32_e32 v21, v14
	s_delay_alu instid0(VALU_DEP_2) | instskip(SKIP_1) | instid1(VALU_DEP_2)
	v_pk_fma_f32 v[50:51], v[36:37], v[18:19], v[50:51] op_sel_hi:[0,1,1]
	v_mov_b32_e32 v18, v11
	v_pk_fma_f32 v[56:57], v[66:67], v[20:21], v[50:51] op_sel_hi:[0,1,1]
	v_mov_b32_e32 v21, v11
	s_delay_alu instid0(VALU_DEP_3) | instskip(SKIP_1) | instid1(VALU_DEP_2)
	v_pk_fma_f32 v[50:51], v[38:39], v[18:19], v[58:59] op_sel_hi:[0,1,1]
	v_mov_b32_e32 v18, v27
	v_pk_fma_f32 v[10:11], v[38:39], v[20:21], v[50:51] op_sel:[1,0,0]
	v_mov_b32_e32 v21, v27
	global_load_b128 v[50:53], v[62:63], off
	v_pk_fma_f32 v[10:11], v[40:41], v[18:19], v[10:11] op_sel_hi:[0,1,1]
	v_mov_b32_e32 v18, v23
	s_delay_alu instid0(VALU_DEP_2) | instskip(SKIP_1) | instid1(VALU_DEP_2)
	v_pk_fma_f32 v[10:11], v[64:65], v[20:21], v[10:11] op_sel_hi:[0,1,1]
	v_mov_b32_e32 v21, v23
	v_pk_fma_f32 v[10:11], v[34:35], v[18:19], v[10:11] op_sel_hi:[0,1,1]
	v_mov_b32_e32 v18, v15
	s_delay_alu instid0(VALU_DEP_2) | instskip(SKIP_1) | instid1(VALU_DEP_2)
	v_pk_fma_f32 v[10:11], v[34:35], v[20:21], v[10:11] op_sel:[1,0,0]
	v_mov_b32_e32 v21, v15
	v_pk_fma_f32 v[10:11], v[36:37], v[18:19], v[10:11] op_sel_hi:[0,1,1]
	v_mov_b32_e32 v18, v12
	s_delay_alu instid0(VALU_DEP_2) | instskip(SKIP_1) | instid1(VALU_DEP_3)
	v_pk_fma_f32 v[14:15], v[66:67], v[20:21], v[10:11] op_sel_hi:[0,1,1]
	v_mov_b32_e32 v21, v12
	v_pk_fma_f32 v[10:11], v[38:39], v[18:19], v[60:61] op_sel_hi:[0,1,1]
	v_mov_b32_e32 v18, v28
	s_delay_alu instid0(VALU_DEP_2) | instskip(SKIP_1) | instid1(VALU_DEP_2)
	v_pk_fma_f32 v[10:11], v[38:39], v[20:21], v[10:11] op_sel:[1,0,0]
	v_mov_b32_e32 v21, v28
	v_pk_fma_f32 v[10:11], v[40:41], v[18:19], v[10:11] op_sel_hi:[0,1,1]
	v_mov_b32_e32 v18, v24
	s_delay_alu instid0(VALU_DEP_2) | instskip(SKIP_1) | instid1(VALU_DEP_2)
	v_pk_fma_f32 v[10:11], v[64:65], v[20:21], v[10:11] op_sel_hi:[0,1,1]
	v_mov_b32_e32 v21, v24
	v_pk_fma_f32 v[10:11], v[34:35], v[18:19], v[10:11] op_sel_hi:[0,1,1]
	v_mov_b32_e32 v18, v16
	s_delay_alu instid0(VALU_DEP_2) | instskip(SKIP_1) | instid1(VALU_DEP_2)
	v_pk_fma_f32 v[10:11], v[34:35], v[20:21], v[10:11] op_sel:[1,0,0]
	v_mov_b32_e32 v21, v16
	v_pk_fma_f32 v[10:11], v[36:37], v[18:19], v[10:11] op_sel_hi:[0,1,1]
	v_mov_b32_e32 v18, v13
	s_delay_alu instid0(VALU_DEP_2) | instskip(SKIP_1) | instid1(VALU_DEP_3)
	v_pk_fma_f32 v[22:23], v[66:67], v[20:21], v[10:11] op_sel_hi:[0,1,1]
	v_mov_b32_e32 v21, v13
	v_pk_fma_f32 v[10:11], v[38:39], v[18:19], v[54:55] op_sel_hi:[0,1,1]
	v_mov_b32_e32 v18, v29
	s_delay_alu instid0(VALU_DEP_2)
	v_pk_fma_f32 v[10:11], v[38:39], v[20:21], v[10:11] op_sel:[1,0,0]
	v_mov_b32_e32 v21, v29
	global_load_b128 v[26:29], v[62:63], off offset:16
	v_pk_fma_f32 v[10:11], v[40:41], v[18:19], v[10:11] op_sel_hi:[0,1,1]
	global_load_b128 v[38:41], v[8:9], off offset:6192
	v_mov_b32_e32 v18, v25
	s_wait_xcnt 0x0
	v_add_nc_u64_e32 v[8:9], 0x2000, v[8:9]
	v_pk_fma_f32 v[10:11], v[64:65], v[20:21], v[10:11] op_sel_hi:[0,1,1]
	v_mov_b32_e32 v21, v25
	s_delay_alu instid0(VALU_DEP_2) | instskip(SKIP_1) | instid1(VALU_DEP_2)
	v_pk_fma_f32 v[10:11], v[34:35], v[18:19], v[10:11] op_sel_hi:[0,1,1]
	v_mov_b32_e32 v18, v17
	v_pk_fma_f32 v[10:11], v[34:35], v[20:21], v[10:11] op_sel:[1,0,0]
	v_mov_b32_e32 v21, v17
	s_delay_alu instid0(VALU_DEP_2) | instskip(SKIP_1) | instid1(VALU_DEP_2)
	v_pk_fma_f32 v[10:11], v[36:37], v[18:19], v[10:11] op_sel_hi:[0,1,1]
	v_mov_b32_e32 v18, v30
	v_pk_fma_f32 v[34:35], v[66:67], v[20:21], v[10:11] op_sel_hi:[0,1,1]
	v_mov_b32_e32 v21, v30
	s_wait_loadcnt 0x2
	s_delay_alu instid0(VALU_DEP_3) | instskip(SKIP_1) | instid1(VALU_DEP_2)
	v_pk_fma_f32 v[10:11], v[50:51], v[18:19], v[56:57] op_sel_hi:[0,1,1]
	v_dual_mov_b32 v18, v46 :: v_dual_mov_b32 v16, v53
	v_pk_fma_f32 v[10:11], v[50:51], v[20:21], v[10:11] op_sel:[1,0,0]
	v_mov_b32_e32 v21, v46
	s_delay_alu instid0(VALU_DEP_2) | instskip(SKIP_2) | instid1(VALU_DEP_2)
	v_pk_fma_f32 v[10:11], v[52:53], v[18:19], v[10:11] op_sel_hi:[0,1,1]
	s_wait_loadcnt 0x1
	v_dual_mov_b32 v18, v42 :: v_dual_mov_b32 v24, v29
	v_pk_fma_f32 v[10:11], v[16:17], v[20:21], v[10:11] op_sel_hi:[0,1,1]
	v_mov_b32_e32 v21, v42
	s_delay_alu instid0(VALU_DEP_2) | instskip(SKIP_2) | instid1(VALU_DEP_2)
	v_pk_fma_f32 v[10:11], v[26:27], v[18:19], v[10:11] op_sel_hi:[0,1,1]
	s_wait_loadcnt 0x0
	v_mov_b32_e32 v18, v38
	v_pk_fma_f32 v[10:11], v[26:27], v[20:21], v[10:11] op_sel:[1,0,0]
	v_mov_b32_e32 v21, v38
	s_delay_alu instid0(VALU_DEP_2) | instskip(SKIP_1) | instid1(VALU_DEP_2)
	v_pk_fma_f32 v[10:11], v[28:29], v[18:19], v[10:11] op_sel_hi:[0,1,1]
	v_mov_b32_e32 v18, v31
	v_pk_fma_f32 v[10:11], v[24:25], v[20:21], v[10:11] op_sel_hi:[0,1,1]
	v_mov_b32_e32 v21, v31
	s_delay_alu instid0(VALU_DEP_3) | instskip(SKIP_1) | instid1(VALU_DEP_2)
	v_pk_fma_f32 v[12:13], v[50:51], v[18:19], v[14:15] op_sel_hi:[0,1,1]
	v_mov_b32_e32 v18, v47
	v_pk_fma_f32 v[12:13], v[50:51], v[20:21], v[12:13] op_sel:[1,0,0]
	v_mov_b32_e32 v21, v47
	s_delay_alu instid0(VALU_DEP_2) | instskip(SKIP_1) | instid1(VALU_DEP_2)
	v_pk_fma_f32 v[12:13], v[52:53], v[18:19], v[12:13] op_sel_hi:[0,1,1]
	v_mov_b32_e32 v18, v43
	v_pk_fma_f32 v[12:13], v[16:17], v[20:21], v[12:13] op_sel_hi:[0,1,1]
	v_mov_b32_e32 v21, v43
	s_delay_alu instid0(VALU_DEP_2) | instskip(SKIP_1) | instid1(VALU_DEP_2)
	v_pk_fma_f32 v[12:13], v[26:27], v[18:19], v[12:13] op_sel_hi:[0,1,1]
	v_mov_b32_e32 v18, v39
	v_pk_fma_f32 v[12:13], v[26:27], v[20:21], v[12:13] op_sel:[1,0,0]
	v_mov_b32_e32 v21, v39
	s_delay_alu instid0(VALU_DEP_2) | instskip(SKIP_1) | instid1(VALU_DEP_2)
	v_pk_fma_f32 v[12:13], v[28:29], v[18:19], v[12:13] op_sel_hi:[0,1,1]
	v_mov_b32_e32 v18, v32
	v_pk_fma_f32 v[12:13], v[24:25], v[20:21], v[12:13] op_sel_hi:[0,1,1]
	v_mov_b32_e32 v21, v32
	s_delay_alu instid0(VALU_DEP_3) | instskip(SKIP_1) | instid1(VALU_DEP_2)
	v_pk_fma_f32 v[14:15], v[50:51], v[18:19], v[22:23] op_sel_hi:[0,1,1]
	v_mov_b32_e32 v18, v48
	v_pk_fma_f32 v[14:15], v[50:51], v[20:21], v[14:15] op_sel:[1,0,0]
	v_mov_b32_e32 v21, v48
	s_delay_alu instid0(VALU_DEP_2) | instskip(SKIP_1) | instid1(VALU_DEP_2)
	v_pk_fma_f32 v[14:15], v[52:53], v[18:19], v[14:15] op_sel_hi:[0,1,1]
	v_mov_b32_e32 v18, v44
	v_pk_fma_f32 v[14:15], v[16:17], v[20:21], v[14:15] op_sel_hi:[0,1,1]
	v_mov_b32_e32 v21, v44
	s_delay_alu instid0(VALU_DEP_2) | instskip(SKIP_1) | instid1(VALU_DEP_2)
	v_pk_fma_f32 v[14:15], v[26:27], v[18:19], v[14:15] op_sel_hi:[0,1,1]
	;; [unrolled: 20-line block ×3, first 2 shown]
	v_mov_b32_e32 v18, v41
	v_pk_fma_f32 v[16:17], v[26:27], v[20:21], v[16:17] op_sel:[1,0,0]
	v_mov_b32_e32 v21, v41
	s_delay_alu instid0(VALU_DEP_2) | instskip(NEXT) | instid1(VALU_DEP_1)
	v_pk_fma_f32 v[16:17], v[28:29], v[18:19], v[16:17] op_sel_hi:[0,1,1]
	v_pk_fma_f32 v[16:17], v[24:25], v[20:21], v[16:17] op_sel_hi:[0,1,1]
	s_and_not1_b32 exec_lo, exec_lo, s7
	s_cbranch_execnz .LBB123_29
; %bb.30:
	s_or_b32 exec_lo, exec_lo, s7
.LBB123_31:
	s_delay_alu instid0(SALU_CYCLE_1)
	s_or_b32 exec_lo, exec_lo, s3
.LBB123_32:
	s_delay_alu instid0(SALU_CYCLE_1)
	s_or_b32 exec_lo, exec_lo, s6
.LBB123_33:
	v_mbcnt_lo_u32_b32 v0, -1, 0
	s_delay_alu instid0(VALU_DEP_1) | instskip(SKIP_1) | instid1(VALU_DEP_1)
	v_xor_b32_e32 v23, 8, v0
	v_xor_b32_e32 v1, 16, v0
	v_cmp_gt_i32_e32 vcc_lo, 32, v1
	v_cndmask_b32_e32 v1, v0, v1, vcc_lo
	s_delay_alu instid0(VALU_DEP_4) | instskip(SKIP_1) | instid1(VALU_DEP_1)
	v_cmp_gt_i32_e32 vcc_lo, 32, v23
	v_cndmask_b32_e32 v23, v0, v23, vcc_lo
	v_dual_lshlrev_b32 v23, 2, v23 :: v_dual_lshlrev_b32 v1, 2, v1
	ds_bpermute_b32 v8, v1, v10
	s_wait_dscnt 0x0
	v_add_f32_e32 v8, v10, v8
	ds_bpermute_b32 v9, v1, v11
	ds_bpermute_b32 v18, v1, v12
	;; [unrolled: 1-line block ×7, first 2 shown]
	s_wait_dscnt 0x5
	v_dual_add_f32 v9, v11, v9 :: v_dual_add_f32 v10, v12, v18
	s_wait_dscnt 0x3
	v_dual_add_f32 v11, v13, v19 :: v_dual_add_f32 v12, v14, v20
	s_wait_dscnt 0x2
	v_add_f32_e32 v13, v15, v21
	ds_bpermute_b32 v15, v23, v8
	s_wait_dscnt 0x1
	v_dual_add_f32 v14, v16, v22 :: v_dual_add_f32 v1, v17, v1
	ds_bpermute_b32 v16, v23, v9
	ds_bpermute_b32 v17, v23, v10
	;; [unrolled: 1-line block ×7, first 2 shown]
	s_wait_dscnt 0x7
	v_dual_add_f32 v8, v8, v15 :: v_dual_bitop2_b32 v23, 4, v0 bitop3:0x14
	s_delay_alu instid0(VALU_DEP_1)
	v_cmp_gt_i32_e32 vcc_lo, 32, v23
	s_wait_dscnt 0x5
	v_dual_add_f32 v9, v9, v16 :: v_dual_add_f32 v10, v10, v17
	s_wait_dscnt 0x3
	v_dual_add_f32 v11, v11, v18 :: v_dual_add_f32 v12, v12, v19
	s_wait_dscnt 0x2
	v_dual_cndmask_b32 v23, v0, v23, vcc_lo :: v_dual_add_f32 v13, v13, v20
	s_wait_dscnt 0x0
	v_dual_add_f32 v14, v14, v21 :: v_dual_add_f32 v1, v1, v22
	s_delay_alu instid0(VALU_DEP_2)
	v_lshlrev_b32_e32 v23, 2, v23
	ds_bpermute_b32 v15, v23, v8
	ds_bpermute_b32 v16, v23, v9
	;; [unrolled: 1-line block ×8, first 2 shown]
	v_xor_b32_e32 v23, 2, v0
	s_delay_alu instid0(VALU_DEP_1) | instskip(SKIP_4) | instid1(VALU_DEP_2)
	v_cmp_gt_i32_e32 vcc_lo, 32, v23
	v_cndmask_b32_e32 v23, v0, v23, vcc_lo
	s_wait_dscnt 0x6
	v_dual_add_f32 v8, v8, v15 :: v_dual_add_f32 v9, v9, v16
	s_wait_dscnt 0x5
	v_dual_add_f32 v10, v10, v17 :: v_dual_lshlrev_b32 v23, 2, v23
	s_wait_dscnt 0x3
	v_dual_add_f32 v11, v11, v18 :: v_dual_add_f32 v12, v12, v19
	s_wait_dscnt 0x1
	v_dual_add_f32 v13, v13, v20 :: v_dual_add_f32 v14, v14, v21
	s_wait_dscnt 0x0
	v_add_f32_e32 v15, v1, v22
	ds_bpermute_b32 v1, v23, v8
	ds_bpermute_b32 v16, v23, v9
	;; [unrolled: 1-line block ×8, first 2 shown]
	v_xor_b32_e32 v23, 1, v0
	s_delay_alu instid0(VALU_DEP_1) | instskip(SKIP_3) | instid1(VALU_DEP_2)
	v_cmp_gt_i32_e32 vcc_lo, 32, v23
	v_cndmask_b32_e32 v0, v0, v23, vcc_lo
	v_cmp_eq_u32_e32 vcc_lo, 31, v7
	s_wait_dscnt 0x7
	v_dual_add_f32 v0, v8, v1 :: v_dual_lshlrev_b32 v23, 2, v0
	s_wait_dscnt 0x5
	v_dual_add_f32 v1, v9, v16 :: v_dual_add_f32 v8, v10, v17
	s_wait_dscnt 0x3
	v_dual_add_f32 v9, v11, v18 :: v_dual_add_f32 v10, v12, v19
	;; [unrolled: 2-line block ×3, first 2 shown]
	s_wait_dscnt 0x0
	v_add_f32_e32 v13, v15, v22
	ds_bpermute_b32 v14, v23, v0
	ds_bpermute_b32 v15, v23, v1
	;; [unrolled: 1-line block ×8, first 2 shown]
	s_and_b32 exec_lo, exec_lo, vcc_lo
	s_cbranch_execz .LBB123_6
; %bb.34:
	s_load_b64 s[0:1], s[0:1], 0x50
	v_cmp_eq_f32_e32 vcc_lo, 0, v4
	s_wait_dscnt 0x6
	v_dual_add_f32 v0, v0, v14 :: v_dual_add_f32 v22, v1, v15
	s_wait_dscnt 0x4
	v_dual_add_f32 v8, v8, v16 :: v_dual_add_f32 v20, v9, v17
	;; [unrolled: 2-line block ×4, first 2 shown]
	v_xor_b32_e32 v18, 0x80000000, v3
	v_lshlrev_b32_e32 v6, 2, v6
	s_xor_b32 s2, s2, -1
	s_delay_alu instid0(SALU_CYCLE_1) | instskip(NEXT) | instid1(SALU_CYCLE_1)
	s_and_b32 s2, vcc_lo, s2
	s_and_saveexec_b32 s3, s2
	s_delay_alu instid0(SALU_CYCLE_1)
	s_xor_b32 s2, exec_lo, s3
	s_cbranch_execz .LBB123_36
; %bb.35:
	v_dual_mov_b32 v19, v2 :: v_dual_ashrrev_i32 v7, 31, v6
	s_delay_alu instid0(VALU_DEP_1)
	v_pk_mul_f32 v[4:5], v[22:23], v[18:19] op_sel_hi:[0,1]
	v_pk_mul_f32 v[20:21], v[20:21], v[18:19] op_sel_hi:[0,1]
	;; [unrolled: 1-line block ×4, first 2 shown]
	s_wait_kmcnt 0x0
	v_lshl_add_u64 v[18:19], v[6:7], 3, s[0:1]
	v_pk_fma_f32 v[4:5], v[2:3], v[0:1], v[4:5] op_sel_hi:[1,0,1]
	v_pk_fma_f32 v[6:7], v[2:3], v[8:9], v[20:21] op_sel_hi:[1,0,1]
	;; [unrolled: 1-line block ×4, first 2 shown]
                                        ; implicit-def: $vgpr22
                                        ; implicit-def: $vgpr8
                                        ; implicit-def: $vgpr20
                                        ; implicit-def: $vgpr10
                                        ; implicit-def: $vgpr16
                                        ; implicit-def: $vgpr12
                                        ; implicit-def: $vgpr14
	s_clause 0x1
	global_store_b128 v[18:19], v[4:7], off
	global_store_b128 v[18:19], v[0:3], off offset:16
                                        ; implicit-def: $vgpr0
                                        ; implicit-def: $vgpr2_vgpr3
                                        ; implicit-def: $vgpr4_vgpr5
                                        ; implicit-def: $vgpr18
                                        ; implicit-def: $vgpr6
.LBB123_36:
	s_wait_xcnt 0x0
	s_and_not1_saveexec_b32 s2, s2
	s_cbranch_execz .LBB123_6
; %bb.37:
	v_dual_ashrrev_i32 v7, 31, v6 :: v_dual_mov_b32 v19, v2
	s_wait_kmcnt 0x0
	s_delay_alu instid0(VALU_DEP_1) | instskip(NEXT) | instid1(VALU_DEP_2)
	v_lshl_add_u64 v[32:33], v[6:7], 3, s[0:1]
	v_pk_mul_f32 v[6:7], v[22:23], v[18:19] op_sel_hi:[0,1]
	v_pk_mul_f32 v[20:21], v[20:21], v[18:19] op_sel_hi:[0,1]
	v_pk_mul_f32 v[16:17], v[16:17], v[18:19] op_sel_hi:[0,1]
	v_pk_mul_f32 v[14:15], v[14:15], v[18:19] op_sel_hi:[0,1]
	s_clause 0x1
	global_load_b128 v[24:27], v[32:33], off
	global_load_b128 v[28:31], v[32:33], off offset:16
	v_pk_fma_f32 v[0:1], v[2:3], v[0:1], v[6:7] op_sel_hi:[1,0,1]
	v_pk_fma_f32 v[6:7], v[2:3], v[8:9], v[20:21] op_sel_hi:[1,0,1]
	v_pk_fma_f32 v[8:9], v[2:3], v[10:11], v[16:17] op_sel_hi:[1,0,1]
	v_pk_fma_f32 v[2:3], v[2:3], v[12:13], v[14:15] op_sel_hi:[1,0,1]
	v_xor_b32_e32 v22, 0x80000000, v5
	s_wait_loadcnt 0x1
	v_dual_mov_b32 v23, v4 :: v_dual_mov_b32 v10, v27
	v_pk_fma_f32 v[0:1], v[4:5], v[24:25], v[0:1] op_sel_hi:[1,0,1]
	v_pk_fma_f32 v[6:7], v[4:5], v[26:27], v[6:7] op_sel_hi:[1,0,1]
	s_wait_loadcnt 0x0
	v_pk_fma_f32 v[8:9], v[4:5], v[28:29], v[8:9] op_sel_hi:[1,0,1]
	v_pk_fma_f32 v[12:13], v[4:5], v[30:31], v[2:3] op_sel_hi:[1,0,1]
	v_mov_b32_e32 v14, v31
	v_pk_fma_f32 v[0:1], v[22:23], v[24:25], v[0:1] op_sel:[0,1,0]
	v_pk_fma_f32 v[2:3], v[22:23], v[10:11], v[6:7] op_sel_hi:[1,0,1]
	v_pk_fma_f32 v[4:5], v[22:23], v[28:29], v[8:9] op_sel:[0,1,0]
	s_delay_alu instid0(VALU_DEP_4)
	v_pk_fma_f32 v[6:7], v[22:23], v[14:15], v[12:13] op_sel_hi:[1,0,1]
	s_clause 0x1
	global_store_b128 v[32:33], v[0:3], off
	global_store_b128 v[32:33], v[4:7], off offset:16
	s_sendmsg sendmsg(MSG_DEALLOC_VGPRS)
	s_endpgm
	.section	.rodata,"a",@progbits
	.p2align	6, 0x0
	.amdhsa_kernel _ZN9rocsparseL18bsrxmvn_4x4_kernelILj128ELj32E21rocsparse_complex_numIfEiifS2_S2_EEvT3_20rocsparse_direction_NS_24const_host_device_scalarIT1_EES3_PKS3_PKT2_SC_S9_PKT4_PKT5_S7_PT6_21rocsparse_index_base_b
		.amdhsa_group_segment_fixed_size 0
		.amdhsa_private_segment_fixed_size 0
		.amdhsa_kernarg_size 96
		.amdhsa_user_sgpr_count 2
		.amdhsa_user_sgpr_dispatch_ptr 0
		.amdhsa_user_sgpr_queue_ptr 0
		.amdhsa_user_sgpr_kernarg_segment_ptr 1
		.amdhsa_user_sgpr_dispatch_id 0
		.amdhsa_user_sgpr_kernarg_preload_length 0
		.amdhsa_user_sgpr_kernarg_preload_offset 0
		.amdhsa_user_sgpr_private_segment_size 0
		.amdhsa_wavefront_size32 1
		.amdhsa_uses_dynamic_stack 0
		.amdhsa_enable_private_segment 0
		.amdhsa_system_sgpr_workgroup_id_x 1
		.amdhsa_system_sgpr_workgroup_id_y 0
		.amdhsa_system_sgpr_workgroup_id_z 0
		.amdhsa_system_sgpr_workgroup_info 0
		.amdhsa_system_vgpr_workitem_id 0
		.amdhsa_next_free_vgpr 74
		.amdhsa_next_free_sgpr 16
		.amdhsa_named_barrier_count 0
		.amdhsa_reserve_vcc 1
		.amdhsa_float_round_mode_32 0
		.amdhsa_float_round_mode_16_64 0
		.amdhsa_float_denorm_mode_32 3
		.amdhsa_float_denorm_mode_16_64 3
		.amdhsa_fp16_overflow 0
		.amdhsa_memory_ordered 1
		.amdhsa_forward_progress 1
		.amdhsa_inst_pref_size 66
		.amdhsa_round_robin_scheduling 0
		.amdhsa_exception_fp_ieee_invalid_op 0
		.amdhsa_exception_fp_denorm_src 0
		.amdhsa_exception_fp_ieee_div_zero 0
		.amdhsa_exception_fp_ieee_overflow 0
		.amdhsa_exception_fp_ieee_underflow 0
		.amdhsa_exception_fp_ieee_inexact 0
		.amdhsa_exception_int_div_zero 0
	.end_amdhsa_kernel
	.section	.text._ZN9rocsparseL18bsrxmvn_4x4_kernelILj128ELj32E21rocsparse_complex_numIfEiifS2_S2_EEvT3_20rocsparse_direction_NS_24const_host_device_scalarIT1_EES3_PKS3_PKT2_SC_S9_PKT4_PKT5_S7_PT6_21rocsparse_index_base_b,"axG",@progbits,_ZN9rocsparseL18bsrxmvn_4x4_kernelILj128ELj32E21rocsparse_complex_numIfEiifS2_S2_EEvT3_20rocsparse_direction_NS_24const_host_device_scalarIT1_EES3_PKS3_PKT2_SC_S9_PKT4_PKT5_S7_PT6_21rocsparse_index_base_b,comdat
.Lfunc_end123:
	.size	_ZN9rocsparseL18bsrxmvn_4x4_kernelILj128ELj32E21rocsparse_complex_numIfEiifS2_S2_EEvT3_20rocsparse_direction_NS_24const_host_device_scalarIT1_EES3_PKS3_PKT2_SC_S9_PKT4_PKT5_S7_PT6_21rocsparse_index_base_b, .Lfunc_end123-_ZN9rocsparseL18bsrxmvn_4x4_kernelILj128ELj32E21rocsparse_complex_numIfEiifS2_S2_EEvT3_20rocsparse_direction_NS_24const_host_device_scalarIT1_EES3_PKS3_PKT2_SC_S9_PKT4_PKT5_S7_PT6_21rocsparse_index_base_b
                                        ; -- End function
	.set _ZN9rocsparseL18bsrxmvn_4x4_kernelILj128ELj32E21rocsparse_complex_numIfEiifS2_S2_EEvT3_20rocsparse_direction_NS_24const_host_device_scalarIT1_EES3_PKS3_PKT2_SC_S9_PKT4_PKT5_S7_PT6_21rocsparse_index_base_b.num_vgpr, 74
	.set _ZN9rocsparseL18bsrxmvn_4x4_kernelILj128ELj32E21rocsparse_complex_numIfEiifS2_S2_EEvT3_20rocsparse_direction_NS_24const_host_device_scalarIT1_EES3_PKS3_PKT2_SC_S9_PKT4_PKT5_S7_PT6_21rocsparse_index_base_b.num_agpr, 0
	.set _ZN9rocsparseL18bsrxmvn_4x4_kernelILj128ELj32E21rocsparse_complex_numIfEiifS2_S2_EEvT3_20rocsparse_direction_NS_24const_host_device_scalarIT1_EES3_PKS3_PKT2_SC_S9_PKT4_PKT5_S7_PT6_21rocsparse_index_base_b.numbered_sgpr, 16
	.set _ZN9rocsparseL18bsrxmvn_4x4_kernelILj128ELj32E21rocsparse_complex_numIfEiifS2_S2_EEvT3_20rocsparse_direction_NS_24const_host_device_scalarIT1_EES3_PKS3_PKT2_SC_S9_PKT4_PKT5_S7_PT6_21rocsparse_index_base_b.num_named_barrier, 0
	.set _ZN9rocsparseL18bsrxmvn_4x4_kernelILj128ELj32E21rocsparse_complex_numIfEiifS2_S2_EEvT3_20rocsparse_direction_NS_24const_host_device_scalarIT1_EES3_PKS3_PKT2_SC_S9_PKT4_PKT5_S7_PT6_21rocsparse_index_base_b.private_seg_size, 0
	.set _ZN9rocsparseL18bsrxmvn_4x4_kernelILj128ELj32E21rocsparse_complex_numIfEiifS2_S2_EEvT3_20rocsparse_direction_NS_24const_host_device_scalarIT1_EES3_PKS3_PKT2_SC_S9_PKT4_PKT5_S7_PT6_21rocsparse_index_base_b.uses_vcc, 1
	.set _ZN9rocsparseL18bsrxmvn_4x4_kernelILj128ELj32E21rocsparse_complex_numIfEiifS2_S2_EEvT3_20rocsparse_direction_NS_24const_host_device_scalarIT1_EES3_PKS3_PKT2_SC_S9_PKT4_PKT5_S7_PT6_21rocsparse_index_base_b.uses_flat_scratch, 1
	.set _ZN9rocsparseL18bsrxmvn_4x4_kernelILj128ELj32E21rocsparse_complex_numIfEiifS2_S2_EEvT3_20rocsparse_direction_NS_24const_host_device_scalarIT1_EES3_PKS3_PKT2_SC_S9_PKT4_PKT5_S7_PT6_21rocsparse_index_base_b.has_dyn_sized_stack, 0
	.set _ZN9rocsparseL18bsrxmvn_4x4_kernelILj128ELj32E21rocsparse_complex_numIfEiifS2_S2_EEvT3_20rocsparse_direction_NS_24const_host_device_scalarIT1_EES3_PKS3_PKT2_SC_S9_PKT4_PKT5_S7_PT6_21rocsparse_index_base_b.has_recursion, 0
	.set _ZN9rocsparseL18bsrxmvn_4x4_kernelILj128ELj32E21rocsparse_complex_numIfEiifS2_S2_EEvT3_20rocsparse_direction_NS_24const_host_device_scalarIT1_EES3_PKS3_PKT2_SC_S9_PKT4_PKT5_S7_PT6_21rocsparse_index_base_b.has_indirect_call, 0
	.section	.AMDGPU.csdata,"",@progbits
; Kernel info:
; codeLenInByte = 8340
; TotalNumSgprs: 18
; NumVgprs: 74
; ScratchSize: 0
; MemoryBound: 0
; FloatMode: 240
; IeeeMode: 1
; LDSByteSize: 0 bytes/workgroup (compile time only)
; SGPRBlocks: 0
; VGPRBlocks: 4
; NumSGPRsForWavesPerEU: 18
; NumVGPRsForWavesPerEU: 74
; NamedBarCnt: 0
; Occupancy: 12
; WaveLimiterHint : 1
; COMPUTE_PGM_RSRC2:SCRATCH_EN: 0
; COMPUTE_PGM_RSRC2:USER_SGPR: 2
; COMPUTE_PGM_RSRC2:TRAP_HANDLER: 0
; COMPUTE_PGM_RSRC2:TGID_X_EN: 1
; COMPUTE_PGM_RSRC2:TGID_Y_EN: 0
; COMPUTE_PGM_RSRC2:TGID_Z_EN: 0
; COMPUTE_PGM_RSRC2:TIDIG_COMP_CNT: 0
	.section	.text._ZN9rocsparseL18bsrxmvn_4x4_kernelILj128ELj64E21rocsparse_complex_numIfEiifS2_S2_EEvT3_20rocsparse_direction_NS_24const_host_device_scalarIT1_EES3_PKS3_PKT2_SC_S9_PKT4_PKT5_S7_PT6_21rocsparse_index_base_b,"axG",@progbits,_ZN9rocsparseL18bsrxmvn_4x4_kernelILj128ELj64E21rocsparse_complex_numIfEiifS2_S2_EEvT3_20rocsparse_direction_NS_24const_host_device_scalarIT1_EES3_PKS3_PKT2_SC_S9_PKT4_PKT5_S7_PT6_21rocsparse_index_base_b,comdat
	.globl	_ZN9rocsparseL18bsrxmvn_4x4_kernelILj128ELj64E21rocsparse_complex_numIfEiifS2_S2_EEvT3_20rocsparse_direction_NS_24const_host_device_scalarIT1_EES3_PKS3_PKT2_SC_S9_PKT4_PKT5_S7_PT6_21rocsparse_index_base_b ; -- Begin function _ZN9rocsparseL18bsrxmvn_4x4_kernelILj128ELj64E21rocsparse_complex_numIfEiifS2_S2_EEvT3_20rocsparse_direction_NS_24const_host_device_scalarIT1_EES3_PKS3_PKT2_SC_S9_PKT4_PKT5_S7_PT6_21rocsparse_index_base_b
	.p2align	8
	.type	_ZN9rocsparseL18bsrxmvn_4x4_kernelILj128ELj64E21rocsparse_complex_numIfEiifS2_S2_EEvT3_20rocsparse_direction_NS_24const_host_device_scalarIT1_EES3_PKS3_PKT2_SC_S9_PKT4_PKT5_S7_PT6_21rocsparse_index_base_b,@function
_ZN9rocsparseL18bsrxmvn_4x4_kernelILj128ELj64E21rocsparse_complex_numIfEiifS2_S2_EEvT3_20rocsparse_direction_NS_24const_host_device_scalarIT1_EES3_PKS3_PKT2_SC_S9_PKT4_PKT5_S7_PT6_21rocsparse_index_base_b: ; @_ZN9rocsparseL18bsrxmvn_4x4_kernelILj128ELj64E21rocsparse_complex_numIfEiifS2_S2_EEvT3_20rocsparse_direction_NS_24const_host_device_scalarIT1_EES3_PKS3_PKT2_SC_S9_PKT4_PKT5_S7_PT6_21rocsparse_index_base_b
; %bb.0:
	s_clause 0x2
	s_load_b64 s[12:13], s[0:1], 0x58
	s_load_b64 s[2:3], s[0:1], 0x8
	;; [unrolled: 1-line block ×3, first 2 shown]
	v_mov_b32_e32 v1, 0
	s_add_nc_u64 s[6:7], s[0:1], 8
	s_add_nc_u64 s[8:9], s[0:1], 0x48
	s_wait_kmcnt 0x0
	s_bitcmp1_b32 s13, 0
	s_cselect_b32 s3, s7, s3
	s_cselect_b32 s2, s6, s2
	;; [unrolled: 1-line block ×4, first 2 shown]
	s_clause 0x1
	flat_load_b64 v[2:3], v1, s[2:3]
	flat_load_b64 v[4:5], v1, s[4:5]
	s_wait_loadcnt_dscnt 0x101
	v_cmp_neq_f32_e32 vcc_lo, 0, v2
	v_cmp_neq_f32_e64 s3, 0, v3
	s_wait_loadcnt_dscnt 0x0
	v_cmp_neq_f32_e64 s4, 1.0, v4
	v_cmp_neq_f32_e64 s2, 0, v5
	s_or_b32 s5, vcc_lo, s3
	s_mov_b32 s3, 0
	s_or_b32 s4, s4, s2
	s_delay_alu instid0(SALU_CYCLE_1) | instskip(NEXT) | instid1(SALU_CYCLE_1)
	s_or_b32 s4, s5, s4
	s_and_saveexec_b32 s5, s4
	s_cbranch_execz .LBB124_6
; %bb.1:
	s_clause 0x1
	s_load_b64 s[4:5], s[0:1], 0x18
	s_load_b64 s[14:15], s[0:1], 0x0
	s_bfe_u32 s6, ttmp6, 0x4000c
	s_and_b32 s7, ttmp6, 15
	s_add_co_i32 s6, s6, 1
	s_getreg_b32 s8, hwreg(HW_REG_IB_STS2, 6, 4)
	s_mul_i32 s6, ttmp9, s6
	v_lshrrev_b32_e32 v1, 6, v0
	s_add_co_i32 s7, s7, s6
	s_cmp_eq_u32 s8, 0
	s_cselect_b32 s6, ttmp9, s7
	s_delay_alu instid0(VALU_DEP_1) | instid1(SALU_CYCLE_1)
	v_lshl_or_b32 v6, s6, 1, v1
	s_wait_kmcnt 0x0
	s_cmp_lg_u64 s[4:5], 0
	s_cbranch_scc0 .LBB124_7
; %bb.2:
	s_load_b32 s3, s[0:1], 0x10
	s_mov_b32 s6, 0
                                        ; implicit-def: $vgpr1
	s_wait_kmcnt 0x0
	v_cmp_gt_i32_e32 vcc_lo, s3, v6
	s_mov_b32 s3, 0
	s_and_saveexec_b32 s7, vcc_lo
	s_delay_alu instid0(SALU_CYCLE_1)
	s_xor_b32 s7, exec_lo, s7
	s_cbranch_execz .LBB124_4
; %bb.3:
	global_load_b32 v1, v6, s[4:5] scale_offset
	s_mov_b32 s3, exec_lo
	s_wait_loadcnt 0x0
	v_subrev_nc_u32_e32 v1, s12, v1
.LBB124_4:
	s_or_b32 exec_lo, exec_lo, s7
	s_delay_alu instid0(SALU_CYCLE_1)
	s_and_b32 vcc_lo, exec_lo, s6
	s_cbranch_vccz .LBB124_8
.LBB124_5:
	v_cmp_gt_i32_e32 vcc_lo, s14, v6
	s_and_not1_b32 s3, s3, exec_lo
	s_and_b32 s4, vcc_lo, exec_lo
	s_delay_alu instid0(SALU_CYCLE_1) | instskip(NEXT) | instid1(SALU_CYCLE_1)
	s_or_b32 s3, s3, s4
	s_and_b32 exec_lo, exec_lo, s3
	s_cbranch_execnz .LBB124_9
.LBB124_6:
	s_sendmsg sendmsg(MSG_DEALLOC_VGPRS)
	s_endpgm
.LBB124_7:
                                        ; implicit-def: $vgpr1
	s_cbranch_execnz .LBB124_5
.LBB124_8:
	s_delay_alu instid0(VALU_DEP_1)
	v_mov_b32_e32 v6, v1
	s_and_b32 exec_lo, exec_lo, s3
	s_cbranch_execz .LBB124_6
.LBB124_9:
	s_load_b256 s[4:11], s[0:1], 0x20
	s_wait_kmcnt 0x0
	s_cmp_eq_u64 s[6:7], 0
	global_load_b32 v24, v6, s[4:5] scale_offset
	s_cselect_b32 vcc_lo, -1, 0
	v_ashrrev_i32_e32 v7, 31, v6
	s_cmp_eq_u32 s15, 1
	s_delay_alu instid0(VALU_DEP_1) | instskip(SKIP_1) | instid1(VALU_DEP_2)
	v_lshlrev_b64_e32 v[8:9], 2, v[6:7]
	v_and_b32_e32 v7, 63, v0
	v_add_nc_u64_e32 v[10:11], s[4:5], v[8:9]
	v_add_nc_u64_e32 v[8:9], s[6:7], v[8:9]
	s_wait_xcnt 0x0
	s_load_b64 s[4:5], s[0:1], 0x40
	s_delay_alu instid0(VALU_DEP_2) | instskip(NEXT) | instid1(VALU_DEP_1)
	v_add_nc_u64_e32 v[10:11], 4, v[10:11]
	v_dual_cndmask_b32 v9, v9, v11 :: v_dual_cndmask_b32 v8, v8, v10
	global_load_b32 v10, v[8:9], off
	s_wait_loadcnt 0x1
	v_subrev_nc_u32_e32 v0, s12, v24
	s_delay_alu instid0(VALU_DEP_1) | instskip(NEXT) | instid1(VALU_DEP_1)
	v_add_nc_u32_e32 v0, v0, v7
	v_ashrrev_i32_e32 v1, 31, v0
	s_wait_xcnt 0x0
	s_delay_alu instid0(VALU_DEP_1) | instskip(NEXT) | instid1(VALU_DEP_1)
	v_lshlrev_b64_e32 v[8:9], 6, v[0:1]
	v_add_nc_u64_e32 v[8:9], s[10:11], v[8:9]
	s_wait_loadcnt 0x0
	v_subrev_nc_u32_e32 v1, s12, v10
	s_delay_alu instid0(VALU_DEP_1)
	v_cmp_lt_i32_e64 s3, v0, v1
	s_cbranch_scc1 .LBB124_21
; %bb.10:
	v_dual_mov_b32 v11, 0 :: v_dual_mov_b32 v10, 0
	v_dual_mov_b32 v13, 0 :: v_dual_mov_b32 v12, 0
	;; [unrolled: 1-line block ×4, first 2 shown]
	s_and_saveexec_b32 s6, s3
	s_cbranch_execz .LBB124_20
; %bb.11:
	v_add_nc_u32_e32 v10, v24, v7
	v_not_b32_e32 v11, v24
	v_mov_b64_e32 v[12:13], 0
	v_mov_b64_e32 v[14:15], 0
	;; [unrolled: 1-line block ×3, first 2 shown]
	v_subrev_nc_u32_e32 v10, s12, v10
	v_mov_b64_e32 v[18:19], v[8:9]
	s_mov_b32 s7, exec_lo
	v_mov_b32_e32 v25, v0
	s_delay_alu instid0(VALU_DEP_3) | instskip(NEXT) | instid1(VALU_DEP_1)
	v_add_max_i32_e64 v10, v10, 64, v1
	v_add3_u32 v10, s12, v10, v11
	s_delay_alu instid0(VALU_DEP_1) | instskip(SKIP_1) | instid1(VALU_DEP_2)
	v_sub_nc_u32_e32 v26, v10, v7
	v_mov_b64_e32 v[10:11], 0
	v_and_b32_e32 v20, 0xc0, v26
	s_delay_alu instid0(VALU_DEP_1)
	v_cmpx_ne_u32_e32 0xc0, v20
	s_cbranch_execz .LBB124_15
; %bb.12:
	v_dual_mov_b32 v21, 0 :: v_dual_lshrrev_b32 v10, 6, v26
	v_mov_b32_e32 v25, v0
	v_mov_b64_e32 v[18:19], v[8:9]
	v_bfrev_b32_e32 v22, 1
	s_delay_alu instid0(VALU_DEP_4) | instskip(SKIP_2) | instid1(VALU_DEP_3)
	v_dual_add_nc_u32 v10, 1, v10 :: v_dual_mov_b32 v14, v21
	v_dual_mov_b32 v16, v21 :: v_dual_mov_b32 v17, v21
	v_dual_mov_b32 v15, v21 :: v_dual_mov_b32 v12, v21
	v_dual_mov_b32 v13, v21 :: v_dual_bitop2_b32 v11, 3, v10 bitop3:0x40
	v_mov_b32_e32 v10, v21
	s_mov_b32 s10, 0
	s_delay_alu instid0(VALU_DEP_2)
	v_dual_sub_nc_u32 v27, 0, v11 :: v_dual_mov_b32 v11, v21
.LBB124_13:                             ; =>This Inner Loop Header: Depth=1
	global_load_b32 v20, v25, s[8:9] scale_offset
	s_clause 0x1
	global_load_b128 v[28:31], v[18:19], off offset:16
	global_load_b128 v[32:35], v[18:19], off
	s_wait_xcnt 0x2
	v_add_nc_u32_e32 v25, 64, v25
	v_add_co_u32 v27, s11, v27, 1
	s_or_b32 s10, s11, s10
	s_wait_loadcnt 0x2
	v_subrev_nc_u32_e32 v20, s12, v20
	s_wait_loadcnt 0x0
	s_delay_alu instid0(VALU_DEP_1) | instskip(NEXT) | instid1(VALU_DEP_1)
	v_dual_mov_b32 v23, v32 :: v_dual_lshlrev_b32 v36, 2, v20
	v_dual_mov_b32 v20, v32 :: v_dual_ashrrev_i32 v37, 31, v36
	s_wait_kmcnt 0x0
	s_delay_alu instid0(VALU_DEP_1)
	v_lshl_add_u64 v[52:53], v[36:37], 3, s[4:5]
	s_clause 0x1
	global_load_b128 v[36:39], v[52:53], off
	global_load_b128 v[40:43], v[52:53], off offset:16
	s_clause 0x1
	global_load_b128 v[44:47], v[18:19], off offset:32
	global_load_b128 v[48:51], v[18:19], off offset:48
	s_wait_xcnt 0x0
	v_add_nc_u64_e32 v[18:19], 0x1000, v[18:19]
	s_wait_loadcnt 0x3
	v_pk_fma_f32 v[10:11], v[36:37], v[20:21], v[10:11] op_sel_hi:[0,1,1]
	v_dual_mov_b32 v20, v33 :: v_dual_mov_b32 v32, v39
	s_wait_loadcnt 0x2
	v_mov_b32_e32 v52, v43
	s_delay_alu instid0(VALU_DEP_3) | instskip(SKIP_1) | instid1(VALU_DEP_2)
	v_pk_fma_f32 v[10:11], v[36:37], v[22:23], v[10:11] op_sel:[1,0,0]
	v_mov_b32_e32 v23, v33
	v_pk_fma_f32 v[10:11], v[38:39], v[20:21], v[10:11] op_sel_hi:[0,1,1]
	v_mov_b32_e32 v20, v34
	s_delay_alu instid0(VALU_DEP_2) | instskip(SKIP_1) | instid1(VALU_DEP_2)
	v_pk_fma_f32 v[10:11], v[32:33], v[22:23], v[10:11] op_sel_hi:[0,1,1]
	v_mov_b32_e32 v23, v34
	v_pk_fma_f32 v[10:11], v[40:41], v[20:21], v[10:11] op_sel_hi:[0,1,1]
	v_mov_b32_e32 v20, v35
	s_delay_alu instid0(VALU_DEP_2) | instskip(SKIP_1) | instid1(VALU_DEP_2)
	v_pk_fma_f32 v[10:11], v[40:41], v[22:23], v[10:11] op_sel:[1,0,0]
	v_mov_b32_e32 v23, v35
	v_pk_fma_f32 v[10:11], v[42:43], v[20:21], v[10:11] op_sel_hi:[0,1,1]
	v_mov_b32_e32 v20, v28
	s_delay_alu instid0(VALU_DEP_2) | instskip(SKIP_1) | instid1(VALU_DEP_3)
	v_pk_fma_f32 v[10:11], v[52:53], v[22:23], v[10:11] op_sel_hi:[0,1,1]
	v_mov_b32_e32 v23, v28
	v_pk_fma_f32 v[12:13], v[36:37], v[20:21], v[12:13] op_sel_hi:[0,1,1]
	v_mov_b32_e32 v20, v29
	s_delay_alu instid0(VALU_DEP_2) | instskip(SKIP_1) | instid1(VALU_DEP_2)
	v_pk_fma_f32 v[12:13], v[36:37], v[22:23], v[12:13] op_sel:[1,0,0]
	v_mov_b32_e32 v23, v29
	v_pk_fma_f32 v[12:13], v[38:39], v[20:21], v[12:13] op_sel_hi:[0,1,1]
	v_mov_b32_e32 v20, v30
	s_delay_alu instid0(VALU_DEP_2) | instskip(SKIP_1) | instid1(VALU_DEP_2)
	v_pk_fma_f32 v[12:13], v[32:33], v[22:23], v[12:13] op_sel_hi:[0,1,1]
	v_mov_b32_e32 v23, v30
	v_pk_fma_f32 v[12:13], v[40:41], v[20:21], v[12:13] op_sel_hi:[0,1,1]
	v_mov_b32_e32 v20, v31
	s_delay_alu instid0(VALU_DEP_2) | instskip(SKIP_1) | instid1(VALU_DEP_2)
	v_pk_fma_f32 v[12:13], v[40:41], v[22:23], v[12:13] op_sel:[1,0,0]
	v_mov_b32_e32 v23, v31
	v_pk_fma_f32 v[12:13], v[42:43], v[20:21], v[12:13] op_sel_hi:[0,1,1]
	s_wait_loadcnt 0x1
	v_mov_b32_e32 v20, v44
	s_delay_alu instid0(VALU_DEP_2) | instskip(SKIP_1) | instid1(VALU_DEP_3)
	v_pk_fma_f32 v[12:13], v[52:53], v[22:23], v[12:13] op_sel_hi:[0,1,1]
	v_mov_b32_e32 v23, v44
	v_pk_fma_f32 v[14:15], v[36:37], v[20:21], v[14:15] op_sel_hi:[0,1,1]
	v_mov_b32_e32 v20, v45
	s_delay_alu instid0(VALU_DEP_2) | instskip(SKIP_1) | instid1(VALU_DEP_2)
	v_pk_fma_f32 v[14:15], v[36:37], v[22:23], v[14:15] op_sel:[1,0,0]
	v_mov_b32_e32 v23, v45
	v_pk_fma_f32 v[14:15], v[38:39], v[20:21], v[14:15] op_sel_hi:[0,1,1]
	v_mov_b32_e32 v20, v46
	s_delay_alu instid0(VALU_DEP_2) | instskip(SKIP_1) | instid1(VALU_DEP_2)
	v_pk_fma_f32 v[14:15], v[32:33], v[22:23], v[14:15] op_sel_hi:[0,1,1]
	v_mov_b32_e32 v23, v46
	v_pk_fma_f32 v[14:15], v[40:41], v[20:21], v[14:15] op_sel_hi:[0,1,1]
	v_mov_b32_e32 v20, v47
	s_delay_alu instid0(VALU_DEP_2) | instskip(SKIP_1) | instid1(VALU_DEP_2)
	v_pk_fma_f32 v[14:15], v[40:41], v[22:23], v[14:15] op_sel:[1,0,0]
	v_mov_b32_e32 v23, v47
	v_pk_fma_f32 v[14:15], v[42:43], v[20:21], v[14:15] op_sel_hi:[0,1,1]
	s_wait_loadcnt 0x0
	v_mov_b32_e32 v20, v48
	s_delay_alu instid0(VALU_DEP_2) | instskip(SKIP_1) | instid1(VALU_DEP_3)
	v_pk_fma_f32 v[14:15], v[52:53], v[22:23], v[14:15] op_sel_hi:[0,1,1]
	v_mov_b32_e32 v23, v48
	v_pk_fma_f32 v[16:17], v[36:37], v[20:21], v[16:17] op_sel_hi:[0,1,1]
	v_mov_b32_e32 v20, v49
	s_delay_alu instid0(VALU_DEP_2) | instskip(SKIP_1) | instid1(VALU_DEP_2)
	v_pk_fma_f32 v[16:17], v[36:37], v[22:23], v[16:17] op_sel:[1,0,0]
	v_mov_b32_e32 v23, v49
	v_pk_fma_f32 v[16:17], v[38:39], v[20:21], v[16:17] op_sel_hi:[0,1,1]
	v_mov_b32_e32 v20, v50
	s_delay_alu instid0(VALU_DEP_2) | instskip(SKIP_1) | instid1(VALU_DEP_2)
	v_pk_fma_f32 v[16:17], v[32:33], v[22:23], v[16:17] op_sel_hi:[0,1,1]
	v_mov_b32_e32 v23, v50
	v_pk_fma_f32 v[16:17], v[40:41], v[20:21], v[16:17] op_sel_hi:[0,1,1]
	v_mov_b32_e32 v20, v51
	s_delay_alu instid0(VALU_DEP_2) | instskip(SKIP_1) | instid1(VALU_DEP_2)
	v_pk_fma_f32 v[16:17], v[40:41], v[22:23], v[16:17] op_sel:[1,0,0]
	v_mov_b32_e32 v23, v51
	v_pk_fma_f32 v[16:17], v[42:43], v[20:21], v[16:17] op_sel_hi:[0,1,1]
	s_delay_alu instid0(VALU_DEP_1)
	v_pk_fma_f32 v[16:17], v[52:53], v[22:23], v[16:17] op_sel_hi:[0,1,1]
	s_and_not1_b32 exec_lo, exec_lo, s10
	s_cbranch_execnz .LBB124_13
; %bb.14:
	s_or_b32 exec_lo, exec_lo, s10
.LBB124_15:
	s_delay_alu instid0(SALU_CYCLE_1) | instskip(NEXT) | instid1(SALU_CYCLE_1)
	s_or_b32 exec_lo, exec_lo, s7
	s_mov_b32 s7, exec_lo
	v_cmpx_lt_u32_e32 0xbf, v26
	s_cbranch_execz .LBB124_19
; %bb.16:
	v_mov_b32_e32 v21, 0
	v_bfrev_b32_e32 v22, 1
	s_mov_b32 s10, 0
.LBB124_17:                             ; =>This Inner Loop Header: Depth=1
	global_load_b32 v20, v25, s[8:9] scale_offset
	s_clause 0x6
	global_load_b128 v[26:29], v[18:19], off
	global_load_b128 v[30:33], v[18:19], off offset:16
	global_load_b128 v[34:37], v[18:19], off offset:48
	;; [unrolled: 1-line block ×6, first 2 shown]
	s_clause 0x2
	global_load_b32 v65, v25, s[8:9] offset:256 scale_offset
	global_load_b32 v72, v25, s[8:9] offset:512 scale_offset
	;; [unrolled: 1-line block ×3, first 2 shown]
	s_wait_xcnt 0x0
	v_add_nc_u32_e32 v25, 0x100, v25
	s_delay_alu instid0(VALU_DEP_1)
	v_cmp_ge_i32_e32 vcc_lo, v25, v1
	s_or_b32 s10, vcc_lo, s10
	s_wait_loadcnt 0xa
	v_subrev_nc_u32_e32 v54, s12, v20
	s_wait_loadcnt 0x9
	v_dual_mov_b32 v20, v26 :: v_dual_mov_b32 v23, v26
	s_delay_alu instid0(VALU_DEP_2) | instskip(NEXT) | instid1(VALU_DEP_1)
	v_lshlrev_b32_e32 v54, 2, v54
	v_ashrrev_i32_e32 v55, 31, v54
	s_wait_kmcnt 0x0
	s_delay_alu instid0(VALU_DEP_1)
	v_lshl_add_u64 v[62:63], v[54:55], 3, s[4:5]
	s_clause 0x1
	global_load_b128 v[54:57], v[62:63], off
	global_load_b128 v[58:61], v[62:63], off offset:16
	s_wait_loadcnt 0x1
	v_pk_fma_f32 v[10:11], v[54:55], v[20:21], v[10:11] op_sel_hi:[0,1,1]
	s_wait_xcnt 0x0
	v_dual_mov_b32 v20, v27 :: v_dual_mov_b32 v62, v57
	s_wait_loadcnt 0x0
	v_mov_b32_e32 v64, v61
	v_pk_fma_f32 v[10:11], v[54:55], v[22:23], v[10:11] op_sel:[1,0,0]
	v_mov_b32_e32 v23, v27
	s_delay_alu instid0(VALU_DEP_2) | instskip(SKIP_1) | instid1(VALU_DEP_2)
	v_pk_fma_f32 v[10:11], v[56:57], v[20:21], v[10:11] op_sel_hi:[0,1,1]
	v_mov_b32_e32 v20, v28
	v_pk_fma_f32 v[10:11], v[62:63], v[22:23], v[10:11] op_sel_hi:[0,1,1]
	v_mov_b32_e32 v23, v28
	s_delay_alu instid0(VALU_DEP_2) | instskip(SKIP_1) | instid1(VALU_DEP_2)
	v_pk_fma_f32 v[10:11], v[58:59], v[20:21], v[10:11] op_sel_hi:[0,1,1]
	v_mov_b32_e32 v20, v29
	v_pk_fma_f32 v[10:11], v[58:59], v[22:23], v[10:11] op_sel:[1,0,0]
	v_mov_b32_e32 v23, v29
	global_load_b128 v[26:29], v[18:19], off offset:4096
	v_pk_fma_f32 v[10:11], v[60:61], v[20:21], v[10:11] op_sel_hi:[0,1,1]
	v_mov_b32_e32 v20, v30
	s_delay_alu instid0(VALU_DEP_2) | instskip(SKIP_1) | instid1(VALU_DEP_3)
	v_pk_fma_f32 v[66:67], v[64:65], v[22:23], v[10:11] op_sel_hi:[0,1,1]
	v_mov_b32_e32 v23, v30
	v_pk_fma_f32 v[10:11], v[54:55], v[20:21], v[12:13] op_sel_hi:[0,1,1]
	v_mov_b32_e32 v20, v31
	s_delay_alu instid0(VALU_DEP_2) | instskip(SKIP_1) | instid1(VALU_DEP_2)
	v_pk_fma_f32 v[10:11], v[54:55], v[22:23], v[10:11] op_sel:[1,0,0]
	v_mov_b32_e32 v23, v31
	v_pk_fma_f32 v[10:11], v[56:57], v[20:21], v[10:11] op_sel_hi:[0,1,1]
	v_mov_b32_e32 v20, v32
	s_delay_alu instid0(VALU_DEP_2) | instskip(SKIP_1) | instid1(VALU_DEP_2)
	v_pk_fma_f32 v[10:11], v[62:63], v[22:23], v[10:11] op_sel_hi:[0,1,1]
	v_mov_b32_e32 v23, v32
	v_pk_fma_f32 v[10:11], v[58:59], v[20:21], v[10:11] op_sel_hi:[0,1,1]
	v_mov_b32_e32 v20, v33
	s_delay_alu instid0(VALU_DEP_2) | instskip(SKIP_4) | instid1(VALU_DEP_2)
	v_pk_fma_f32 v[30:31], v[58:59], v[22:23], v[10:11] op_sel:[1,0,0]
	v_mov_b32_e32 v23, v33
	global_load_b128 v[10:13], v[18:19], off offset:8208
	v_pk_fma_f32 v[30:31], v[60:61], v[20:21], v[30:31] op_sel_hi:[0,1,1]
	v_mov_b32_e32 v20, v38
	v_pk_fma_f32 v[68:69], v[64:65], v[22:23], v[30:31] op_sel_hi:[0,1,1]
	v_mov_b32_e32 v23, v38
	s_delay_alu instid0(VALU_DEP_3) | instskip(SKIP_4) | instid1(VALU_DEP_2)
	v_pk_fma_f32 v[14:15], v[54:55], v[20:21], v[14:15] op_sel_hi:[0,1,1]
	v_mov_b32_e32 v20, v39
	global_load_b128 v[30:33], v[18:19], off offset:8192
	v_pk_fma_f32 v[14:15], v[54:55], v[22:23], v[14:15] op_sel:[1,0,0]
	v_mov_b32_e32 v23, v39
	v_pk_fma_f32 v[14:15], v[56:57], v[20:21], v[14:15] op_sel_hi:[0,1,1]
	v_mov_b32_e32 v20, v40
	s_delay_alu instid0(VALU_DEP_2) | instskip(SKIP_2) | instid1(VALU_DEP_3)
	v_pk_fma_f32 v[14:15], v[62:63], v[22:23], v[14:15] op_sel_hi:[0,1,1]
	v_mov_b32_e32 v23, v40
	v_subrev_nc_u32_e32 v40, s12, v72
	v_pk_fma_f32 v[14:15], v[58:59], v[20:21], v[14:15] op_sel_hi:[0,1,1]
	v_mov_b32_e32 v20, v41
	s_delay_alu instid0(VALU_DEP_2) | instskip(SKIP_1) | instid1(VALU_DEP_2)
	v_pk_fma_f32 v[14:15], v[58:59], v[22:23], v[14:15] op_sel:[1,0,0]
	v_mov_b32_e32 v23, v41
	v_pk_fma_f32 v[14:15], v[60:61], v[20:21], v[14:15] op_sel_hi:[0,1,1]
	v_mov_b32_e32 v20, v34
	s_delay_alu instid0(VALU_DEP_2) | instskip(SKIP_1) | instid1(VALU_DEP_3)
	v_pk_fma_f32 v[70:71], v[64:65], v[22:23], v[14:15] op_sel_hi:[0,1,1]
	v_mov_b32_e32 v23, v34
	v_pk_fma_f32 v[14:15], v[54:55], v[20:21], v[16:17] op_sel_hi:[0,1,1]
	v_mov_b32_e32 v20, v35
	s_delay_alu instid0(VALU_DEP_2) | instskip(SKIP_1) | instid1(VALU_DEP_2)
	v_pk_fma_f32 v[14:15], v[54:55], v[22:23], v[14:15] op_sel:[1,0,0]
	v_mov_b32_e32 v23, v35
	v_pk_fma_f32 v[38:39], v[56:57], v[20:21], v[14:15] op_sel_hi:[0,1,1]
	v_subrev_nc_u32_e32 v20, s12, v65
	global_load_b128 v[14:17], v[18:19], off offset:8224
	v_pk_fma_f32 v[38:39], v[62:63], v[22:23], v[38:39] op_sel_hi:[0,1,1]
	v_dual_lshlrev_b32 v34, 2, v20 :: v_dual_mov_b32 v20, v36
	v_dual_mov_b32 v23, v36 :: v_dual_lshlrev_b32 v40, 2, v40
	s_delay_alu instid0(VALU_DEP_1) | instskip(NEXT) | instid1(VALU_DEP_1)
	v_dual_ashrrev_i32 v35, 31, v34 :: v_dual_ashrrev_i32 v41, 31, v40
	v_lshl_add_u64 v[54:55], v[34:35], 3, s[4:5]
	s_delay_alu instid0(VALU_DEP_4) | instskip(SKIP_1) | instid1(VALU_DEP_4)
	v_pk_fma_f32 v[34:35], v[58:59], v[20:21], v[38:39] op_sel_hi:[0,1,1]
	v_mov_b32_e32 v20, v37
	v_lshl_add_u64 v[56:57], v[40:41], 3, s[4:5]
	s_delay_alu instid0(VALU_DEP_3)
	v_pk_fma_f32 v[38:39], v[58:59], v[22:23], v[34:35] op_sel:[1,0,0]
	v_mov_b32_e32 v23, v37
	global_load_b128 v[34:37], v[54:55], off
	v_pk_fma_f32 v[58:59], v[60:61], v[20:21], v[38:39] op_sel_hi:[0,1,1]
	global_load_b128 v[38:41], v[54:55], off offset:16
	v_pk_fma_f32 v[58:59], v[64:65], v[22:23], v[58:59] op_sel_hi:[0,1,1]
	s_wait_loadcnt 0x5
	v_dual_mov_b32 v20, v26 :: v_dual_mov_b32 v23, v26
	s_wait_loadcnt 0x1
	s_wait_xcnt 0x0
	v_mov_b32_e32 v54, v37
	s_delay_alu instid0(VALU_DEP_2) | instskip(SKIP_2) | instid1(VALU_DEP_2)
	v_pk_fma_f32 v[60:61], v[34:35], v[20:21], v[66:67] op_sel_hi:[0,1,1]
	s_wait_loadcnt 0x0
	v_dual_mov_b32 v20, v27 :: v_dual_mov_b32 v62, v41
	v_pk_fma_f32 v[60:61], v[34:35], v[22:23], v[60:61] op_sel:[1,0,0]
	v_mov_b32_e32 v23, v27
	s_delay_alu instid0(VALU_DEP_2) | instskip(SKIP_1) | instid1(VALU_DEP_2)
	v_pk_fma_f32 v[26:27], v[36:37], v[20:21], v[60:61] op_sel_hi:[0,1,1]
	v_mov_b32_e32 v20, v28
	v_pk_fma_f32 v[26:27], v[54:55], v[22:23], v[26:27] op_sel_hi:[0,1,1]
	v_mov_b32_e32 v23, v28
	s_delay_alu instid0(VALU_DEP_2) | instskip(SKIP_1) | instid1(VALU_DEP_2)
	v_pk_fma_f32 v[26:27], v[38:39], v[20:21], v[26:27] op_sel_hi:[0,1,1]
	v_mov_b32_e32 v20, v29
	v_pk_fma_f32 v[60:61], v[38:39], v[22:23], v[26:27] op_sel:[1,0,0]
	v_mov_b32_e32 v23, v29
	global_load_b128 v[26:29], v[56:57], off
	v_pk_fma_f32 v[60:61], v[40:41], v[20:21], v[60:61] op_sel_hi:[0,1,1]
	v_mov_b32_e32 v20, v50
	s_delay_alu instid0(VALU_DEP_2) | instskip(SKIP_1) | instid1(VALU_DEP_3)
	v_pk_fma_f32 v[60:61], v[62:63], v[22:23], v[60:61] op_sel_hi:[0,1,1]
	v_mov_b32_e32 v23, v50
	v_pk_fma_f32 v[64:65], v[34:35], v[20:21], v[68:69] op_sel_hi:[0,1,1]
	v_mov_b32_e32 v20, v51
	s_delay_alu instid0(VALU_DEP_2) | instskip(SKIP_1) | instid1(VALU_DEP_2)
	v_pk_fma_f32 v[64:65], v[34:35], v[22:23], v[64:65] op_sel:[1,0,0]
	v_mov_b32_e32 v23, v51
	v_pk_fma_f32 v[50:51], v[36:37], v[20:21], v[64:65] op_sel_hi:[0,1,1]
	v_mov_b32_e32 v20, v52
	s_delay_alu instid0(VALU_DEP_2) | instskip(SKIP_1) | instid1(VALU_DEP_2)
	v_pk_fma_f32 v[50:51], v[54:55], v[22:23], v[50:51] op_sel_hi:[0,1,1]
	v_mov_b32_e32 v23, v52
	v_pk_fma_f32 v[50:51], v[38:39], v[20:21], v[50:51] op_sel_hi:[0,1,1]
	v_mov_b32_e32 v20, v53
	s_delay_alu instid0(VALU_DEP_2)
	v_pk_fma_f32 v[64:65], v[38:39], v[22:23], v[50:51] op_sel:[1,0,0]
	v_mov_b32_e32 v23, v53
	global_load_b128 v[50:53], v[56:57], off offset:16
	s_wait_xcnt 0x0
	v_pk_fma_f32 v[56:57], v[40:41], v[20:21], v[64:65] op_sel_hi:[0,1,1]
	v_mov_b32_e32 v20, v46
	s_delay_alu instid0(VALU_DEP_2) | instskip(SKIP_1) | instid1(VALU_DEP_3)
	v_pk_fma_f32 v[64:65], v[62:63], v[22:23], v[56:57] op_sel_hi:[0,1,1]
	v_mov_b32_e32 v23, v46
	v_pk_fma_f32 v[56:57], v[34:35], v[20:21], v[70:71] op_sel_hi:[0,1,1]
	v_mov_b32_e32 v20, v47
	s_delay_alu instid0(VALU_DEP_2) | instskip(SKIP_1) | instid1(VALU_DEP_2)
	v_pk_fma_f32 v[56:57], v[34:35], v[22:23], v[56:57] op_sel:[1,0,0]
	v_mov_b32_e32 v23, v47
	v_pk_fma_f32 v[46:47], v[36:37], v[20:21], v[56:57] op_sel_hi:[0,1,1]
	v_mov_b32_e32 v20, v48
	s_delay_alu instid0(VALU_DEP_2) | instskip(SKIP_1) | instid1(VALU_DEP_2)
	v_pk_fma_f32 v[46:47], v[54:55], v[22:23], v[46:47] op_sel_hi:[0,1,1]
	v_mov_b32_e32 v23, v48
	v_pk_fma_f32 v[46:47], v[38:39], v[20:21], v[46:47] op_sel_hi:[0,1,1]
	v_mov_b32_e32 v20, v49
	s_delay_alu instid0(VALU_DEP_2) | instskip(SKIP_4) | instid1(VALU_DEP_2)
	v_pk_fma_f32 v[56:57], v[38:39], v[22:23], v[46:47] op_sel:[1,0,0]
	v_mov_b32_e32 v23, v49
	global_load_b128 v[46:49], v[18:19], off offset:8240
	v_pk_fma_f32 v[56:57], v[40:41], v[20:21], v[56:57] op_sel_hi:[0,1,1]
	v_mov_b32_e32 v20, v42
	v_pk_fma_f32 v[66:67], v[62:63], v[22:23], v[56:57] op_sel_hi:[0,1,1]
	v_mov_b32_e32 v23, v42
	s_delay_alu instid0(VALU_DEP_3) | instskip(SKIP_1) | instid1(VALU_DEP_2)
	v_pk_fma_f32 v[56:57], v[34:35], v[20:21], v[58:59] op_sel_hi:[0,1,1]
	v_mov_b32_e32 v20, v43
	v_pk_fma_f32 v[34:35], v[34:35], v[22:23], v[56:57] op_sel:[1,0,0]
	v_mov_b32_e32 v23, v43
	s_delay_alu instid0(VALU_DEP_2) | instskip(SKIP_4) | instid1(VALU_DEP_1)
	v_pk_fma_f32 v[56:57], v[36:37], v[20:21], v[34:35] op_sel_hi:[0,1,1]
	v_subrev_nc_u32_e32 v20, s12, v73
	global_load_b128 v[34:37], v[18:19], off offset:12288
	v_pk_fma_f32 v[42:43], v[54:55], v[22:23], v[56:57] op_sel_hi:[0,1,1]
	v_dual_lshlrev_b32 v58, 2, v20 :: v_dual_mov_b32 v20, v44
	v_dual_mov_b32 v23, v44 :: v_dual_ashrrev_i32 v59, 31, v58
	s_delay_alu instid0(VALU_DEP_2) | instskip(SKIP_1) | instid1(VALU_DEP_3)
	v_pk_fma_f32 v[42:43], v[38:39], v[20:21], v[42:43] op_sel_hi:[0,1,1]
	v_mov_b32_e32 v20, v45
	v_lshl_add_u64 v[58:59], v[58:59], 3, s[4:5]
	s_delay_alu instid0(VALU_DEP_3)
	v_pk_fma_f32 v[38:39], v[38:39], v[22:23], v[42:43] op_sel:[1,0,0]
	v_mov_b32_e32 v23, v45
	s_clause 0x1
	global_load_b128 v[54:57], v[58:59], off
	global_load_b128 v[42:45], v[58:59], off offset:16
	s_wait_xcnt 0x0
	v_pk_fma_f32 v[58:59], v[40:41], v[20:21], v[38:39] op_sel_hi:[0,1,1]
	global_load_b128 v[38:41], v[18:19], off offset:12304
	v_mov_b32_e32 v20, v30
	v_pk_fma_f32 v[62:63], v[62:63], v[22:23], v[58:59] op_sel_hi:[0,1,1]
	s_wait_loadcnt 0x6
	v_dual_mov_b32 v23, v30 :: v_dual_mov_b32 v68, v29
	s_delay_alu instid0(VALU_DEP_3) | instskip(SKIP_1) | instid1(VALU_DEP_2)
	v_pk_fma_f32 v[58:59], v[26:27], v[20:21], v[60:61] op_sel_hi:[0,1,1]
	v_mov_b32_e32 v20, v31
	v_pk_fma_f32 v[58:59], v[26:27], v[22:23], v[58:59] op_sel:[1,0,0]
	v_mov_b32_e32 v23, v31
	s_delay_alu instid0(VALU_DEP_2) | instskip(SKIP_1) | instid1(VALU_DEP_2)
	v_pk_fma_f32 v[30:31], v[28:29], v[20:21], v[58:59] op_sel_hi:[0,1,1]
	v_mov_b32_e32 v20, v32
	v_pk_fma_f32 v[30:31], v[68:69], v[22:23], v[30:31] op_sel_hi:[0,1,1]
	v_mov_b32_e32 v23, v32
	s_wait_loadcnt 0x5
	s_delay_alu instid0(VALU_DEP_2) | instskip(SKIP_1) | instid1(VALU_DEP_2)
	v_pk_fma_f32 v[30:31], v[50:51], v[20:21], v[30:31] op_sel_hi:[0,1,1]
	v_dual_mov_b32 v20, v33 :: v_dual_mov_b32 v70, v53
	v_pk_fma_f32 v[58:59], v[50:51], v[22:23], v[30:31] op_sel:[1,0,0]
	v_mov_b32_e32 v23, v33
	global_load_b128 v[30:33], v[18:19], off offset:12320
	v_pk_fma_f32 v[58:59], v[52:53], v[20:21], v[58:59] op_sel_hi:[0,1,1]
	v_mov_b32_e32 v20, v10
	s_delay_alu instid0(VALU_DEP_2) | instskip(SKIP_1) | instid1(VALU_DEP_3)
	v_pk_fma_f32 v[72:73], v[70:71], v[22:23], v[58:59] op_sel_hi:[0,1,1]
	v_mov_b32_e32 v23, v10
	v_pk_fma_f32 v[58:59], v[26:27], v[20:21], v[64:65] op_sel_hi:[0,1,1]
	v_mov_b32_e32 v20, v11
	s_delay_alu instid0(VALU_DEP_2) | instskip(SKIP_1) | instid1(VALU_DEP_2)
	v_pk_fma_f32 v[58:59], v[26:27], v[22:23], v[58:59] op_sel:[1,0,0]
	v_mov_b32_e32 v23, v11
	v_pk_fma_f32 v[10:11], v[28:29], v[20:21], v[58:59] op_sel_hi:[0,1,1]
	global_load_b128 v[58:61], v[18:19], off offset:12336
	v_mov_b32_e32 v20, v12
	s_wait_xcnt 0x0
	v_add_nc_u64_e32 v[18:19], 0x4000, v[18:19]
	v_pk_fma_f32 v[10:11], v[68:69], v[22:23], v[10:11] op_sel_hi:[0,1,1]
	v_mov_b32_e32 v23, v12
	s_delay_alu instid0(VALU_DEP_2) | instskip(SKIP_1) | instid1(VALU_DEP_2)
	v_pk_fma_f32 v[10:11], v[50:51], v[20:21], v[10:11] op_sel_hi:[0,1,1]
	v_mov_b32_e32 v20, v13
	v_pk_fma_f32 v[10:11], v[50:51], v[22:23], v[10:11] op_sel:[1,0,0]
	v_mov_b32_e32 v23, v13
	s_delay_alu instid0(VALU_DEP_2) | instskip(SKIP_1) | instid1(VALU_DEP_2)
	v_pk_fma_f32 v[10:11], v[52:53], v[20:21], v[10:11] op_sel_hi:[0,1,1]
	v_mov_b32_e32 v20, v14
	v_pk_fma_f32 v[12:13], v[70:71], v[22:23], v[10:11] op_sel_hi:[0,1,1]
	v_mov_b32_e32 v23, v14
	s_delay_alu instid0(VALU_DEP_3) | instskip(SKIP_1) | instid1(VALU_DEP_2)
	v_pk_fma_f32 v[10:11], v[26:27], v[20:21], v[66:67] op_sel_hi:[0,1,1]
	v_mov_b32_e32 v20, v15
	v_pk_fma_f32 v[10:11], v[26:27], v[22:23], v[10:11] op_sel:[1,0,0]
	v_mov_b32_e32 v23, v15
	s_delay_alu instid0(VALU_DEP_2) | instskip(SKIP_1) | instid1(VALU_DEP_2)
	v_pk_fma_f32 v[10:11], v[28:29], v[20:21], v[10:11] op_sel_hi:[0,1,1]
	v_mov_b32_e32 v20, v16
	v_pk_fma_f32 v[10:11], v[68:69], v[22:23], v[10:11] op_sel_hi:[0,1,1]
	v_mov_b32_e32 v23, v16
	s_delay_alu instid0(VALU_DEP_2)
	v_pk_fma_f32 v[10:11], v[50:51], v[20:21], v[10:11] op_sel_hi:[0,1,1]
	s_wait_loadcnt 0x4
	v_dual_mov_b32 v20, v17 :: v_dual_mov_b32 v16, v57
	s_wait_loadcnt 0x3
	v_mov_b32_e32 v64, v45
	v_pk_fma_f32 v[10:11], v[50:51], v[22:23], v[10:11] op_sel:[1,0,0]
	v_mov_b32_e32 v23, v17
	s_delay_alu instid0(VALU_DEP_2) | instskip(SKIP_1) | instid1(VALU_DEP_2)
	v_pk_fma_f32 v[10:11], v[52:53], v[20:21], v[10:11] op_sel_hi:[0,1,1]
	v_mov_b32_e32 v20, v46
	v_pk_fma_f32 v[14:15], v[70:71], v[22:23], v[10:11] op_sel_hi:[0,1,1]
	v_mov_b32_e32 v23, v46
	s_delay_alu instid0(VALU_DEP_3) | instskip(SKIP_1) | instid1(VALU_DEP_2)
	v_pk_fma_f32 v[10:11], v[26:27], v[20:21], v[62:63] op_sel_hi:[0,1,1]
	v_mov_b32_e32 v20, v47
	v_pk_fma_f32 v[10:11], v[26:27], v[22:23], v[10:11] op_sel:[1,0,0]
	v_mov_b32_e32 v23, v47
	s_delay_alu instid0(VALU_DEP_2) | instskip(SKIP_1) | instid1(VALU_DEP_2)
	v_pk_fma_f32 v[10:11], v[28:29], v[20:21], v[10:11] op_sel_hi:[0,1,1]
	v_mov_b32_e32 v20, v48
	v_pk_fma_f32 v[10:11], v[68:69], v[22:23], v[10:11] op_sel_hi:[0,1,1]
	v_mov_b32_e32 v23, v48
	s_delay_alu instid0(VALU_DEP_2) | instskip(SKIP_1) | instid1(VALU_DEP_2)
	v_pk_fma_f32 v[10:11], v[50:51], v[20:21], v[10:11] op_sel_hi:[0,1,1]
	v_mov_b32_e32 v20, v49
	v_pk_fma_f32 v[10:11], v[50:51], v[22:23], v[10:11] op_sel:[1,0,0]
	v_mov_b32_e32 v23, v49
	s_delay_alu instid0(VALU_DEP_2) | instskip(SKIP_1) | instid1(VALU_DEP_2)
	v_pk_fma_f32 v[10:11], v[52:53], v[20:21], v[10:11] op_sel_hi:[0,1,1]
	v_mov_b32_e32 v20, v34
	v_pk_fma_f32 v[26:27], v[70:71], v[22:23], v[10:11] op_sel_hi:[0,1,1]
	v_mov_b32_e32 v23, v34
	s_delay_alu instid0(VALU_DEP_3) | instskip(SKIP_1) | instid1(VALU_DEP_2)
	v_pk_fma_f32 v[10:11], v[54:55], v[20:21], v[72:73] op_sel_hi:[0,1,1]
	v_mov_b32_e32 v20, v35
	v_pk_fma_f32 v[10:11], v[54:55], v[22:23], v[10:11] op_sel:[1,0,0]
	v_mov_b32_e32 v23, v35
	s_delay_alu instid0(VALU_DEP_2) | instskip(SKIP_1) | instid1(VALU_DEP_2)
	v_pk_fma_f32 v[10:11], v[56:57], v[20:21], v[10:11] op_sel_hi:[0,1,1]
	v_mov_b32_e32 v20, v36
	v_pk_fma_f32 v[10:11], v[16:17], v[22:23], v[10:11] op_sel_hi:[0,1,1]
	v_mov_b32_e32 v23, v36
	s_delay_alu instid0(VALU_DEP_2) | instskip(SKIP_1) | instid1(VALU_DEP_2)
	v_pk_fma_f32 v[10:11], v[42:43], v[20:21], v[10:11] op_sel_hi:[0,1,1]
	v_mov_b32_e32 v20, v37
	v_pk_fma_f32 v[10:11], v[42:43], v[22:23], v[10:11] op_sel:[1,0,0]
	v_mov_b32_e32 v23, v37
	s_delay_alu instid0(VALU_DEP_2) | instskip(SKIP_2) | instid1(VALU_DEP_2)
	v_pk_fma_f32 v[10:11], v[44:45], v[20:21], v[10:11] op_sel_hi:[0,1,1]
	s_wait_loadcnt 0x2
	v_mov_b32_e32 v20, v38
	v_pk_fma_f32 v[10:11], v[64:65], v[22:23], v[10:11] op_sel_hi:[0,1,1]
	v_mov_b32_e32 v23, v38
	s_delay_alu instid0(VALU_DEP_3) | instskip(SKIP_1) | instid1(VALU_DEP_2)
	v_pk_fma_f32 v[12:13], v[54:55], v[20:21], v[12:13] op_sel_hi:[0,1,1]
	v_mov_b32_e32 v20, v39
	v_pk_fma_f32 v[12:13], v[54:55], v[22:23], v[12:13] op_sel:[1,0,0]
	v_mov_b32_e32 v23, v39
	s_delay_alu instid0(VALU_DEP_2) | instskip(SKIP_1) | instid1(VALU_DEP_2)
	v_pk_fma_f32 v[12:13], v[56:57], v[20:21], v[12:13] op_sel_hi:[0,1,1]
	v_mov_b32_e32 v20, v40
	v_pk_fma_f32 v[12:13], v[16:17], v[22:23], v[12:13] op_sel_hi:[0,1,1]
	v_mov_b32_e32 v23, v40
	s_delay_alu instid0(VALU_DEP_2) | instskip(SKIP_1) | instid1(VALU_DEP_2)
	v_pk_fma_f32 v[12:13], v[42:43], v[20:21], v[12:13] op_sel_hi:[0,1,1]
	v_mov_b32_e32 v20, v41
	v_pk_fma_f32 v[12:13], v[42:43], v[22:23], v[12:13] op_sel:[1,0,0]
	v_mov_b32_e32 v23, v41
	s_delay_alu instid0(VALU_DEP_2) | instskip(NEXT) | instid1(VALU_DEP_1)
	v_pk_fma_f32 v[12:13], v[44:45], v[20:21], v[12:13] op_sel_hi:[0,1,1]
	v_pk_fma_f32 v[12:13], v[64:65], v[22:23], v[12:13] op_sel_hi:[0,1,1]
	s_wait_loadcnt 0x1
	v_dual_mov_b32 v20, v30 :: v_dual_mov_b32 v23, v30
	s_delay_alu instid0(VALU_DEP_1) | instskip(SKIP_1) | instid1(VALU_DEP_2)
	v_pk_fma_f32 v[14:15], v[54:55], v[20:21], v[14:15] op_sel_hi:[0,1,1]
	v_mov_b32_e32 v20, v31
	v_pk_fma_f32 v[14:15], v[54:55], v[22:23], v[14:15] op_sel:[1,0,0]
	v_mov_b32_e32 v23, v31
	s_delay_alu instid0(VALU_DEP_2) | instskip(SKIP_1) | instid1(VALU_DEP_2)
	v_pk_fma_f32 v[14:15], v[56:57], v[20:21], v[14:15] op_sel_hi:[0,1,1]
	v_mov_b32_e32 v20, v32
	v_pk_fma_f32 v[14:15], v[16:17], v[22:23], v[14:15] op_sel_hi:[0,1,1]
	v_mov_b32_e32 v23, v32
	s_delay_alu instid0(VALU_DEP_2) | instskip(SKIP_1) | instid1(VALU_DEP_2)
	v_pk_fma_f32 v[14:15], v[42:43], v[20:21], v[14:15] op_sel_hi:[0,1,1]
	v_mov_b32_e32 v20, v33
	v_pk_fma_f32 v[14:15], v[42:43], v[22:23], v[14:15] op_sel:[1,0,0]
	v_mov_b32_e32 v23, v33
	s_delay_alu instid0(VALU_DEP_2) | instskip(SKIP_2) | instid1(VALU_DEP_2)
	v_pk_fma_f32 v[14:15], v[44:45], v[20:21], v[14:15] op_sel_hi:[0,1,1]
	s_wait_loadcnt 0x0
	v_mov_b32_e32 v20, v58
	v_pk_fma_f32 v[14:15], v[64:65], v[22:23], v[14:15] op_sel_hi:[0,1,1]
	v_mov_b32_e32 v23, v58
	s_delay_alu instid0(VALU_DEP_3) | instskip(SKIP_1) | instid1(VALU_DEP_2)
	v_pk_fma_f32 v[26:27], v[54:55], v[20:21], v[26:27] op_sel_hi:[0,1,1]
	v_mov_b32_e32 v20, v59
	v_pk_fma_f32 v[26:27], v[54:55], v[22:23], v[26:27] op_sel:[1,0,0]
	v_mov_b32_e32 v23, v59
	s_delay_alu instid0(VALU_DEP_2) | instskip(SKIP_1) | instid1(VALU_DEP_2)
	v_pk_fma_f32 v[26:27], v[56:57], v[20:21], v[26:27] op_sel_hi:[0,1,1]
	v_mov_b32_e32 v20, v60
	v_pk_fma_f32 v[16:17], v[16:17], v[22:23], v[26:27] op_sel_hi:[0,1,1]
	v_mov_b32_e32 v23, v60
	s_delay_alu instid0(VALU_DEP_2) | instskip(SKIP_1) | instid1(VALU_DEP_2)
	v_pk_fma_f32 v[16:17], v[42:43], v[20:21], v[16:17] op_sel_hi:[0,1,1]
	v_mov_b32_e32 v20, v61
	v_pk_fma_f32 v[16:17], v[42:43], v[22:23], v[16:17] op_sel:[1,0,0]
	v_mov_b32_e32 v23, v61
	s_delay_alu instid0(VALU_DEP_2) | instskip(NEXT) | instid1(VALU_DEP_1)
	v_pk_fma_f32 v[16:17], v[44:45], v[20:21], v[16:17] op_sel_hi:[0,1,1]
	v_pk_fma_f32 v[16:17], v[64:65], v[22:23], v[16:17] op_sel_hi:[0,1,1]
	s_and_not1_b32 exec_lo, exec_lo, s10
	s_cbranch_execnz .LBB124_17
; %bb.18:
	s_or_b32 exec_lo, exec_lo, s10
.LBB124_19:
	s_delay_alu instid0(SALU_CYCLE_1)
	s_or_b32 exec_lo, exec_lo, s7
.LBB124_20:
	s_delay_alu instid0(SALU_CYCLE_1)
	s_or_b32 exec_lo, exec_lo, s6
	s_cbranch_execz .LBB124_22
	s_branch .LBB124_33
.LBB124_21:
                                        ; implicit-def: $vgpr11
                                        ; implicit-def: $vgpr13
                                        ; implicit-def: $vgpr15
                                        ; implicit-def: $vgpr17
.LBB124_22:
	v_dual_mov_b32 v11, 0 :: v_dual_mov_b32 v10, 0
	v_dual_mov_b32 v13, 0 :: v_dual_mov_b32 v12, 0
	v_dual_mov_b32 v15, 0 :: v_dual_mov_b32 v14, 0
	v_dual_mov_b32 v17, 0 :: v_dual_mov_b32 v16, 0
	s_and_saveexec_b32 s6, s3
	s_cbranch_execz .LBB124_32
; %bb.23:
	v_add_nc_u32_e32 v10, v24, v7
	v_not_b32_e32 v11, v24
	v_mov_b64_e32 v[12:13], 0
	v_mov_b64_e32 v[14:15], 0
	;; [unrolled: 1-line block ×3, first 2 shown]
	v_subrev_nc_u32_e32 v10, s12, v10
	s_mov_b32 s3, exec_lo
	s_delay_alu instid0(VALU_DEP_1) | instskip(NEXT) | instid1(VALU_DEP_1)
	v_add_max_i32_e64 v10, v10, 64, v1
	v_add3_u32 v10, s12, v10, v11
	s_delay_alu instid0(VALU_DEP_1) | instskip(SKIP_1) | instid1(VALU_DEP_2)
	v_sub_nc_u32_e32 v22, v10, v7
	v_mov_b64_e32 v[10:11], 0
	v_and_b32_e32 v18, 0xc0, v22
	s_delay_alu instid0(VALU_DEP_1)
	v_cmpx_ne_u32_e32 0xc0, v18
	s_cbranch_execz .LBB124_27
; %bb.24:
	v_dual_mov_b32 v19, 0 :: v_dual_lshrrev_b32 v10, 6, v22
	v_bfrev_b32_e32 v20, 1
	s_mov_b32 s7, 0
	s_delay_alu instid0(VALU_DEP_2) | instskip(SKIP_2) | instid1(VALU_DEP_3)
	v_dual_add_nc_u32 v10, 1, v10 :: v_dual_mov_b32 v16, v19
	v_dual_mov_b32 v17, v19 :: v_dual_mov_b32 v14, v19
	v_dual_mov_b32 v12, v19 :: v_dual_mov_b32 v13, v19
	v_dual_mov_b32 v15, v19 :: v_dual_bitop2_b32 v11, 3, v10 bitop3:0x40
	s_delay_alu instid0(VALU_DEP_1)
	v_dual_mov_b32 v10, v19 :: v_dual_sub_nc_u32 v23, 0, v11
	v_mov_b32_e32 v11, v19
.LBB124_25:                             ; =>This Inner Loop Header: Depth=1
	global_load_b32 v18, v0, s[8:9] scale_offset
	s_clause 0x1
	global_load_b128 v[24:27], v[8:9], off offset:16
	global_load_b128 v[28:31], v[8:9], off
	s_wait_xcnt 0x2
	v_add_nc_u32_e32 v0, 64, v0
	v_add_co_u32 v23, s10, v23, 1
	s_or_b32 s7, s10, s7
	s_wait_loadcnt 0x2
	v_subrev_nc_u32_e32 v18, s12, v18
	s_wait_loadcnt 0x0
	s_delay_alu instid0(VALU_DEP_1) | instskip(NEXT) | instid1(VALU_DEP_1)
	v_dual_mov_b32 v21, v28 :: v_dual_lshlrev_b32 v32, 2, v18
	v_dual_mov_b32 v18, v28 :: v_dual_ashrrev_i32 v33, 31, v32
	s_wait_kmcnt 0x0
	s_delay_alu instid0(VALU_DEP_1)
	v_lshl_add_u64 v[48:49], v[32:33], 3, s[4:5]
	s_clause 0x1
	global_load_b128 v[32:35], v[48:49], off
	global_load_b128 v[36:39], v[48:49], off offset:16
	s_clause 0x1
	global_load_b128 v[40:43], v[8:9], off offset:32
	global_load_b128 v[44:47], v[8:9], off offset:48
	s_wait_xcnt 0x0
	v_add_nc_u64_e32 v[8:9], 0x1000, v[8:9]
	s_wait_loadcnt 0x3
	v_pk_fma_f32 v[10:11], v[32:33], v[18:19], v[10:11] op_sel_hi:[0,1,1]
	v_dual_mov_b32 v18, v24 :: v_dual_mov_b32 v28, v35
	s_wait_loadcnt 0x2
	v_mov_b32_e32 v48, v39
	s_delay_alu instid0(VALU_DEP_3) | instskip(SKIP_1) | instid1(VALU_DEP_2)
	v_pk_fma_f32 v[10:11], v[32:33], v[20:21], v[10:11] op_sel:[1,0,0]
	v_mov_b32_e32 v21, v24
	v_pk_fma_f32 v[10:11], v[34:35], v[18:19], v[10:11] op_sel_hi:[0,1,1]
	s_wait_loadcnt 0x1
	v_mov_b32_e32 v18, v40
	s_delay_alu instid0(VALU_DEP_2) | instskip(SKIP_1) | instid1(VALU_DEP_2)
	v_pk_fma_f32 v[10:11], v[28:29], v[20:21], v[10:11] op_sel_hi:[0,1,1]
	v_mov_b32_e32 v21, v40
	v_pk_fma_f32 v[10:11], v[36:37], v[18:19], v[10:11] op_sel_hi:[0,1,1]
	s_wait_loadcnt 0x0
	v_mov_b32_e32 v18, v44
	s_delay_alu instid0(VALU_DEP_2) | instskip(SKIP_1) | instid1(VALU_DEP_2)
	v_pk_fma_f32 v[10:11], v[36:37], v[20:21], v[10:11] op_sel:[1,0,0]
	v_mov_b32_e32 v21, v44
	v_pk_fma_f32 v[10:11], v[38:39], v[18:19], v[10:11] op_sel_hi:[0,1,1]
	v_mov_b32_e32 v18, v29
	s_delay_alu instid0(VALU_DEP_2) | instskip(SKIP_1) | instid1(VALU_DEP_3)
	v_pk_fma_f32 v[10:11], v[48:49], v[20:21], v[10:11] op_sel_hi:[0,1,1]
	v_mov_b32_e32 v21, v29
	v_pk_fma_f32 v[12:13], v[32:33], v[18:19], v[12:13] op_sel_hi:[0,1,1]
	v_mov_b32_e32 v18, v25
	s_delay_alu instid0(VALU_DEP_2) | instskip(SKIP_1) | instid1(VALU_DEP_2)
	v_pk_fma_f32 v[12:13], v[32:33], v[20:21], v[12:13] op_sel:[1,0,0]
	v_mov_b32_e32 v21, v25
	v_pk_fma_f32 v[12:13], v[34:35], v[18:19], v[12:13] op_sel_hi:[0,1,1]
	v_mov_b32_e32 v18, v41
	s_delay_alu instid0(VALU_DEP_2) | instskip(SKIP_1) | instid1(VALU_DEP_2)
	v_pk_fma_f32 v[12:13], v[28:29], v[20:21], v[12:13] op_sel_hi:[0,1,1]
	v_mov_b32_e32 v21, v41
	v_pk_fma_f32 v[12:13], v[36:37], v[18:19], v[12:13] op_sel_hi:[0,1,1]
	v_mov_b32_e32 v18, v45
	s_delay_alu instid0(VALU_DEP_2) | instskip(SKIP_1) | instid1(VALU_DEP_2)
	v_pk_fma_f32 v[12:13], v[36:37], v[20:21], v[12:13] op_sel:[1,0,0]
	v_mov_b32_e32 v21, v45
	v_pk_fma_f32 v[12:13], v[38:39], v[18:19], v[12:13] op_sel_hi:[0,1,1]
	v_mov_b32_e32 v18, v30
	s_delay_alu instid0(VALU_DEP_2) | instskip(SKIP_1) | instid1(VALU_DEP_3)
	v_pk_fma_f32 v[12:13], v[48:49], v[20:21], v[12:13] op_sel_hi:[0,1,1]
	v_mov_b32_e32 v21, v30
	v_pk_fma_f32 v[14:15], v[32:33], v[18:19], v[14:15] op_sel_hi:[0,1,1]
	v_mov_b32_e32 v18, v26
	s_delay_alu instid0(VALU_DEP_2) | instskip(SKIP_1) | instid1(VALU_DEP_2)
	v_pk_fma_f32 v[14:15], v[32:33], v[20:21], v[14:15] op_sel:[1,0,0]
	v_mov_b32_e32 v21, v26
	v_pk_fma_f32 v[14:15], v[34:35], v[18:19], v[14:15] op_sel_hi:[0,1,1]
	v_mov_b32_e32 v18, v42
	s_delay_alu instid0(VALU_DEP_2) | instskip(SKIP_1) | instid1(VALU_DEP_2)
	v_pk_fma_f32 v[14:15], v[28:29], v[20:21], v[14:15] op_sel_hi:[0,1,1]
	v_mov_b32_e32 v21, v42
	v_pk_fma_f32 v[14:15], v[36:37], v[18:19], v[14:15] op_sel_hi:[0,1,1]
	v_mov_b32_e32 v18, v46
	s_delay_alu instid0(VALU_DEP_2) | instskip(SKIP_1) | instid1(VALU_DEP_2)
	v_pk_fma_f32 v[14:15], v[36:37], v[20:21], v[14:15] op_sel:[1,0,0]
	v_mov_b32_e32 v21, v46
	v_pk_fma_f32 v[14:15], v[38:39], v[18:19], v[14:15] op_sel_hi:[0,1,1]
	v_mov_b32_e32 v18, v31
	s_delay_alu instid0(VALU_DEP_2) | instskip(SKIP_1) | instid1(VALU_DEP_3)
	v_pk_fma_f32 v[14:15], v[48:49], v[20:21], v[14:15] op_sel_hi:[0,1,1]
	v_mov_b32_e32 v21, v31
	v_pk_fma_f32 v[16:17], v[32:33], v[18:19], v[16:17] op_sel_hi:[0,1,1]
	v_mov_b32_e32 v18, v27
	s_delay_alu instid0(VALU_DEP_2) | instskip(SKIP_1) | instid1(VALU_DEP_2)
	v_pk_fma_f32 v[16:17], v[32:33], v[20:21], v[16:17] op_sel:[1,0,0]
	v_mov_b32_e32 v21, v27
	v_pk_fma_f32 v[16:17], v[34:35], v[18:19], v[16:17] op_sel_hi:[0,1,1]
	v_mov_b32_e32 v18, v43
	s_delay_alu instid0(VALU_DEP_2) | instskip(SKIP_1) | instid1(VALU_DEP_2)
	v_pk_fma_f32 v[16:17], v[28:29], v[20:21], v[16:17] op_sel_hi:[0,1,1]
	v_mov_b32_e32 v21, v43
	v_pk_fma_f32 v[16:17], v[36:37], v[18:19], v[16:17] op_sel_hi:[0,1,1]
	v_mov_b32_e32 v18, v47
	s_delay_alu instid0(VALU_DEP_2) | instskip(SKIP_1) | instid1(VALU_DEP_2)
	v_pk_fma_f32 v[16:17], v[36:37], v[20:21], v[16:17] op_sel:[1,0,0]
	v_mov_b32_e32 v21, v47
	v_pk_fma_f32 v[16:17], v[38:39], v[18:19], v[16:17] op_sel_hi:[0,1,1]
	s_delay_alu instid0(VALU_DEP_1)
	v_pk_fma_f32 v[16:17], v[48:49], v[20:21], v[16:17] op_sel_hi:[0,1,1]
	s_and_not1_b32 exec_lo, exec_lo, s7
	s_cbranch_execnz .LBB124_25
; %bb.26:
	s_or_b32 exec_lo, exec_lo, s7
.LBB124_27:
	s_delay_alu instid0(SALU_CYCLE_1) | instskip(NEXT) | instid1(SALU_CYCLE_1)
	s_or_b32 exec_lo, exec_lo, s3
	s_mov_b32 s3, exec_lo
	v_cmpx_lt_u32_e32 0xbf, v22
	s_cbranch_execz .LBB124_31
; %bb.28:
	v_mov_b32_e32 v19, 0
	v_bfrev_b32_e32 v20, 1
	s_mov_b32 s7, 0
.LBB124_29:                             ; =>This Inner Loop Header: Depth=1
	global_load_b32 v18, v0, s[8:9] scale_offset
	s_clause 0x6
	global_load_b128 v[22:25], v[8:9], off
	global_load_b128 v[26:29], v[8:9], off offset:16
	global_load_b128 v[30:33], v[8:9], off offset:48
	;; [unrolled: 1-line block ×6, first 2 shown]
	s_clause 0x2
	global_load_b32 v61, v0, s[8:9] offset:256 scale_offset
	global_load_b32 v68, v0, s[8:9] offset:512 scale_offset
	;; [unrolled: 1-line block ×3, first 2 shown]
	s_wait_xcnt 0x0
	v_add_nc_u32_e32 v0, 0x100, v0
	s_delay_alu instid0(VALU_DEP_1)
	v_cmp_ge_i32_e32 vcc_lo, v0, v1
	s_or_b32 s7, vcc_lo, s7
	s_wait_loadcnt 0xa
	v_subrev_nc_u32_e32 v50, s12, v18
	s_wait_loadcnt 0x9
	v_dual_mov_b32 v18, v22 :: v_dual_mov_b32 v21, v22
	s_delay_alu instid0(VALU_DEP_2) | instskip(NEXT) | instid1(VALU_DEP_1)
	v_lshlrev_b32_e32 v50, 2, v50
	v_ashrrev_i32_e32 v51, 31, v50
	s_wait_kmcnt 0x0
	s_delay_alu instid0(VALU_DEP_1)
	v_lshl_add_u64 v[58:59], v[50:51], 3, s[4:5]
	s_clause 0x1
	global_load_b128 v[50:53], v[58:59], off
	global_load_b128 v[54:57], v[58:59], off offset:16
	s_wait_loadcnt 0x1
	v_pk_fma_f32 v[10:11], v[50:51], v[18:19], v[10:11] op_sel_hi:[0,1,1]
	s_wait_xcnt 0x0
	v_dual_mov_b32 v18, v26 :: v_dual_mov_b32 v58, v53
	s_wait_loadcnt 0x0
	v_mov_b32_e32 v60, v57
	v_pk_fma_f32 v[10:11], v[50:51], v[20:21], v[10:11] op_sel:[1,0,0]
	v_mov_b32_e32 v21, v26
	s_delay_alu instid0(VALU_DEP_2) | instskip(SKIP_1) | instid1(VALU_DEP_2)
	v_pk_fma_f32 v[10:11], v[52:53], v[18:19], v[10:11] op_sel_hi:[0,1,1]
	v_mov_b32_e32 v18, v34
	v_pk_fma_f32 v[10:11], v[58:59], v[20:21], v[10:11] op_sel_hi:[0,1,1]
	v_mov_b32_e32 v21, v34
	s_delay_alu instid0(VALU_DEP_2) | instskip(SKIP_1) | instid1(VALU_DEP_2)
	v_pk_fma_f32 v[10:11], v[54:55], v[18:19], v[10:11] op_sel_hi:[0,1,1]
	v_mov_b32_e32 v18, v30
	v_pk_fma_f32 v[10:11], v[54:55], v[20:21], v[10:11] op_sel:[1,0,0]
	v_mov_b32_e32 v21, v30
	s_delay_alu instid0(VALU_DEP_2) | instskip(SKIP_1) | instid1(VALU_DEP_2)
	v_pk_fma_f32 v[10:11], v[56:57], v[18:19], v[10:11] op_sel_hi:[0,1,1]
	v_mov_b32_e32 v18, v23
	v_pk_fma_f32 v[62:63], v[60:61], v[20:21], v[10:11] op_sel_hi:[0,1,1]
	v_mov_b32_e32 v21, v23
	s_delay_alu instid0(VALU_DEP_3) | instskip(SKIP_1) | instid1(VALU_DEP_2)
	v_pk_fma_f32 v[10:11], v[50:51], v[18:19], v[12:13] op_sel_hi:[0,1,1]
	v_mov_b32_e32 v18, v27
	v_pk_fma_f32 v[10:11], v[50:51], v[20:21], v[10:11] op_sel:[1,0,0]
	v_mov_b32_e32 v21, v27
	s_delay_alu instid0(VALU_DEP_2) | instskip(SKIP_1) | instid1(VALU_DEP_2)
	v_pk_fma_f32 v[10:11], v[52:53], v[18:19], v[10:11] op_sel_hi:[0,1,1]
	v_mov_b32_e32 v18, v35
	v_pk_fma_f32 v[10:11], v[58:59], v[20:21], v[10:11] op_sel_hi:[0,1,1]
	v_mov_b32_e32 v21, v35
	s_delay_alu instid0(VALU_DEP_2) | instskip(SKIP_1) | instid1(VALU_DEP_2)
	v_pk_fma_f32 v[10:11], v[54:55], v[18:19], v[10:11] op_sel_hi:[0,1,1]
	v_mov_b32_e32 v18, v31
	v_pk_fma_f32 v[10:11], v[54:55], v[20:21], v[10:11] op_sel:[1,0,0]
	v_mov_b32_e32 v21, v31
	s_delay_alu instid0(VALU_DEP_2) | instskip(SKIP_1) | instid1(VALU_DEP_2)
	v_pk_fma_f32 v[10:11], v[56:57], v[18:19], v[10:11] op_sel_hi:[0,1,1]
	v_mov_b32_e32 v18, v24
	v_pk_fma_f32 v[64:65], v[60:61], v[20:21], v[10:11] op_sel_hi:[0,1,1]
	v_mov_b32_e32 v21, v24
	s_delay_alu instid0(VALU_DEP_3) | instskip(SKIP_1) | instid1(VALU_DEP_2)
	v_pk_fma_f32 v[10:11], v[50:51], v[18:19], v[14:15] op_sel_hi:[0,1,1]
	v_mov_b32_e32 v18, v28
	v_pk_fma_f32 v[10:11], v[50:51], v[20:21], v[10:11] op_sel:[1,0,0]
	v_mov_b32_e32 v21, v28
	s_delay_alu instid0(VALU_DEP_2) | instskip(SKIP_1) | instid1(VALU_DEP_2)
	v_pk_fma_f32 v[10:11], v[52:53], v[18:19], v[10:11] op_sel_hi:[0,1,1]
	v_mov_b32_e32 v18, v36
	v_pk_fma_f32 v[10:11], v[58:59], v[20:21], v[10:11] op_sel_hi:[0,1,1]
	v_mov_b32_e32 v21, v36
	s_delay_alu instid0(VALU_DEP_2) | instskip(SKIP_1) | instid1(VALU_DEP_2)
	v_pk_fma_f32 v[10:11], v[54:55], v[18:19], v[10:11] op_sel_hi:[0,1,1]
	v_mov_b32_e32 v18, v32
	v_pk_fma_f32 v[10:11], v[54:55], v[20:21], v[10:11] op_sel:[1,0,0]
	v_mov_b32_e32 v21, v32
	v_subrev_nc_u32_e32 v32, s12, v61
	s_delay_alu instid0(VALU_DEP_3) | instskip(NEXT) | instid1(VALU_DEP_2)
	v_pk_fma_f32 v[10:11], v[56:57], v[18:19], v[10:11] op_sel_hi:[0,1,1]
	v_dual_mov_b32 v18, v25 :: v_dual_lshlrev_b32 v34, 2, v32
	s_delay_alu instid0(VALU_DEP_2) | instskip(SKIP_1) | instid1(VALU_DEP_3)
	v_pk_fma_f32 v[66:67], v[60:61], v[20:21], v[10:11] op_sel_hi:[0,1,1]
	v_mov_b32_e32 v21, v25
	v_pk_fma_f32 v[14:15], v[50:51], v[18:19], v[16:17] op_sel_hi:[0,1,1]
	v_mov_b32_e32 v18, v29
	global_load_b128 v[10:13], v[8:9], off offset:4096
	v_pk_fma_f32 v[22:23], v[50:51], v[20:21], v[14:15] op_sel:[1,0,0]
	v_mov_b32_e32 v21, v29
	global_load_b128 v[14:17], v[8:9], off offset:8240
	v_pk_fma_f32 v[26:27], v[52:53], v[18:19], v[22:23] op_sel_hi:[0,1,1]
	v_mov_b32_e32 v18, v37
	global_load_b128 v[22:25], v[8:9], off offset:8224
	v_pk_fma_f32 v[30:31], v[58:59], v[20:21], v[26:27] op_sel_hi:[0,1,1]
	;; [unrolled: 3-line block ×3, first 2 shown]
	v_dual_mov_b32 v18, v33 :: v_dual_ashrrev_i32 v35, 31, v34
	s_delay_alu instid0(VALU_DEP_2) | instskip(SKIP_1) | instid1(VALU_DEP_3)
	v_pk_fma_f32 v[36:37], v[54:55], v[20:21], v[30:31] op_sel:[1,0,0]
	v_mov_b32_e32 v21, v33
	v_lshl_add_u64 v[34:35], v[34:35], 3, s[4:5]
	s_delay_alu instid0(VALU_DEP_3)
	v_pk_fma_f32 v[50:51], v[56:57], v[18:19], v[36:37] op_sel_hi:[0,1,1]
	s_clause 0x1
	global_load_b128 v[30:33], v[34:35], off
	global_load_b128 v[34:37], v[34:35], off offset:16
	v_pk_fma_f32 v[50:51], v[60:61], v[20:21], v[50:51] op_sel_hi:[0,1,1]
	s_wait_loadcnt 0x5
	v_dual_mov_b32 v18, v10 :: v_dual_mov_b32 v21, v10
	s_wait_loadcnt 0x1
	s_delay_alu instid0(VALU_DEP_1) | instskip(SKIP_3) | instid1(VALU_DEP_3)
	v_pk_fma_f32 v[56:57], v[30:31], v[18:19], v[62:63] op_sel_hi:[0,1,1]
	v_dual_mov_b32 v18, v46 :: v_dual_mov_b32 v52, v33
	s_wait_loadcnt 0x0
	v_mov_b32_e32 v54, v37
	v_pk_fma_f32 v[56:57], v[30:31], v[20:21], v[56:57] op_sel:[1,0,0]
	v_mov_b32_e32 v21, v46
	s_delay_alu instid0(VALU_DEP_2) | instskip(SKIP_1) | instid1(VALU_DEP_2)
	v_pk_fma_f32 v[56:57], v[32:33], v[18:19], v[56:57] op_sel_hi:[0,1,1]
	v_mov_b32_e32 v18, v42
	v_pk_fma_f32 v[56:57], v[52:53], v[20:21], v[56:57] op_sel_hi:[0,1,1]
	v_mov_b32_e32 v21, v42
	s_delay_alu instid0(VALU_DEP_2) | instskip(SKIP_1) | instid1(VALU_DEP_2)
	v_pk_fma_f32 v[56:57], v[34:35], v[18:19], v[56:57] op_sel_hi:[0,1,1]
	v_mov_b32_e32 v18, v38
	v_pk_fma_f32 v[56:57], v[34:35], v[20:21], v[56:57] op_sel:[1,0,0]
	v_mov_b32_e32 v21, v38
	s_delay_alu instid0(VALU_DEP_2) | instskip(SKIP_1) | instid1(VALU_DEP_2)
	v_pk_fma_f32 v[56:57], v[36:37], v[18:19], v[56:57] op_sel_hi:[0,1,1]
	v_mov_b32_e32 v18, v11
	v_pk_fma_f32 v[56:57], v[54:55], v[20:21], v[56:57] op_sel_hi:[0,1,1]
	v_mov_b32_e32 v21, v11
	s_delay_alu instid0(VALU_DEP_3) | instskip(SKIP_1) | instid1(VALU_DEP_2)
	v_pk_fma_f32 v[58:59], v[30:31], v[18:19], v[64:65] op_sel_hi:[0,1,1]
	v_mov_b32_e32 v18, v47
	v_pk_fma_f32 v[10:11], v[30:31], v[20:21], v[58:59] op_sel:[1,0,0]
	v_mov_b32_e32 v21, v47
	s_delay_alu instid0(VALU_DEP_2) | instskip(SKIP_1) | instid1(VALU_DEP_2)
	v_pk_fma_f32 v[10:11], v[32:33], v[18:19], v[10:11] op_sel_hi:[0,1,1]
	v_mov_b32_e32 v18, v43
	v_pk_fma_f32 v[10:11], v[52:53], v[20:21], v[10:11] op_sel_hi:[0,1,1]
	v_mov_b32_e32 v21, v43
	s_delay_alu instid0(VALU_DEP_2) | instskip(SKIP_1) | instid1(VALU_DEP_2)
	v_pk_fma_f32 v[10:11], v[34:35], v[18:19], v[10:11] op_sel_hi:[0,1,1]
	v_mov_b32_e32 v18, v39
	v_pk_fma_f32 v[10:11], v[34:35], v[20:21], v[10:11] op_sel:[1,0,0]
	v_mov_b32_e32 v21, v39
	s_delay_alu instid0(VALU_DEP_2) | instskip(SKIP_1) | instid1(VALU_DEP_2)
	v_pk_fma_f32 v[10:11], v[36:37], v[18:19], v[10:11] op_sel_hi:[0,1,1]
	v_mov_b32_e32 v18, v12
	v_pk_fma_f32 v[58:59], v[54:55], v[20:21], v[10:11] op_sel_hi:[0,1,1]
	v_mov_b32_e32 v21, v12
	s_delay_alu instid0(VALU_DEP_3) | instskip(SKIP_1) | instid1(VALU_DEP_2)
	v_pk_fma_f32 v[10:11], v[30:31], v[18:19], v[66:67] op_sel_hi:[0,1,1]
	v_mov_b32_e32 v18, v48
	v_pk_fma_f32 v[10:11], v[30:31], v[20:21], v[10:11] op_sel:[1,0,0]
	v_mov_b32_e32 v21, v48
	s_delay_alu instid0(VALU_DEP_2) | instskip(SKIP_1) | instid1(VALU_DEP_2)
	v_pk_fma_f32 v[10:11], v[32:33], v[18:19], v[10:11] op_sel_hi:[0,1,1]
	v_mov_b32_e32 v18, v44
	v_pk_fma_f32 v[10:11], v[52:53], v[20:21], v[10:11] op_sel_hi:[0,1,1]
	v_mov_b32_e32 v21, v44
	s_delay_alu instid0(VALU_DEP_2) | instskip(SKIP_1) | instid1(VALU_DEP_2)
	v_pk_fma_f32 v[10:11], v[34:35], v[18:19], v[10:11] op_sel_hi:[0,1,1]
	v_mov_b32_e32 v18, v40
	v_pk_fma_f32 v[10:11], v[34:35], v[20:21], v[10:11] op_sel:[1,0,0]
	v_mov_b32_e32 v21, v40
	v_subrev_nc_u32_e32 v40, s12, v69
	s_delay_alu instid0(VALU_DEP_3) | instskip(SKIP_2) | instid1(VALU_DEP_3)
	v_pk_fma_f32 v[10:11], v[36:37], v[18:19], v[10:11] op_sel_hi:[0,1,1]
	v_mov_b32_e32 v18, v13
	v_subrev_nc_u32_e32 v37, s12, v68
	v_pk_fma_f32 v[60:61], v[54:55], v[20:21], v[10:11] op_sel_hi:[0,1,1]
	v_mov_b32_e32 v21, v13
	s_delay_alu instid0(VALU_DEP_4) | instskip(NEXT) | instid1(VALU_DEP_4)
	v_pk_fma_f32 v[38:39], v[30:31], v[18:19], v[50:51] op_sel_hi:[0,1,1]
	v_dual_mov_b32 v18, v49 :: v_dual_lshlrev_b32 v50, 2, v37
	global_load_b128 v[10:13], v[8:9], off offset:8192
	v_pk_fma_f32 v[30:31], v[30:31], v[20:21], v[38:39] op_sel:[1,0,0]
	v_mov_b32_e32 v21, v49
	global_load_b128 v[46:49], v[8:9], off offset:12304
	v_pk_fma_f32 v[38:39], v[32:33], v[18:19], v[30:31] op_sel_hi:[0,1,1]
	v_mov_b32_e32 v18, v45
	global_load_b128 v[30:33], v[8:9], off offset:12288
	v_pk_fma_f32 v[38:39], v[52:53], v[20:21], v[38:39] op_sel_hi:[0,1,1]
	v_dual_lshlrev_b32 v52, 2, v40 :: v_dual_ashrrev_i32 v51, 31, v50
	v_mov_b32_e32 v21, v45
	global_load_b128 v[42:45], v[8:9], off offset:12320
	v_pk_fma_f32 v[38:39], v[34:35], v[18:19], v[38:39] op_sel_hi:[0,1,1]
	v_ashrrev_i32_e32 v53, 31, v52
	v_lshl_add_u64 v[50:51], v[50:51], 3, s[4:5]
	v_mov_b32_e32 v18, v41
	s_delay_alu instid0(VALU_DEP_4)
	v_pk_fma_f32 v[34:35], v[34:35], v[20:21], v[38:39] op_sel:[1,0,0]
	v_mov_b32_e32 v21, v41
	global_load_b128 v[38:41], v[50:51], off
	v_lshl_add_u64 v[62:63], v[52:53], 3, s[4:5]
	v_pk_fma_f32 v[52:53], v[36:37], v[18:19], v[34:35] op_sel_hi:[0,1,1]
	global_load_b128 v[34:37], v[50:51], off offset:16
	v_pk_fma_f32 v[54:55], v[54:55], v[20:21], v[52:53] op_sel_hi:[0,1,1]
	s_wait_loadcnt 0x5
	v_dual_mov_b32 v18, v10 :: v_dual_mov_b32 v21, v10
	s_wait_loadcnt 0x1
	s_wait_xcnt 0x0
	s_delay_alu instid0(VALU_DEP_1) | instskip(SKIP_3) | instid1(VALU_DEP_3)
	v_pk_fma_f32 v[50:51], v[38:39], v[18:19], v[56:57] op_sel_hi:[0,1,1]
	v_dual_mov_b32 v18, v26 :: v_dual_mov_b32 v64, v41
	s_wait_loadcnt 0x0
	v_mov_b32_e32 v66, v37
	v_pk_fma_f32 v[50:51], v[38:39], v[20:21], v[50:51] op_sel:[1,0,0]
	v_mov_b32_e32 v21, v26
	s_delay_alu instid0(VALU_DEP_2) | instskip(SKIP_1) | instid1(VALU_DEP_2)
	v_pk_fma_f32 v[50:51], v[40:41], v[18:19], v[50:51] op_sel_hi:[0,1,1]
	v_mov_b32_e32 v18, v22
	v_pk_fma_f32 v[50:51], v[64:65], v[20:21], v[50:51] op_sel_hi:[0,1,1]
	v_mov_b32_e32 v21, v22
	s_delay_alu instid0(VALU_DEP_2) | instskip(SKIP_1) | instid1(VALU_DEP_2)
	v_pk_fma_f32 v[50:51], v[34:35], v[18:19], v[50:51] op_sel_hi:[0,1,1]
	v_mov_b32_e32 v18, v14
	v_pk_fma_f32 v[50:51], v[34:35], v[20:21], v[50:51] op_sel:[1,0,0]
	v_mov_b32_e32 v21, v14
	s_delay_alu instid0(VALU_DEP_2) | instskip(SKIP_1) | instid1(VALU_DEP_2)
	v_pk_fma_f32 v[50:51], v[36:37], v[18:19], v[50:51] op_sel_hi:[0,1,1]
	v_mov_b32_e32 v18, v11
	v_pk_fma_f32 v[56:57], v[66:67], v[20:21], v[50:51] op_sel_hi:[0,1,1]
	v_mov_b32_e32 v21, v11
	s_delay_alu instid0(VALU_DEP_3) | instskip(SKIP_1) | instid1(VALU_DEP_2)
	v_pk_fma_f32 v[50:51], v[38:39], v[18:19], v[58:59] op_sel_hi:[0,1,1]
	v_mov_b32_e32 v18, v27
	v_pk_fma_f32 v[10:11], v[38:39], v[20:21], v[50:51] op_sel:[1,0,0]
	v_mov_b32_e32 v21, v27
	global_load_b128 v[50:53], v[62:63], off
	v_pk_fma_f32 v[10:11], v[40:41], v[18:19], v[10:11] op_sel_hi:[0,1,1]
	v_mov_b32_e32 v18, v23
	s_delay_alu instid0(VALU_DEP_2) | instskip(SKIP_1) | instid1(VALU_DEP_2)
	v_pk_fma_f32 v[10:11], v[64:65], v[20:21], v[10:11] op_sel_hi:[0,1,1]
	v_mov_b32_e32 v21, v23
	v_pk_fma_f32 v[10:11], v[34:35], v[18:19], v[10:11] op_sel_hi:[0,1,1]
	v_mov_b32_e32 v18, v15
	s_delay_alu instid0(VALU_DEP_2) | instskip(SKIP_1) | instid1(VALU_DEP_2)
	v_pk_fma_f32 v[10:11], v[34:35], v[20:21], v[10:11] op_sel:[1,0,0]
	v_mov_b32_e32 v21, v15
	v_pk_fma_f32 v[10:11], v[36:37], v[18:19], v[10:11] op_sel_hi:[0,1,1]
	v_mov_b32_e32 v18, v12
	s_delay_alu instid0(VALU_DEP_2) | instskip(SKIP_1) | instid1(VALU_DEP_3)
	v_pk_fma_f32 v[14:15], v[66:67], v[20:21], v[10:11] op_sel_hi:[0,1,1]
	v_mov_b32_e32 v21, v12
	v_pk_fma_f32 v[10:11], v[38:39], v[18:19], v[60:61] op_sel_hi:[0,1,1]
	v_mov_b32_e32 v18, v28
	s_delay_alu instid0(VALU_DEP_2) | instskip(SKIP_1) | instid1(VALU_DEP_2)
	v_pk_fma_f32 v[10:11], v[38:39], v[20:21], v[10:11] op_sel:[1,0,0]
	v_mov_b32_e32 v21, v28
	v_pk_fma_f32 v[10:11], v[40:41], v[18:19], v[10:11] op_sel_hi:[0,1,1]
	v_mov_b32_e32 v18, v24
	s_delay_alu instid0(VALU_DEP_2) | instskip(SKIP_1) | instid1(VALU_DEP_2)
	v_pk_fma_f32 v[10:11], v[64:65], v[20:21], v[10:11] op_sel_hi:[0,1,1]
	v_mov_b32_e32 v21, v24
	v_pk_fma_f32 v[10:11], v[34:35], v[18:19], v[10:11] op_sel_hi:[0,1,1]
	v_mov_b32_e32 v18, v16
	s_delay_alu instid0(VALU_DEP_2) | instskip(SKIP_1) | instid1(VALU_DEP_2)
	v_pk_fma_f32 v[10:11], v[34:35], v[20:21], v[10:11] op_sel:[1,0,0]
	v_mov_b32_e32 v21, v16
	v_pk_fma_f32 v[10:11], v[36:37], v[18:19], v[10:11] op_sel_hi:[0,1,1]
	v_mov_b32_e32 v18, v13
	s_delay_alu instid0(VALU_DEP_2) | instskip(SKIP_1) | instid1(VALU_DEP_3)
	v_pk_fma_f32 v[22:23], v[66:67], v[20:21], v[10:11] op_sel_hi:[0,1,1]
	v_mov_b32_e32 v21, v13
	v_pk_fma_f32 v[10:11], v[38:39], v[18:19], v[54:55] op_sel_hi:[0,1,1]
	v_mov_b32_e32 v18, v29
	s_delay_alu instid0(VALU_DEP_2)
	v_pk_fma_f32 v[10:11], v[38:39], v[20:21], v[10:11] op_sel:[1,0,0]
	v_mov_b32_e32 v21, v29
	global_load_b128 v[26:29], v[62:63], off offset:16
	v_pk_fma_f32 v[10:11], v[40:41], v[18:19], v[10:11] op_sel_hi:[0,1,1]
	global_load_b128 v[38:41], v[8:9], off offset:12336
	v_mov_b32_e32 v18, v25
	s_wait_xcnt 0x0
	v_add_nc_u64_e32 v[8:9], 0x4000, v[8:9]
	v_pk_fma_f32 v[10:11], v[64:65], v[20:21], v[10:11] op_sel_hi:[0,1,1]
	v_mov_b32_e32 v21, v25
	s_delay_alu instid0(VALU_DEP_2) | instskip(SKIP_1) | instid1(VALU_DEP_2)
	v_pk_fma_f32 v[10:11], v[34:35], v[18:19], v[10:11] op_sel_hi:[0,1,1]
	v_mov_b32_e32 v18, v17
	v_pk_fma_f32 v[10:11], v[34:35], v[20:21], v[10:11] op_sel:[1,0,0]
	v_mov_b32_e32 v21, v17
	s_delay_alu instid0(VALU_DEP_2) | instskip(SKIP_1) | instid1(VALU_DEP_2)
	v_pk_fma_f32 v[10:11], v[36:37], v[18:19], v[10:11] op_sel_hi:[0,1,1]
	v_mov_b32_e32 v18, v30
	v_pk_fma_f32 v[34:35], v[66:67], v[20:21], v[10:11] op_sel_hi:[0,1,1]
	v_mov_b32_e32 v21, v30
	s_wait_loadcnt 0x2
	s_delay_alu instid0(VALU_DEP_3) | instskip(SKIP_1) | instid1(VALU_DEP_2)
	v_pk_fma_f32 v[10:11], v[50:51], v[18:19], v[56:57] op_sel_hi:[0,1,1]
	v_dual_mov_b32 v18, v46 :: v_dual_mov_b32 v16, v53
	v_pk_fma_f32 v[10:11], v[50:51], v[20:21], v[10:11] op_sel:[1,0,0]
	v_mov_b32_e32 v21, v46
	s_delay_alu instid0(VALU_DEP_2) | instskip(SKIP_2) | instid1(VALU_DEP_2)
	v_pk_fma_f32 v[10:11], v[52:53], v[18:19], v[10:11] op_sel_hi:[0,1,1]
	s_wait_loadcnt 0x1
	v_dual_mov_b32 v18, v42 :: v_dual_mov_b32 v24, v29
	v_pk_fma_f32 v[10:11], v[16:17], v[20:21], v[10:11] op_sel_hi:[0,1,1]
	v_mov_b32_e32 v21, v42
	s_delay_alu instid0(VALU_DEP_2) | instskip(SKIP_2) | instid1(VALU_DEP_2)
	v_pk_fma_f32 v[10:11], v[26:27], v[18:19], v[10:11] op_sel_hi:[0,1,1]
	s_wait_loadcnt 0x0
	v_mov_b32_e32 v18, v38
	v_pk_fma_f32 v[10:11], v[26:27], v[20:21], v[10:11] op_sel:[1,0,0]
	v_mov_b32_e32 v21, v38
	s_delay_alu instid0(VALU_DEP_2) | instskip(SKIP_1) | instid1(VALU_DEP_2)
	v_pk_fma_f32 v[10:11], v[28:29], v[18:19], v[10:11] op_sel_hi:[0,1,1]
	v_mov_b32_e32 v18, v31
	v_pk_fma_f32 v[10:11], v[24:25], v[20:21], v[10:11] op_sel_hi:[0,1,1]
	v_mov_b32_e32 v21, v31
	s_delay_alu instid0(VALU_DEP_3) | instskip(SKIP_1) | instid1(VALU_DEP_2)
	v_pk_fma_f32 v[12:13], v[50:51], v[18:19], v[14:15] op_sel_hi:[0,1,1]
	v_mov_b32_e32 v18, v47
	v_pk_fma_f32 v[12:13], v[50:51], v[20:21], v[12:13] op_sel:[1,0,0]
	v_mov_b32_e32 v21, v47
	s_delay_alu instid0(VALU_DEP_2) | instskip(SKIP_1) | instid1(VALU_DEP_2)
	v_pk_fma_f32 v[12:13], v[52:53], v[18:19], v[12:13] op_sel_hi:[0,1,1]
	v_mov_b32_e32 v18, v43
	v_pk_fma_f32 v[12:13], v[16:17], v[20:21], v[12:13] op_sel_hi:[0,1,1]
	v_mov_b32_e32 v21, v43
	s_delay_alu instid0(VALU_DEP_2) | instskip(SKIP_1) | instid1(VALU_DEP_2)
	v_pk_fma_f32 v[12:13], v[26:27], v[18:19], v[12:13] op_sel_hi:[0,1,1]
	v_mov_b32_e32 v18, v39
	v_pk_fma_f32 v[12:13], v[26:27], v[20:21], v[12:13] op_sel:[1,0,0]
	v_mov_b32_e32 v21, v39
	s_delay_alu instid0(VALU_DEP_2) | instskip(SKIP_1) | instid1(VALU_DEP_2)
	v_pk_fma_f32 v[12:13], v[28:29], v[18:19], v[12:13] op_sel_hi:[0,1,1]
	v_mov_b32_e32 v18, v32
	v_pk_fma_f32 v[12:13], v[24:25], v[20:21], v[12:13] op_sel_hi:[0,1,1]
	v_mov_b32_e32 v21, v32
	s_delay_alu instid0(VALU_DEP_3) | instskip(SKIP_1) | instid1(VALU_DEP_2)
	v_pk_fma_f32 v[14:15], v[50:51], v[18:19], v[22:23] op_sel_hi:[0,1,1]
	v_mov_b32_e32 v18, v48
	v_pk_fma_f32 v[14:15], v[50:51], v[20:21], v[14:15] op_sel:[1,0,0]
	v_mov_b32_e32 v21, v48
	s_delay_alu instid0(VALU_DEP_2) | instskip(SKIP_1) | instid1(VALU_DEP_2)
	v_pk_fma_f32 v[14:15], v[52:53], v[18:19], v[14:15] op_sel_hi:[0,1,1]
	v_mov_b32_e32 v18, v44
	v_pk_fma_f32 v[14:15], v[16:17], v[20:21], v[14:15] op_sel_hi:[0,1,1]
	v_mov_b32_e32 v21, v44
	s_delay_alu instid0(VALU_DEP_2) | instskip(SKIP_1) | instid1(VALU_DEP_2)
	v_pk_fma_f32 v[14:15], v[26:27], v[18:19], v[14:15] op_sel_hi:[0,1,1]
	;; [unrolled: 20-line block ×3, first 2 shown]
	v_mov_b32_e32 v18, v41
	v_pk_fma_f32 v[16:17], v[26:27], v[20:21], v[16:17] op_sel:[1,0,0]
	v_mov_b32_e32 v21, v41
	s_delay_alu instid0(VALU_DEP_2) | instskip(NEXT) | instid1(VALU_DEP_1)
	v_pk_fma_f32 v[16:17], v[28:29], v[18:19], v[16:17] op_sel_hi:[0,1,1]
	v_pk_fma_f32 v[16:17], v[24:25], v[20:21], v[16:17] op_sel_hi:[0,1,1]
	s_and_not1_b32 exec_lo, exec_lo, s7
	s_cbranch_execnz .LBB124_29
; %bb.30:
	s_or_b32 exec_lo, exec_lo, s7
.LBB124_31:
	s_delay_alu instid0(SALU_CYCLE_1)
	s_or_b32 exec_lo, exec_lo, s3
.LBB124_32:
	s_delay_alu instid0(SALU_CYCLE_1)
	s_or_b32 exec_lo, exec_lo, s6
.LBB124_33:
	v_mbcnt_lo_u32_b32 v0, -1, 0
	s_delay_alu instid0(VALU_DEP_1) | instskip(SKIP_1) | instid1(VALU_DEP_1)
	v_xor_b32_e32 v23, 16, v0
	v_or_b32_e32 v1, 32, v0
	v_cmp_gt_i32_e32 vcc_lo, 32, v1
	v_cndmask_b32_e32 v1, v0, v1, vcc_lo
	s_delay_alu instid0(VALU_DEP_4) | instskip(SKIP_1) | instid1(VALU_DEP_1)
	v_cmp_gt_i32_e32 vcc_lo, 32, v23
	v_cndmask_b32_e32 v23, v0, v23, vcc_lo
	v_dual_lshlrev_b32 v23, 2, v23 :: v_dual_lshlrev_b32 v1, 2, v1
	ds_bpermute_b32 v8, v1, v10
	s_wait_dscnt 0x0
	v_add_f32_e32 v8, v10, v8
	ds_bpermute_b32 v9, v1, v11
	ds_bpermute_b32 v18, v1, v12
	;; [unrolled: 1-line block ×7, first 2 shown]
	s_wait_dscnt 0x5
	v_dual_add_f32 v9, v11, v9 :: v_dual_add_f32 v10, v12, v18
	s_wait_dscnt 0x3
	v_dual_add_f32 v11, v13, v19 :: v_dual_add_f32 v12, v14, v20
	s_wait_dscnt 0x2
	v_add_f32_e32 v13, v15, v21
	ds_bpermute_b32 v15, v23, v8
	s_wait_dscnt 0x1
	v_dual_add_f32 v14, v16, v22 :: v_dual_add_f32 v1, v17, v1
	ds_bpermute_b32 v16, v23, v9
	ds_bpermute_b32 v17, v23, v10
	;; [unrolled: 1-line block ×7, first 2 shown]
	s_wait_dscnt 0x7
	v_dual_add_f32 v8, v8, v15 :: v_dual_bitop2_b32 v23, 8, v0 bitop3:0x14
	s_delay_alu instid0(VALU_DEP_1)
	v_cmp_gt_i32_e32 vcc_lo, 32, v23
	s_wait_dscnt 0x5
	v_dual_add_f32 v9, v9, v16 :: v_dual_add_f32 v10, v10, v17
	s_wait_dscnt 0x3
	v_dual_add_f32 v11, v11, v18 :: v_dual_add_f32 v12, v12, v19
	s_wait_dscnt 0x2
	v_dual_cndmask_b32 v23, v0, v23, vcc_lo :: v_dual_add_f32 v13, v13, v20
	s_wait_dscnt 0x0
	v_dual_add_f32 v14, v14, v21 :: v_dual_add_f32 v1, v1, v22
	s_delay_alu instid0(VALU_DEP_2)
	v_lshlrev_b32_e32 v23, 2, v23
	ds_bpermute_b32 v15, v23, v8
	ds_bpermute_b32 v16, v23, v9
	;; [unrolled: 1-line block ×8, first 2 shown]
	v_xor_b32_e32 v23, 4, v0
	s_delay_alu instid0(VALU_DEP_1) | instskip(SKIP_4) | instid1(VALU_DEP_2)
	v_cmp_gt_i32_e32 vcc_lo, 32, v23
	v_cndmask_b32_e32 v23, v0, v23, vcc_lo
	s_wait_dscnt 0x6
	v_dual_add_f32 v8, v8, v15 :: v_dual_add_f32 v9, v9, v16
	s_wait_dscnt 0x5
	v_dual_add_f32 v10, v10, v17 :: v_dual_lshlrev_b32 v23, 2, v23
	s_wait_dscnt 0x3
	v_dual_add_f32 v11, v11, v18 :: v_dual_add_f32 v12, v12, v19
	s_wait_dscnt 0x1
	v_dual_add_f32 v13, v13, v20 :: v_dual_add_f32 v14, v14, v21
	s_wait_dscnt 0x0
	v_add_f32_e32 v1, v1, v22
	ds_bpermute_b32 v15, v23, v8
	ds_bpermute_b32 v16, v23, v9
	ds_bpermute_b32 v17, v23, v10
	ds_bpermute_b32 v18, v23, v11
	ds_bpermute_b32 v19, v23, v12
	ds_bpermute_b32 v20, v23, v13
	ds_bpermute_b32 v21, v23, v14
	ds_bpermute_b32 v22, v23, v1
	s_wait_dscnt 0x7
	v_dual_add_f32 v8, v8, v15 :: v_dual_bitop2_b32 v23, 2, v0 bitop3:0x14
	s_delay_alu instid0(VALU_DEP_1)
	v_cmp_gt_i32_e32 vcc_lo, 32, v23
	s_wait_dscnt 0x5
	v_dual_add_f32 v9, v9, v16 :: v_dual_add_f32 v10, v10, v17
	s_wait_dscnt 0x3
	v_dual_add_f32 v11, v11, v18 :: v_dual_add_f32 v12, v12, v19
	s_wait_dscnt 0x2
	v_dual_cndmask_b32 v23, v0, v23, vcc_lo :: v_dual_add_f32 v13, v13, v20
	s_wait_dscnt 0x0
	v_dual_add_f32 v14, v14, v21 :: v_dual_add_f32 v15, v1, v22
	s_delay_alu instid0(VALU_DEP_2)
	v_lshlrev_b32_e32 v23, 2, v23
	ds_bpermute_b32 v1, v23, v8
	ds_bpermute_b32 v16, v23, v9
	;; [unrolled: 1-line block ×8, first 2 shown]
	v_xor_b32_e32 v23, 1, v0
	s_delay_alu instid0(VALU_DEP_1) | instskip(SKIP_3) | instid1(VALU_DEP_2)
	v_cmp_gt_i32_e32 vcc_lo, 32, v23
	v_cndmask_b32_e32 v0, v0, v23, vcc_lo
	v_cmp_eq_u32_e32 vcc_lo, 63, v7
	s_wait_dscnt 0x7
	v_dual_add_f32 v0, v8, v1 :: v_dual_lshlrev_b32 v23, 2, v0
	s_wait_dscnt 0x5
	v_dual_add_f32 v1, v9, v16 :: v_dual_add_f32 v8, v10, v17
	s_wait_dscnt 0x3
	v_dual_add_f32 v9, v11, v18 :: v_dual_add_f32 v10, v12, v19
	;; [unrolled: 2-line block ×3, first 2 shown]
	s_wait_dscnt 0x0
	v_add_f32_e32 v13, v15, v22
	ds_bpermute_b32 v14, v23, v0
	ds_bpermute_b32 v15, v23, v1
	;; [unrolled: 1-line block ×8, first 2 shown]
	s_and_b32 exec_lo, exec_lo, vcc_lo
	s_cbranch_execz .LBB124_6
; %bb.34:
	s_load_b64 s[0:1], s[0:1], 0x50
	v_cmp_eq_f32_e32 vcc_lo, 0, v4
	s_wait_dscnt 0x6
	v_dual_add_f32 v0, v0, v14 :: v_dual_add_f32 v22, v1, v15
	s_wait_dscnt 0x4
	v_dual_add_f32 v8, v8, v16 :: v_dual_add_f32 v20, v9, v17
	;; [unrolled: 2-line block ×4, first 2 shown]
	v_xor_b32_e32 v18, 0x80000000, v3
	v_lshlrev_b32_e32 v6, 2, v6
	s_xor_b32 s2, s2, -1
	s_delay_alu instid0(SALU_CYCLE_1) | instskip(NEXT) | instid1(SALU_CYCLE_1)
	s_and_b32 s2, vcc_lo, s2
	s_and_saveexec_b32 s3, s2
	s_delay_alu instid0(SALU_CYCLE_1)
	s_xor_b32 s2, exec_lo, s3
	s_cbranch_execz .LBB124_36
; %bb.35:
	v_dual_mov_b32 v19, v2 :: v_dual_ashrrev_i32 v7, 31, v6
	s_delay_alu instid0(VALU_DEP_1)
	v_pk_mul_f32 v[4:5], v[22:23], v[18:19] op_sel_hi:[0,1]
	v_pk_mul_f32 v[20:21], v[20:21], v[18:19] op_sel_hi:[0,1]
	;; [unrolled: 1-line block ×4, first 2 shown]
	s_wait_kmcnt 0x0
	v_lshl_add_u64 v[18:19], v[6:7], 3, s[0:1]
	v_pk_fma_f32 v[4:5], v[2:3], v[0:1], v[4:5] op_sel_hi:[1,0,1]
	v_pk_fma_f32 v[6:7], v[2:3], v[8:9], v[20:21] op_sel_hi:[1,0,1]
	;; [unrolled: 1-line block ×4, first 2 shown]
                                        ; implicit-def: $vgpr22
                                        ; implicit-def: $vgpr8
                                        ; implicit-def: $vgpr20
                                        ; implicit-def: $vgpr10
                                        ; implicit-def: $vgpr16
                                        ; implicit-def: $vgpr12
                                        ; implicit-def: $vgpr14
	s_clause 0x1
	global_store_b128 v[18:19], v[4:7], off
	global_store_b128 v[18:19], v[0:3], off offset:16
                                        ; implicit-def: $vgpr0
                                        ; implicit-def: $vgpr2_vgpr3
                                        ; implicit-def: $vgpr4_vgpr5
                                        ; implicit-def: $vgpr18
                                        ; implicit-def: $vgpr6
.LBB124_36:
	s_wait_xcnt 0x0
	s_and_not1_saveexec_b32 s2, s2
	s_cbranch_execz .LBB124_6
; %bb.37:
	v_dual_ashrrev_i32 v7, 31, v6 :: v_dual_mov_b32 v19, v2
	s_wait_kmcnt 0x0
	s_delay_alu instid0(VALU_DEP_1) | instskip(NEXT) | instid1(VALU_DEP_2)
	v_lshl_add_u64 v[32:33], v[6:7], 3, s[0:1]
	v_pk_mul_f32 v[6:7], v[22:23], v[18:19] op_sel_hi:[0,1]
	v_pk_mul_f32 v[20:21], v[20:21], v[18:19] op_sel_hi:[0,1]
	;; [unrolled: 1-line block ×4, first 2 shown]
	s_clause 0x1
	global_load_b128 v[24:27], v[32:33], off
	global_load_b128 v[28:31], v[32:33], off offset:16
	v_pk_fma_f32 v[0:1], v[2:3], v[0:1], v[6:7] op_sel_hi:[1,0,1]
	v_pk_fma_f32 v[6:7], v[2:3], v[8:9], v[20:21] op_sel_hi:[1,0,1]
	;; [unrolled: 1-line block ×4, first 2 shown]
	v_xor_b32_e32 v22, 0x80000000, v5
	s_wait_loadcnt 0x1
	v_dual_mov_b32 v23, v4 :: v_dual_mov_b32 v10, v27
	v_pk_fma_f32 v[0:1], v[4:5], v[24:25], v[0:1] op_sel_hi:[1,0,1]
	v_pk_fma_f32 v[6:7], v[4:5], v[26:27], v[6:7] op_sel_hi:[1,0,1]
	s_wait_loadcnt 0x0
	v_pk_fma_f32 v[8:9], v[4:5], v[28:29], v[8:9] op_sel_hi:[1,0,1]
	v_pk_fma_f32 v[12:13], v[4:5], v[30:31], v[2:3] op_sel_hi:[1,0,1]
	v_mov_b32_e32 v14, v31
	v_pk_fma_f32 v[0:1], v[22:23], v[24:25], v[0:1] op_sel:[0,1,0]
	v_pk_fma_f32 v[2:3], v[22:23], v[10:11], v[6:7] op_sel_hi:[1,0,1]
	v_pk_fma_f32 v[4:5], v[22:23], v[28:29], v[8:9] op_sel:[0,1,0]
	s_delay_alu instid0(VALU_DEP_4)
	v_pk_fma_f32 v[6:7], v[22:23], v[14:15], v[12:13] op_sel_hi:[1,0,1]
	s_clause 0x1
	global_store_b128 v[32:33], v[0:3], off
	global_store_b128 v[32:33], v[4:7], off offset:16
	s_sendmsg sendmsg(MSG_DEALLOC_VGPRS)
	s_endpgm
	.section	.rodata,"a",@progbits
	.p2align	6, 0x0
	.amdhsa_kernel _ZN9rocsparseL18bsrxmvn_4x4_kernelILj128ELj64E21rocsparse_complex_numIfEiifS2_S2_EEvT3_20rocsparse_direction_NS_24const_host_device_scalarIT1_EES3_PKS3_PKT2_SC_S9_PKT4_PKT5_S7_PT6_21rocsparse_index_base_b
		.amdhsa_group_segment_fixed_size 0
		.amdhsa_private_segment_fixed_size 0
		.amdhsa_kernarg_size 96
		.amdhsa_user_sgpr_count 2
		.amdhsa_user_sgpr_dispatch_ptr 0
		.amdhsa_user_sgpr_queue_ptr 0
		.amdhsa_user_sgpr_kernarg_segment_ptr 1
		.amdhsa_user_sgpr_dispatch_id 0
		.amdhsa_user_sgpr_kernarg_preload_length 0
		.amdhsa_user_sgpr_kernarg_preload_offset 0
		.amdhsa_user_sgpr_private_segment_size 0
		.amdhsa_wavefront_size32 1
		.amdhsa_uses_dynamic_stack 0
		.amdhsa_enable_private_segment 0
		.amdhsa_system_sgpr_workgroup_id_x 1
		.amdhsa_system_sgpr_workgroup_id_y 0
		.amdhsa_system_sgpr_workgroup_id_z 0
		.amdhsa_system_sgpr_workgroup_info 0
		.amdhsa_system_vgpr_workitem_id 0
		.amdhsa_next_free_vgpr 74
		.amdhsa_next_free_sgpr 16
		.amdhsa_named_barrier_count 0
		.amdhsa_reserve_vcc 1
		.amdhsa_float_round_mode_32 0
		.amdhsa_float_round_mode_16_64 0
		.amdhsa_float_denorm_mode_32 3
		.amdhsa_float_denorm_mode_16_64 3
		.amdhsa_fp16_overflow 0
		.amdhsa_memory_ordered 1
		.amdhsa_forward_progress 1
		.amdhsa_inst_pref_size 67
		.amdhsa_round_robin_scheduling 0
		.amdhsa_exception_fp_ieee_invalid_op 0
		.amdhsa_exception_fp_denorm_src 0
		.amdhsa_exception_fp_ieee_div_zero 0
		.amdhsa_exception_fp_ieee_overflow 0
		.amdhsa_exception_fp_ieee_underflow 0
		.amdhsa_exception_fp_ieee_inexact 0
		.amdhsa_exception_int_div_zero 0
	.end_amdhsa_kernel
	.section	.text._ZN9rocsparseL18bsrxmvn_4x4_kernelILj128ELj64E21rocsparse_complex_numIfEiifS2_S2_EEvT3_20rocsparse_direction_NS_24const_host_device_scalarIT1_EES3_PKS3_PKT2_SC_S9_PKT4_PKT5_S7_PT6_21rocsparse_index_base_b,"axG",@progbits,_ZN9rocsparseL18bsrxmvn_4x4_kernelILj128ELj64E21rocsparse_complex_numIfEiifS2_S2_EEvT3_20rocsparse_direction_NS_24const_host_device_scalarIT1_EES3_PKS3_PKT2_SC_S9_PKT4_PKT5_S7_PT6_21rocsparse_index_base_b,comdat
.Lfunc_end124:
	.size	_ZN9rocsparseL18bsrxmvn_4x4_kernelILj128ELj64E21rocsparse_complex_numIfEiifS2_S2_EEvT3_20rocsparse_direction_NS_24const_host_device_scalarIT1_EES3_PKS3_PKT2_SC_S9_PKT4_PKT5_S7_PT6_21rocsparse_index_base_b, .Lfunc_end124-_ZN9rocsparseL18bsrxmvn_4x4_kernelILj128ELj64E21rocsparse_complex_numIfEiifS2_S2_EEvT3_20rocsparse_direction_NS_24const_host_device_scalarIT1_EES3_PKS3_PKT2_SC_S9_PKT4_PKT5_S7_PT6_21rocsparse_index_base_b
                                        ; -- End function
	.set _ZN9rocsparseL18bsrxmvn_4x4_kernelILj128ELj64E21rocsparse_complex_numIfEiifS2_S2_EEvT3_20rocsparse_direction_NS_24const_host_device_scalarIT1_EES3_PKS3_PKT2_SC_S9_PKT4_PKT5_S7_PT6_21rocsparse_index_base_b.num_vgpr, 74
	.set _ZN9rocsparseL18bsrxmvn_4x4_kernelILj128ELj64E21rocsparse_complex_numIfEiifS2_S2_EEvT3_20rocsparse_direction_NS_24const_host_device_scalarIT1_EES3_PKS3_PKT2_SC_S9_PKT4_PKT5_S7_PT6_21rocsparse_index_base_b.num_agpr, 0
	.set _ZN9rocsparseL18bsrxmvn_4x4_kernelILj128ELj64E21rocsparse_complex_numIfEiifS2_S2_EEvT3_20rocsparse_direction_NS_24const_host_device_scalarIT1_EES3_PKS3_PKT2_SC_S9_PKT4_PKT5_S7_PT6_21rocsparse_index_base_b.numbered_sgpr, 16
	.set _ZN9rocsparseL18bsrxmvn_4x4_kernelILj128ELj64E21rocsparse_complex_numIfEiifS2_S2_EEvT3_20rocsparse_direction_NS_24const_host_device_scalarIT1_EES3_PKS3_PKT2_SC_S9_PKT4_PKT5_S7_PT6_21rocsparse_index_base_b.num_named_barrier, 0
	.set _ZN9rocsparseL18bsrxmvn_4x4_kernelILj128ELj64E21rocsparse_complex_numIfEiifS2_S2_EEvT3_20rocsparse_direction_NS_24const_host_device_scalarIT1_EES3_PKS3_PKT2_SC_S9_PKT4_PKT5_S7_PT6_21rocsparse_index_base_b.private_seg_size, 0
	.set _ZN9rocsparseL18bsrxmvn_4x4_kernelILj128ELj64E21rocsparse_complex_numIfEiifS2_S2_EEvT3_20rocsparse_direction_NS_24const_host_device_scalarIT1_EES3_PKS3_PKT2_SC_S9_PKT4_PKT5_S7_PT6_21rocsparse_index_base_b.uses_vcc, 1
	.set _ZN9rocsparseL18bsrxmvn_4x4_kernelILj128ELj64E21rocsparse_complex_numIfEiifS2_S2_EEvT3_20rocsparse_direction_NS_24const_host_device_scalarIT1_EES3_PKS3_PKT2_SC_S9_PKT4_PKT5_S7_PT6_21rocsparse_index_base_b.uses_flat_scratch, 1
	.set _ZN9rocsparseL18bsrxmvn_4x4_kernelILj128ELj64E21rocsparse_complex_numIfEiifS2_S2_EEvT3_20rocsparse_direction_NS_24const_host_device_scalarIT1_EES3_PKS3_PKT2_SC_S9_PKT4_PKT5_S7_PT6_21rocsparse_index_base_b.has_dyn_sized_stack, 0
	.set _ZN9rocsparseL18bsrxmvn_4x4_kernelILj128ELj64E21rocsparse_complex_numIfEiifS2_S2_EEvT3_20rocsparse_direction_NS_24const_host_device_scalarIT1_EES3_PKS3_PKT2_SC_S9_PKT4_PKT5_S7_PT6_21rocsparse_index_base_b.has_recursion, 0
	.set _ZN9rocsparseL18bsrxmvn_4x4_kernelILj128ELj64E21rocsparse_complex_numIfEiifS2_S2_EEvT3_20rocsparse_direction_NS_24const_host_device_scalarIT1_EES3_PKS3_PKT2_SC_S9_PKT4_PKT5_S7_PT6_21rocsparse_index_base_b.has_indirect_call, 0
	.section	.AMDGPU.csdata,"",@progbits
; Kernel info:
; codeLenInByte = 8488
; TotalNumSgprs: 18
; NumVgprs: 74
; ScratchSize: 0
; MemoryBound: 0
; FloatMode: 240
; IeeeMode: 1
; LDSByteSize: 0 bytes/workgroup (compile time only)
; SGPRBlocks: 0
; VGPRBlocks: 4
; NumSGPRsForWavesPerEU: 18
; NumVGPRsForWavesPerEU: 74
; NamedBarCnt: 0
; Occupancy: 12
; WaveLimiterHint : 1
; COMPUTE_PGM_RSRC2:SCRATCH_EN: 0
; COMPUTE_PGM_RSRC2:USER_SGPR: 2
; COMPUTE_PGM_RSRC2:TRAP_HANDLER: 0
; COMPUTE_PGM_RSRC2:TGID_X_EN: 1
; COMPUTE_PGM_RSRC2:TGID_Y_EN: 0
; COMPUTE_PGM_RSRC2:TGID_Z_EN: 0
; COMPUTE_PGM_RSRC2:TIDIG_COMP_CNT: 0
	.section	.text._ZN9rocsparseL18bsrxmvn_4x4_kernelILj128ELj4E21rocsparse_complex_numIfElifS2_S2_EEvT3_20rocsparse_direction_NS_24const_host_device_scalarIT1_EES3_PKS3_PKT2_SC_S9_PKT4_PKT5_S7_PT6_21rocsparse_index_base_b,"axG",@progbits,_ZN9rocsparseL18bsrxmvn_4x4_kernelILj128ELj4E21rocsparse_complex_numIfElifS2_S2_EEvT3_20rocsparse_direction_NS_24const_host_device_scalarIT1_EES3_PKS3_PKT2_SC_S9_PKT4_PKT5_S7_PT6_21rocsparse_index_base_b,comdat
	.globl	_ZN9rocsparseL18bsrxmvn_4x4_kernelILj128ELj4E21rocsparse_complex_numIfElifS2_S2_EEvT3_20rocsparse_direction_NS_24const_host_device_scalarIT1_EES3_PKS3_PKT2_SC_S9_PKT4_PKT5_S7_PT6_21rocsparse_index_base_b ; -- Begin function _ZN9rocsparseL18bsrxmvn_4x4_kernelILj128ELj4E21rocsparse_complex_numIfElifS2_S2_EEvT3_20rocsparse_direction_NS_24const_host_device_scalarIT1_EES3_PKS3_PKT2_SC_S9_PKT4_PKT5_S7_PT6_21rocsparse_index_base_b
	.p2align	8
	.type	_ZN9rocsparseL18bsrxmvn_4x4_kernelILj128ELj4E21rocsparse_complex_numIfElifS2_S2_EEvT3_20rocsparse_direction_NS_24const_host_device_scalarIT1_EES3_PKS3_PKT2_SC_S9_PKT4_PKT5_S7_PT6_21rocsparse_index_base_b,@function
_ZN9rocsparseL18bsrxmvn_4x4_kernelILj128ELj4E21rocsparse_complex_numIfElifS2_S2_EEvT3_20rocsparse_direction_NS_24const_host_device_scalarIT1_EES3_PKS3_PKT2_SC_S9_PKT4_PKT5_S7_PT6_21rocsparse_index_base_b: ; @_ZN9rocsparseL18bsrxmvn_4x4_kernelILj128ELj4E21rocsparse_complex_numIfElifS2_S2_EEvT3_20rocsparse_direction_NS_24const_host_device_scalarIT1_EES3_PKS3_PKT2_SC_S9_PKT4_PKT5_S7_PT6_21rocsparse_index_base_b
; %bb.0:
	s_clause 0x2
	s_load_b64 s[12:13], s[0:1], 0x58
	s_load_b64 s[2:3], s[0:1], 0x8
	;; [unrolled: 1-line block ×3, first 2 shown]
	v_mov_b32_e32 v1, 0
	s_add_nc_u64 s[6:7], s[0:1], 8
	s_add_nc_u64 s[8:9], s[0:1], 0x48
	s_wait_kmcnt 0x0
	s_bitcmp1_b32 s13, 0
	s_cselect_b32 s3, s7, s3
	s_cselect_b32 s2, s6, s2
	;; [unrolled: 1-line block ×4, first 2 shown]
	s_clause 0x1
	flat_load_b64 v[2:3], v1, s[2:3]
	flat_load_b64 v[4:5], v1, s[4:5]
	s_wait_loadcnt_dscnt 0x101
	v_cmp_neq_f32_e32 vcc_lo, 0, v2
	v_cmp_neq_f32_e64 s3, 0, v3
	s_wait_loadcnt_dscnt 0x0
	v_cmp_neq_f32_e64 s4, 1.0, v4
	v_cmp_neq_f32_e64 s2, 0, v5
	s_or_b32 s5, vcc_lo, s3
	s_mov_b32 s3, 0
	s_or_b32 s4, s4, s2
	s_delay_alu instid0(SALU_CYCLE_1) | instskip(NEXT) | instid1(SALU_CYCLE_1)
	s_or_b32 s4, s5, s4
	s_and_saveexec_b32 s5, s4
	s_cbranch_execz .LBB125_6
; %bb.1:
	s_clause 0x1
	s_load_b64 s[4:5], s[0:1], 0x18
	s_load_b64 s[14:15], s[0:1], 0x0
	s_bfe_u32 s6, ttmp6, 0x4000c
	s_and_b32 s7, ttmp6, 15
	s_add_co_i32 s6, s6, 1
	s_getreg_b32 s8, hwreg(HW_REG_IB_STS2, 6, 4)
	s_mul_i32 s6, ttmp9, s6
	v_lshrrev_b32_e32 v1, 2, v0
	s_add_co_i32 s7, s7, s6
	s_cmp_eq_u32 s8, 0
	s_cselect_b32 s6, ttmp9, s7
	s_delay_alu instid0(VALU_DEP_1) | instid1(SALU_CYCLE_1)
	v_lshl_or_b32 v6, s6, 5, v1
	s_wait_kmcnt 0x0
	s_cmp_lg_u64 s[4:5], 0
	s_cbranch_scc0 .LBB125_7
; %bb.2:
	s_load_b32 s3, s[0:1], 0x10
	s_mov_b32 s6, 0
                                        ; implicit-def: $vgpr1
	s_wait_kmcnt 0x0
	v_cmp_gt_i32_e32 vcc_lo, s3, v6
	s_mov_b32 s3, 0
	s_and_saveexec_b32 s7, vcc_lo
	s_delay_alu instid0(SALU_CYCLE_1)
	s_xor_b32 s7, exec_lo, s7
	s_cbranch_execz .LBB125_4
; %bb.3:
	global_load_b32 v1, v6, s[4:5] scale_offset
	s_mov_b32 s3, exec_lo
	s_wait_loadcnt 0x0
	v_subrev_nc_u32_e32 v1, s12, v1
.LBB125_4:
	s_or_b32 exec_lo, exec_lo, s7
	s_delay_alu instid0(SALU_CYCLE_1)
	s_and_b32 vcc_lo, exec_lo, s6
	s_cbranch_vccz .LBB125_8
.LBB125_5:
	v_cmp_gt_i32_e32 vcc_lo, s14, v6
	s_and_not1_b32 s3, s3, exec_lo
	s_and_b32 s4, vcc_lo, exec_lo
	s_delay_alu instid0(SALU_CYCLE_1) | instskip(NEXT) | instid1(SALU_CYCLE_1)
	s_or_b32 s3, s3, s4
	s_and_b32 exec_lo, exec_lo, s3
	s_cbranch_execnz .LBB125_9
.LBB125_6:
	s_sendmsg sendmsg(MSG_DEALLOC_VGPRS)
	s_endpgm
.LBB125_7:
                                        ; implicit-def: $vgpr1
	s_cbranch_execnz .LBB125_5
.LBB125_8:
	s_delay_alu instid0(VALU_DEP_1)
	v_mov_b32_e32 v6, v1
	s_and_b32 exec_lo, exec_lo, s3
	s_cbranch_execz .LBB125_6
.LBB125_9:
	s_load_b256 s[4:11], s[0:1], 0x20
	s_mov_b32 s13, 0
	v_dual_mov_b32 v1, 0 :: v_dual_bitop2_b32 v0, 3, v0 bitop3:0x40
	s_wait_kmcnt 0x0
	s_cmp_eq_u64 s[6:7], 0
	global_load_b64 v[22:23], v6, s[4:5] scale_offset
	s_cselect_b32 vcc_lo, -1, 0
	v_ashrrev_i32_e32 v7, 31, v6
	s_cmp_eq_u32 s15, 1
	s_delay_alu instid0(VALU_DEP_1) | instskip(NEXT) | instid1(VALU_DEP_1)
	v_lshlrev_b64_e32 v[8:9], 3, v[6:7]
	v_add_nc_u64_e32 v[10:11], s[4:5], v[8:9]
	v_add_nc_u64_e32 v[8:9], s[6:7], v[8:9]
	s_wait_xcnt 0x0
	s_load_b64 s[4:5], s[0:1], 0x40
	s_delay_alu instid0(VALU_DEP_2) | instskip(NEXT) | instid1(VALU_DEP_1)
	v_add_nc_u64_e32 v[10:11], 8, v[10:11]
	v_dual_cndmask_b32 v9, v9, v11 :: v_dual_cndmask_b32 v8, v8, v10
	global_load_b64 v[10:11], v[8:9], off
	s_wait_loadcnt 0x1
	s_wait_xcnt 0x0
	v_sub_nc_u64_e64 v[8:9], v[22:23], s[12:13]
	s_delay_alu instid0(VALU_DEP_1) | instskip(NEXT) | instid1(VALU_DEP_1)
	v_add_nc_u64_e32 v[8:9], v[8:9], v[0:1]
	v_lshlrev_b64_e32 v[12:13], 6, v[8:9]
	s_delay_alu instid0(VALU_DEP_1) | instskip(SKIP_2) | instid1(VALU_DEP_1)
	v_add_nc_u64_e32 v[12:13], s[10:11], v[12:13]
	s_wait_loadcnt 0x0
	v_sub_nc_u64_e64 v[10:11], v[10:11], s[12:13]
	v_cmp_lt_i64_e64 s3, v[8:9], v[10:11]
	s_cbranch_scc1 .LBB125_21
; %bb.10:
	v_dual_mov_b32 v15, v1 :: v_dual_mov_b32 v14, v1
	v_dual_mov_b32 v17, v1 :: v_dual_mov_b32 v16, v1
	;; [unrolled: 1-line block ×4, first 2 shown]
	s_and_saveexec_b32 s6, s3
	s_cbranch_execz .LBB125_20
; %bb.11:
	v_dual_mov_b32 v15, v1 :: v_dual_bitop2_b32 v14, 4, v0 bitop3:0x54
	v_sub_nc_u64_e32 v[16:17], s[12:13], v[0:1]
	v_not_b32_e32 v19, v23
	v_not_b32_e32 v18, v22
	v_mov_b64_e32 v[24:25], v[12:13]
	v_sub_nc_u64_e64 v[14:15], v[14:15], s[12:13]
	v_mov_b64_e32 v[26:27], v[8:9]
	s_delay_alu instid0(VALU_DEP_4) | instskip(NEXT) | instid1(VALU_DEP_3)
	v_add_nc_u64_e32 v[16:17], v[16:17], v[18:19]
	v_add_nc_u64_e32 v[14:15], v[14:15], v[22:23]
	s_delay_alu instid0(VALU_DEP_1) | instskip(NEXT) | instid1(VALU_DEP_1)
	v_max_i64 v[14:15], v[14:15], v[10:11]
	v_add_nc_u64_e32 v[28:29], v[16:17], v[14:15]
	s_delay_alu instid0(VALU_DEP_1) | instskip(NEXT) | instid1(VALU_DEP_1)
	v_dual_mov_b32 v19, 0 :: v_dual_bitop2_b32 v18, 12, v28 bitop3:0x40
	v_dual_mov_b32 v20, v19 :: v_dual_mov_b32 v21, v19
	v_dual_mov_b32 v16, v19 :: v_dual_mov_b32 v17, v19
	s_delay_alu instid0(VALU_DEP_3)
	v_cmp_ne_u64_e32 vcc_lo, 12, v[18:19]
	v_dual_mov_b32 v14, v19 :: v_dual_mov_b32 v18, v19
	v_mov_b32_e32 v15, v19
	s_and_saveexec_b32 s7, vcc_lo
	s_cbranch_execz .LBB125_15
; %bb.12:
	v_dual_lshrrev_b32 v7, 2, v28 :: v_dual_mov_b32 v31, 0
	v_mov_b64_e32 v[26:27], v[8:9]
	v_mov_b64_e32 v[24:25], v[12:13]
	v_lshl_add_u64 v[32:33], v[8:9], 2, s[8:9]
	s_delay_alu instid0(VALU_DEP_4) | instskip(SKIP_2) | instid1(VALU_DEP_3)
	v_dual_mov_b32 v18, v31 :: v_dual_add_nc_u32 v7, 1, v7
	v_bfrev_b32_e32 v34, 1
	v_dual_mov_b32 v20, v31 :: v_dual_mov_b32 v21, v31
	v_dual_mov_b32 v19, v31 :: v_dual_bitop2_b32 v30, 3, v7 bitop3:0x40
	v_dual_mov_b32 v16, v31 :: v_dual_mov_b32 v17, v31
	v_dual_mov_b32 v14, v31 :: v_dual_mov_b32 v15, v31
	s_delay_alu instid0(VALU_DEP_3)
	v_sub_nc_u64_e32 v[36:37], 0, v[30:31]
	s_mov_b32 s10, 0
.LBB125_13:                             ; =>This Inner Loop Header: Depth=1
	global_load_b32 v7, v[32:33], off
	s_clause 0x1
	global_load_b128 v[38:41], v[24:25], off offset:16
	global_load_b128 v[42:45], v[24:25], off
	v_add_nc_u64_e32 v[36:37], 1, v[36:37]
	v_add_nc_u64_e32 v[26:27], 4, v[26:27]
	s_wait_xcnt 0x2
	v_add_nc_u64_e32 v[32:33], 16, v[32:33]
	s_delay_alu instid0(VALU_DEP_3)
	v_cmp_eq_u64_e32 vcc_lo, 0, v[36:37]
	s_or_b32 s10, vcc_lo, s10
	s_wait_loadcnt 0x2
	v_subrev_nc_u32_e32 v7, s12, v7
	s_wait_loadcnt 0x0
	v_dual_mov_b32 v30, v42 :: v_dual_mov_b32 v35, v42
	s_delay_alu instid0(VALU_DEP_2) | instskip(NEXT) | instid1(VALU_DEP_1)
	v_lshlrev_b32_e32 v46, 2, v7
	v_ashrrev_i32_e32 v47, 31, v46
	s_wait_kmcnt 0x0
	s_delay_alu instid0(VALU_DEP_1)
	v_lshl_add_u64 v[62:63], v[46:47], 3, s[4:5]
	s_clause 0x1
	global_load_b128 v[46:49], v[62:63], off
	global_load_b128 v[50:53], v[62:63], off offset:16
	s_clause 0x1
	global_load_b128 v[54:57], v[24:25], off offset:32
	global_load_b128 v[58:61], v[24:25], off offset:48
	s_wait_xcnt 0x0
	v_add_nc_u64_e32 v[24:25], 0x100, v[24:25]
	s_wait_loadcnt 0x3
	v_pk_fma_f32 v[14:15], v[46:47], v[30:31], v[14:15] op_sel_hi:[0,1,1]
	v_dual_mov_b32 v30, v43 :: v_dual_mov_b32 v42, v49
	s_wait_loadcnt 0x2
	v_mov_b32_e32 v62, v53
	s_delay_alu instid0(VALU_DEP_3) | instskip(SKIP_1) | instid1(VALU_DEP_2)
	v_pk_fma_f32 v[14:15], v[46:47], v[34:35], v[14:15] op_sel:[1,0,0]
	v_mov_b32_e32 v35, v43
	v_pk_fma_f32 v[14:15], v[48:49], v[30:31], v[14:15] op_sel_hi:[0,1,1]
	v_mov_b32_e32 v30, v44
	s_delay_alu instid0(VALU_DEP_2) | instskip(SKIP_1) | instid1(VALU_DEP_2)
	v_pk_fma_f32 v[14:15], v[42:43], v[34:35], v[14:15] op_sel_hi:[0,1,1]
	v_mov_b32_e32 v35, v44
	v_pk_fma_f32 v[14:15], v[50:51], v[30:31], v[14:15] op_sel_hi:[0,1,1]
	v_mov_b32_e32 v30, v45
	s_delay_alu instid0(VALU_DEP_2) | instskip(SKIP_1) | instid1(VALU_DEP_2)
	v_pk_fma_f32 v[14:15], v[50:51], v[34:35], v[14:15] op_sel:[1,0,0]
	v_mov_b32_e32 v35, v45
	v_pk_fma_f32 v[14:15], v[52:53], v[30:31], v[14:15] op_sel_hi:[0,1,1]
	v_mov_b32_e32 v30, v38
	s_delay_alu instid0(VALU_DEP_2) | instskip(SKIP_1) | instid1(VALU_DEP_3)
	v_pk_fma_f32 v[14:15], v[62:63], v[34:35], v[14:15] op_sel_hi:[0,1,1]
	v_mov_b32_e32 v35, v38
	v_pk_fma_f32 v[16:17], v[46:47], v[30:31], v[16:17] op_sel_hi:[0,1,1]
	v_mov_b32_e32 v30, v39
	s_delay_alu instid0(VALU_DEP_2) | instskip(SKIP_1) | instid1(VALU_DEP_2)
	v_pk_fma_f32 v[16:17], v[46:47], v[34:35], v[16:17] op_sel:[1,0,0]
	v_mov_b32_e32 v35, v39
	v_pk_fma_f32 v[16:17], v[48:49], v[30:31], v[16:17] op_sel_hi:[0,1,1]
	v_mov_b32_e32 v30, v40
	s_delay_alu instid0(VALU_DEP_2) | instskip(SKIP_1) | instid1(VALU_DEP_2)
	v_pk_fma_f32 v[16:17], v[42:43], v[34:35], v[16:17] op_sel_hi:[0,1,1]
	v_mov_b32_e32 v35, v40
	v_pk_fma_f32 v[16:17], v[50:51], v[30:31], v[16:17] op_sel_hi:[0,1,1]
	v_mov_b32_e32 v30, v41
	s_delay_alu instid0(VALU_DEP_2) | instskip(SKIP_1) | instid1(VALU_DEP_2)
	v_pk_fma_f32 v[16:17], v[50:51], v[34:35], v[16:17] op_sel:[1,0,0]
	v_mov_b32_e32 v35, v41
	v_pk_fma_f32 v[16:17], v[52:53], v[30:31], v[16:17] op_sel_hi:[0,1,1]
	s_wait_loadcnt 0x1
	v_mov_b32_e32 v30, v54
	s_delay_alu instid0(VALU_DEP_2) | instskip(SKIP_1) | instid1(VALU_DEP_3)
	v_pk_fma_f32 v[16:17], v[62:63], v[34:35], v[16:17] op_sel_hi:[0,1,1]
	v_mov_b32_e32 v35, v54
	v_pk_fma_f32 v[20:21], v[46:47], v[30:31], v[20:21] op_sel_hi:[0,1,1]
	v_mov_b32_e32 v30, v55
	s_delay_alu instid0(VALU_DEP_2) | instskip(SKIP_1) | instid1(VALU_DEP_2)
	v_pk_fma_f32 v[20:21], v[46:47], v[34:35], v[20:21] op_sel:[1,0,0]
	v_mov_b32_e32 v35, v55
	v_pk_fma_f32 v[20:21], v[48:49], v[30:31], v[20:21] op_sel_hi:[0,1,1]
	v_mov_b32_e32 v30, v56
	s_delay_alu instid0(VALU_DEP_2) | instskip(SKIP_1) | instid1(VALU_DEP_2)
	v_pk_fma_f32 v[20:21], v[42:43], v[34:35], v[20:21] op_sel_hi:[0,1,1]
	v_mov_b32_e32 v35, v56
	v_pk_fma_f32 v[20:21], v[50:51], v[30:31], v[20:21] op_sel_hi:[0,1,1]
	v_mov_b32_e32 v30, v57
	s_delay_alu instid0(VALU_DEP_2) | instskip(SKIP_1) | instid1(VALU_DEP_2)
	v_pk_fma_f32 v[20:21], v[50:51], v[34:35], v[20:21] op_sel:[1,0,0]
	v_mov_b32_e32 v35, v57
	v_pk_fma_f32 v[20:21], v[52:53], v[30:31], v[20:21] op_sel_hi:[0,1,1]
	s_wait_loadcnt 0x0
	v_mov_b32_e32 v30, v58
	s_delay_alu instid0(VALU_DEP_2) | instskip(SKIP_1) | instid1(VALU_DEP_3)
	v_pk_fma_f32 v[20:21], v[62:63], v[34:35], v[20:21] op_sel_hi:[0,1,1]
	v_mov_b32_e32 v35, v58
	v_pk_fma_f32 v[18:19], v[46:47], v[30:31], v[18:19] op_sel_hi:[0,1,1]
	v_mov_b32_e32 v30, v59
	s_delay_alu instid0(VALU_DEP_2) | instskip(SKIP_1) | instid1(VALU_DEP_2)
	v_pk_fma_f32 v[18:19], v[46:47], v[34:35], v[18:19] op_sel:[1,0,0]
	v_mov_b32_e32 v35, v59
	v_pk_fma_f32 v[18:19], v[48:49], v[30:31], v[18:19] op_sel_hi:[0,1,1]
	v_mov_b32_e32 v30, v60
	s_delay_alu instid0(VALU_DEP_2) | instskip(SKIP_1) | instid1(VALU_DEP_2)
	v_pk_fma_f32 v[18:19], v[42:43], v[34:35], v[18:19] op_sel_hi:[0,1,1]
	v_mov_b32_e32 v35, v60
	v_pk_fma_f32 v[18:19], v[50:51], v[30:31], v[18:19] op_sel_hi:[0,1,1]
	v_mov_b32_e32 v30, v61
	s_delay_alu instid0(VALU_DEP_2) | instskip(SKIP_1) | instid1(VALU_DEP_2)
	v_pk_fma_f32 v[18:19], v[50:51], v[34:35], v[18:19] op_sel:[1,0,0]
	v_mov_b32_e32 v35, v61
	v_pk_fma_f32 v[18:19], v[52:53], v[30:31], v[18:19] op_sel_hi:[0,1,1]
	s_delay_alu instid0(VALU_DEP_1)
	v_pk_fma_f32 v[18:19], v[62:63], v[34:35], v[18:19] op_sel_hi:[0,1,1]
	s_and_not1_b32 exec_lo, exec_lo, s10
	s_cbranch_execnz .LBB125_13
; %bb.14:
	s_or_b32 exec_lo, exec_lo, s10
.LBB125_15:
	s_delay_alu instid0(SALU_CYCLE_1) | instskip(NEXT) | instid1(SALU_CYCLE_1)
	s_or_b32 exec_lo, exec_lo, s7
	s_mov_b32 s7, exec_lo
	v_cmpx_lt_u64_e32 11, v[28:29]
	s_cbranch_execz .LBB125_19
; %bb.16:
	v_lshl_add_u64 v[28:29], v[26:27], 2, s[8:9]
	v_mov_b32_e32 v31, 0
	v_bfrev_b32_e32 v32, 1
	s_mov_b32 s10, 0
	s_delay_alu instid0(VALU_DEP_3)
	v_add_nc_u64_e32 v[28:29], 32, v[28:29]
.LBB125_17:                             ; =>This Inner Loop Header: Depth=1
	s_clause 0x1
	global_load_b32 v7, v[28:29], off offset:-32
	global_load_b32 v30, v[28:29], off offset:-16
	s_clause 0x7
	global_load_b128 v[34:37], v[24:25], off
	global_load_b128 v[38:41], v[24:25], off offset:16
	global_load_b128 v[42:45], v[24:25], off offset:304
	global_load_b128 v[46:49], v[24:25], off offset:288
	global_load_b128 v[50:53], v[24:25], off offset:272
	global_load_b128 v[54:57], v[24:25], off offset:256
	global_load_b128 v[58:61], v[24:25], off offset:48
	global_load_b128 v[62:65], v[24:25], off offset:32
	s_clause 0x1
	global_load_b32 v94, v[28:29], off
	global_load_b32 v95, v[28:29], off offset:16
	global_load_b128 v[66:69], v[24:25], off offset:512
	v_add_nc_u64_e32 v[26:27], 16, v[26:27]
	s_wait_xcnt 0x1
	v_add_nc_u64_e32 v[28:29], 64, v[28:29]
	s_delay_alu instid0(VALU_DEP_2)
	v_cmp_ge_i64_e32 vcc_lo, v[26:27], v[10:11]
	s_or_b32 s10, vcc_lo, s10
	s_wait_loadcnt 0xc
	v_subrev_nc_u32_e32 v7, s12, v7
	s_wait_loadcnt 0xb
	v_subrev_nc_u32_e32 v71, s12, v30
	s_wait_loadcnt 0xa
	v_dual_mov_b32 v30, v34 :: v_dual_mov_b32 v33, v34
	s_delay_alu instid0(VALU_DEP_2) | instskip(SKIP_3) | instid1(VALU_DEP_2)
	v_lshlrev_b32_e32 v72, 2, v71
	v_lshlrev_b32_e32 v70, 2, v7
	s_wait_loadcnt 0x2
	v_subrev_nc_u32_e32 v7, s12, v94
	v_dual_ashrrev_i32 v73, 31, v72 :: v_dual_ashrrev_i32 v71, 31, v70
	s_wait_kmcnt 0x0
	s_delay_alu instid0(VALU_DEP_1) | instskip(NEXT) | instid1(VALU_DEP_2)
	v_lshl_add_u64 v[88:89], v[72:73], 3, s[4:5]
	v_lshl_add_u64 v[86:87], v[70:71], 3, s[4:5]
	s_clause 0x3
	global_load_b128 v[70:73], v[86:87], off
	global_load_b128 v[74:77], v[86:87], off offset:16
	global_load_b128 v[78:81], v[88:89], off
	global_load_b128 v[82:85], v[88:89], off offset:16
	s_wait_loadcnt 0x3
	v_pk_fma_f32 v[14:15], v[70:71], v[30:31], v[14:15] op_sel_hi:[0,1,1]
	s_wait_xcnt 0x2
	v_dual_mov_b32 v30, v35 :: v_dual_mov_b32 v86, v73
	s_wait_loadcnt 0x2
	s_wait_xcnt 0x0
	v_mov_b32_e32 v88, v77
	v_pk_fma_f32 v[14:15], v[70:71], v[32:33], v[14:15] op_sel:[1,0,0]
	v_mov_b32_e32 v33, v35
	s_delay_alu instid0(VALU_DEP_2) | instskip(SKIP_1) | instid1(VALU_DEP_2)
	v_pk_fma_f32 v[14:15], v[72:73], v[30:31], v[14:15] op_sel_hi:[0,1,1]
	v_mov_b32_e32 v30, v36
	v_pk_fma_f32 v[14:15], v[86:87], v[32:33], v[14:15] op_sel_hi:[0,1,1]
	v_mov_b32_e32 v33, v36
	s_delay_alu instid0(VALU_DEP_2) | instskip(SKIP_1) | instid1(VALU_DEP_2)
	v_pk_fma_f32 v[14:15], v[74:75], v[30:31], v[14:15] op_sel_hi:[0,1,1]
	v_mov_b32_e32 v30, v37
	v_pk_fma_f32 v[14:15], v[74:75], v[32:33], v[14:15] op_sel:[1,0,0]
	v_mov_b32_e32 v33, v37
	s_delay_alu instid0(VALU_DEP_2) | instskip(SKIP_1) | instid1(VALU_DEP_2)
	v_pk_fma_f32 v[14:15], v[76:77], v[30:31], v[14:15] op_sel_hi:[0,1,1]
	v_mov_b32_e32 v30, v54
	v_pk_fma_f32 v[14:15], v[88:89], v[32:33], v[14:15] op_sel_hi:[0,1,1]
	v_mov_b32_e32 v33, v54
	s_wait_loadcnt 0x1
	s_delay_alu instid0(VALU_DEP_2) | instskip(SKIP_1) | instid1(VALU_DEP_2)
	v_pk_fma_f32 v[14:15], v[78:79], v[30:31], v[14:15] op_sel_hi:[0,1,1]
	v_mov_b32_e32 v30, v38
	v_pk_fma_f32 v[90:91], v[78:79], v[32:33], v[14:15] op_sel:[1,0,0]
	v_mov_b32_e32 v33, v38
	s_delay_alu instid0(VALU_DEP_3) | instskip(SKIP_1) | instid1(VALU_DEP_2)
	v_pk_fma_f32 v[14:15], v[70:71], v[30:31], v[16:17] op_sel_hi:[0,1,1]
	v_mov_b32_e32 v30, v39
	v_pk_fma_f32 v[14:15], v[70:71], v[32:33], v[14:15] op_sel:[1,0,0]
	v_mov_b32_e32 v33, v39
	v_subrev_nc_u32_e32 v39, s12, v95
	s_delay_alu instid0(VALU_DEP_3) | instskip(SKIP_1) | instid1(VALU_DEP_2)
	v_pk_fma_f32 v[14:15], v[72:73], v[30:31], v[14:15] op_sel_hi:[0,1,1]
	v_mov_b32_e32 v30, v40
	v_pk_fma_f32 v[14:15], v[86:87], v[32:33], v[14:15] op_sel_hi:[0,1,1]
	s_delay_alu instid0(VALU_DEP_4) | instskip(SKIP_1) | instid1(VALU_DEP_3)
	v_dual_mov_b32 v33, v40 :: v_dual_lshlrev_b32 v40, 2, v39
	v_lshlrev_b32_e32 v38, 2, v7
	v_pk_fma_f32 v[14:15], v[74:75], v[30:31], v[14:15] op_sel_hi:[0,1,1]
	v_mov_b32_e32 v30, v41
	s_delay_alu instid0(VALU_DEP_2)
	v_pk_fma_f32 v[34:35], v[74:75], v[32:33], v[14:15] op_sel:[1,0,0]
	v_dual_mov_b32 v33, v41 :: v_dual_ashrrev_i32 v41, 31, v40
	v_ashrrev_i32_e32 v39, 31, v38
	global_load_b128 v[14:17], v[24:25], off offset:768
	v_pk_fma_f32 v[34:35], v[76:77], v[30:31], v[34:35] op_sel_hi:[0,1,1]
	v_mov_b32_e32 v30, v50
	v_lshl_add_u64 v[94:95], v[40:41], 3, s[4:5]
	s_delay_alu instid0(VALU_DEP_3) | instskip(SKIP_1) | instid1(VALU_DEP_2)
	v_pk_fma_f32 v[34:35], v[88:89], v[32:33], v[34:35] op_sel_hi:[0,1,1]
	v_mov_b32_e32 v33, v50
	v_pk_fma_f32 v[34:35], v[78:79], v[30:31], v[34:35] op_sel_hi:[0,1,1]
	v_mov_b32_e32 v30, v62
	s_delay_alu instid0(VALU_DEP_2) | instskip(SKIP_1) | instid1(VALU_DEP_3)
	v_pk_fma_f32 v[92:93], v[78:79], v[32:33], v[34:35] op_sel:[1,0,0]
	v_mov_b32_e32 v33, v62
	v_pk_fma_f32 v[20:21], v[70:71], v[30:31], v[20:21] op_sel_hi:[0,1,1]
	v_mov_b32_e32 v30, v63
	global_load_b128 v[34:37], v[24:25], off offset:528
	v_pk_fma_f32 v[20:21], v[70:71], v[32:33], v[20:21] op_sel:[1,0,0]
	v_mov_b32_e32 v33, v63
	v_lshl_add_u64 v[62:63], v[38:39], 3, s[4:5]
	s_delay_alu instid0(VALU_DEP_3) | instskip(SKIP_4) | instid1(VALU_DEP_2)
	v_pk_fma_f32 v[20:21], v[72:73], v[30:31], v[20:21] op_sel_hi:[0,1,1]
	v_mov_b32_e32 v30, v64
	global_load_b128 v[38:41], v[62:63], off
	v_pk_fma_f32 v[20:21], v[86:87], v[32:33], v[20:21] op_sel_hi:[0,1,1]
	v_mov_b32_e32 v33, v64
	v_pk_fma_f32 v[20:21], v[74:75], v[30:31], v[20:21] op_sel_hi:[0,1,1]
	v_mov_b32_e32 v30, v65
	s_delay_alu instid0(VALU_DEP_2) | instskip(SKIP_1) | instid1(VALU_DEP_2)
	v_pk_fma_f32 v[20:21], v[74:75], v[32:33], v[20:21] op_sel:[1,0,0]
	v_mov_b32_e32 v33, v65
	v_pk_fma_f32 v[20:21], v[76:77], v[30:31], v[20:21] op_sel_hi:[0,1,1]
	v_mov_b32_e32 v30, v46
	s_delay_alu instid0(VALU_DEP_2) | instskip(SKIP_1) | instid1(VALU_DEP_2)
	v_pk_fma_f32 v[20:21], v[88:89], v[32:33], v[20:21] op_sel_hi:[0,1,1]
	v_mov_b32_e32 v33, v46
	v_pk_fma_f32 v[20:21], v[78:79], v[30:31], v[20:21] op_sel_hi:[0,1,1]
	v_mov_b32_e32 v30, v58
	s_delay_alu instid0(VALU_DEP_2) | instskip(SKIP_1) | instid1(VALU_DEP_3)
	v_pk_fma_f32 v[96:97], v[78:79], v[32:33], v[20:21] op_sel:[1,0,0]
	v_mov_b32_e32 v33, v58
	v_pk_fma_f32 v[18:19], v[70:71], v[30:31], v[18:19] op_sel_hi:[0,1,1]
	v_mov_b32_e32 v30, v59
	s_delay_alu instid0(VALU_DEP_2) | instskip(SKIP_1) | instid1(VALU_DEP_2)
	v_pk_fma_f32 v[18:19], v[70:71], v[32:33], v[18:19] op_sel:[1,0,0]
	v_mov_b32_e32 v33, v59
	v_pk_fma_f32 v[18:19], v[72:73], v[30:31], v[18:19] op_sel_hi:[0,1,1]
	v_mov_b32_e32 v30, v60
	global_load_b128 v[70:73], v[94:95], off offset:16
	v_pk_fma_f32 v[18:19], v[86:87], v[32:33], v[18:19] op_sel_hi:[0,1,1]
	v_mov_b32_e32 v33, v60
	s_delay_alu instid0(VALU_DEP_2) | instskip(SKIP_1) | instid1(VALU_DEP_2)
	v_pk_fma_f32 v[18:19], v[74:75], v[30:31], v[18:19] op_sel_hi:[0,1,1]
	v_mov_b32_e32 v30, v61
	v_pk_fma_f32 v[18:19], v[74:75], v[32:33], v[18:19] op_sel:[1,0,0]
	v_mov_b32_e32 v33, v61
	s_clause 0x1
	global_load_b128 v[58:61], v[94:95], off
	global_load_b128 v[62:65], v[62:63], off offset:16
	v_mov_b32_e32 v74, v81
	v_pk_fma_f32 v[18:19], v[76:77], v[30:31], v[18:19] op_sel_hi:[0,1,1]
	s_wait_loadcnt 0x6
	v_dual_mov_b32 v30, v42 :: v_dual_mov_b32 v76, v85
	s_delay_alu instid0(VALU_DEP_2) | instskip(SKIP_1) | instid1(VALU_DEP_2)
	v_pk_fma_f32 v[18:19], v[88:89], v[32:33], v[18:19] op_sel_hi:[0,1,1]
	v_mov_b32_e32 v33, v42
	v_pk_fma_f32 v[18:19], v[78:79], v[30:31], v[18:19] op_sel_hi:[0,1,1]
	v_mov_b32_e32 v30, v55
	s_delay_alu instid0(VALU_DEP_2) | instskip(SKIP_1) | instid1(VALU_DEP_3)
	v_pk_fma_f32 v[78:79], v[78:79], v[32:33], v[18:19] op_sel:[1,0,0]
	v_mov_b32_e32 v33, v55
	v_pk_fma_f32 v[18:19], v[80:81], v[30:31], v[90:91] op_sel_hi:[0,1,1]
	v_mov_b32_e32 v30, v56
	s_delay_alu instid0(VALU_DEP_2) | instskip(SKIP_1) | instid1(VALU_DEP_2)
	v_pk_fma_f32 v[18:19], v[74:75], v[32:33], v[18:19] op_sel_hi:[0,1,1]
	v_mov_b32_e32 v33, v56
	v_pk_fma_f32 v[18:19], v[82:83], v[30:31], v[18:19] op_sel_hi:[0,1,1]
	v_mov_b32_e32 v30, v57
	s_delay_alu instid0(VALU_DEP_2) | instskip(SKIP_1) | instid1(VALU_DEP_2)
	v_pk_fma_f32 v[18:19], v[82:83], v[32:33], v[18:19] op_sel:[1,0,0]
	v_mov_b32_e32 v33, v57
	v_pk_fma_f32 v[18:19], v[84:85], v[30:31], v[18:19] op_sel_hi:[0,1,1]
	v_mov_b32_e32 v30, v66
	s_delay_alu instid0(VALU_DEP_2) | instskip(SKIP_2) | instid1(VALU_DEP_2)
	v_pk_fma_f32 v[18:19], v[76:77], v[32:33], v[18:19] op_sel_hi:[0,1,1]
	s_wait_loadcnt 0x3
	v_dual_mov_b32 v33, v66 :: v_dual_mov_b32 v42, v41
	v_pk_fma_f32 v[18:19], v[38:39], v[30:31], v[18:19] op_sel_hi:[0,1,1]
	v_mov_b32_e32 v30, v67
	s_delay_alu instid0(VALU_DEP_2) | instskip(SKIP_1) | instid1(VALU_DEP_2)
	v_pk_fma_f32 v[18:19], v[38:39], v[32:33], v[18:19] op_sel:[1,0,0]
	v_mov_b32_e32 v33, v67
	v_pk_fma_f32 v[18:19], v[40:41], v[30:31], v[18:19] op_sel_hi:[0,1,1]
	v_mov_b32_e32 v30, v68
	s_delay_alu instid0(VALU_DEP_2)
	v_pk_fma_f32 v[18:19], v[42:43], v[32:33], v[18:19] op_sel_hi:[0,1,1]
	s_wait_loadcnt 0x2
	v_dual_mov_b32 v33, v68 :: v_dual_mov_b32 v86, v73
	s_wait_loadcnt 0x1
	v_mov_b32_e32 v68, v61
	s_wait_loadcnt 0x0
	v_pk_fma_f32 v[18:19], v[30:31], v[62:63], v[18:19] op_sel_hi:[1,0,1]
	v_dual_mov_b32 v30, v69 :: v_dual_mov_b32 v66, v65
	s_delay_alu instid0(VALU_DEP_2) | instskip(SKIP_4) | instid1(VALU_DEP_2)
	v_pk_fma_f32 v[54:55], v[62:63], v[32:33], v[18:19] op_sel:[1,0,0]
	global_load_b128 v[18:21], v[24:25], off offset:784
	v_mov_b32_e32 v33, v69
	v_pk_fma_f32 v[54:55], v[64:65], v[30:31], v[54:55] op_sel_hi:[0,1,1]
	v_mov_b32_e32 v30, v14
	v_pk_fma_f32 v[54:55], v[66:67], v[32:33], v[54:55] op_sel_hi:[0,1,1]
	v_mov_b32_e32 v33, v14
	s_delay_alu instid0(VALU_DEP_2) | instskip(SKIP_1) | instid1(VALU_DEP_2)
	v_pk_fma_f32 v[54:55], v[58:59], v[30:31], v[54:55] op_sel_hi:[0,1,1]
	v_mov_b32_e32 v30, v15
	v_pk_fma_f32 v[54:55], v[58:59], v[32:33], v[54:55] op_sel:[1,0,0]
	v_mov_b32_e32 v33, v15
	s_delay_alu instid0(VALU_DEP_2) | instskip(SKIP_4) | instid1(VALU_DEP_2)
	v_pk_fma_f32 v[14:15], v[60:61], v[30:31], v[54:55] op_sel_hi:[0,1,1]
	v_mov_b32_e32 v30, v16
	global_load_b128 v[54:57], v[24:25], off offset:560
	v_pk_fma_f32 v[14:15], v[68:69], v[32:33], v[14:15] op_sel_hi:[0,1,1]
	v_mov_b32_e32 v33, v16
	v_pk_fma_f32 v[14:15], v[70:71], v[30:31], v[14:15] op_sel_hi:[0,1,1]
	v_mov_b32_e32 v30, v17
	s_delay_alu instid0(VALU_DEP_2) | instskip(SKIP_1) | instid1(VALU_DEP_2)
	v_pk_fma_f32 v[14:15], v[70:71], v[32:33], v[14:15] op_sel:[1,0,0]
	v_mov_b32_e32 v33, v17
	v_pk_fma_f32 v[14:15], v[72:73], v[30:31], v[14:15] op_sel_hi:[0,1,1]
	v_mov_b32_e32 v30, v51
	s_delay_alu instid0(VALU_DEP_2) | instskip(SKIP_1) | instid1(VALU_DEP_3)
	v_pk_fma_f32 v[14:15], v[86:87], v[32:33], v[14:15] op_sel_hi:[0,1,1]
	v_mov_b32_e32 v33, v51
	v_pk_fma_f32 v[16:17], v[80:81], v[30:31], v[92:93] op_sel_hi:[0,1,1]
	v_mov_b32_e32 v30, v52
	s_delay_alu instid0(VALU_DEP_2) | instskip(SKIP_1) | instid1(VALU_DEP_2)
	v_pk_fma_f32 v[16:17], v[74:75], v[32:33], v[16:17] op_sel_hi:[0,1,1]
	v_mov_b32_e32 v33, v52
	v_pk_fma_f32 v[16:17], v[82:83], v[30:31], v[16:17] op_sel_hi:[0,1,1]
	v_mov_b32_e32 v30, v53
	s_delay_alu instid0(VALU_DEP_2) | instskip(SKIP_4) | instid1(VALU_DEP_2)
	v_pk_fma_f32 v[16:17], v[82:83], v[32:33], v[16:17] op_sel:[1,0,0]
	v_mov_b32_e32 v33, v53
	global_load_b128 v[50:53], v[24:25], off offset:544
	v_pk_fma_f32 v[16:17], v[84:85], v[30:31], v[16:17] op_sel_hi:[0,1,1]
	v_mov_b32_e32 v30, v34
	v_pk_fma_f32 v[16:17], v[76:77], v[32:33], v[16:17] op_sel_hi:[0,1,1]
	v_mov_b32_e32 v33, v34
	s_delay_alu instid0(VALU_DEP_2) | instskip(SKIP_1) | instid1(VALU_DEP_2)
	v_pk_fma_f32 v[16:17], v[38:39], v[30:31], v[16:17] op_sel_hi:[0,1,1]
	v_mov_b32_e32 v30, v35
	v_pk_fma_f32 v[16:17], v[38:39], v[32:33], v[16:17] op_sel:[1,0,0]
	v_mov_b32_e32 v33, v35
	s_delay_alu instid0(VALU_DEP_2) | instskip(SKIP_1) | instid1(VALU_DEP_2)
	v_pk_fma_f32 v[16:17], v[40:41], v[30:31], v[16:17] op_sel_hi:[0,1,1]
	v_mov_b32_e32 v30, v36
	v_pk_fma_f32 v[16:17], v[42:43], v[32:33], v[16:17] op_sel_hi:[0,1,1]
	v_mov_b32_e32 v33, v36
	s_delay_alu instid0(VALU_DEP_2) | instskip(SKIP_1) | instid1(VALU_DEP_2)
	v_pk_fma_f32 v[16:17], v[30:31], v[62:63], v[16:17] op_sel_hi:[1,0,1]
	v_mov_b32_e32 v30, v37
	v_pk_fma_f32 v[16:17], v[62:63], v[32:33], v[16:17] op_sel:[1,0,0]
	v_mov_b32_e32 v33, v37
	global_load_b128 v[34:37], v[24:25], off offset:800
	v_pk_fma_f32 v[16:17], v[64:65], v[30:31], v[16:17] op_sel_hi:[0,1,1]
	s_delay_alu instid0(VALU_DEP_1) | instskip(SKIP_2) | instid1(VALU_DEP_1)
	v_pk_fma_f32 v[16:17], v[66:67], v[32:33], v[16:17] op_sel_hi:[0,1,1]
	s_wait_loadcnt 0x3
	v_dual_mov_b32 v30, v18 :: v_dual_mov_b32 v33, v18
	v_pk_fma_f32 v[16:17], v[58:59], v[30:31], v[16:17] op_sel_hi:[0,1,1]
	v_mov_b32_e32 v30, v19
	s_delay_alu instid0(VALU_DEP_2) | instskip(SKIP_1) | instid1(VALU_DEP_2)
	v_pk_fma_f32 v[16:17], v[58:59], v[32:33], v[16:17] op_sel:[1,0,0]
	v_mov_b32_e32 v33, v19
	v_pk_fma_f32 v[16:17], v[60:61], v[30:31], v[16:17] op_sel_hi:[0,1,1]
	v_mov_b32_e32 v30, v20
	s_delay_alu instid0(VALU_DEP_2) | instskip(SKIP_1) | instid1(VALU_DEP_2)
	v_pk_fma_f32 v[16:17], v[68:69], v[32:33], v[16:17] op_sel_hi:[0,1,1]
	v_mov_b32_e32 v33, v20
	v_pk_fma_f32 v[16:17], v[70:71], v[30:31], v[16:17] op_sel_hi:[0,1,1]
	v_mov_b32_e32 v30, v21
	s_delay_alu instid0(VALU_DEP_2) | instskip(SKIP_1) | instid1(VALU_DEP_2)
	v_pk_fma_f32 v[16:17], v[70:71], v[32:33], v[16:17] op_sel:[1,0,0]
	v_mov_b32_e32 v33, v21
	v_pk_fma_f32 v[16:17], v[72:73], v[30:31], v[16:17] op_sel_hi:[0,1,1]
	v_mov_b32_e32 v30, v47
	s_delay_alu instid0(VALU_DEP_2) | instskip(SKIP_1) | instid1(VALU_DEP_3)
	v_pk_fma_f32 v[16:17], v[86:87], v[32:33], v[16:17] op_sel_hi:[0,1,1]
	v_mov_b32_e32 v33, v47
	v_pk_fma_f32 v[18:19], v[80:81], v[30:31], v[96:97] op_sel_hi:[0,1,1]
	v_mov_b32_e32 v30, v48
	s_delay_alu instid0(VALU_DEP_2) | instskip(SKIP_1) | instid1(VALU_DEP_2)
	v_pk_fma_f32 v[18:19], v[74:75], v[32:33], v[18:19] op_sel_hi:[0,1,1]
	v_mov_b32_e32 v33, v48
	v_pk_fma_f32 v[18:19], v[82:83], v[30:31], v[18:19] op_sel_hi:[0,1,1]
	v_mov_b32_e32 v30, v49
	s_delay_alu instid0(VALU_DEP_2)
	v_pk_fma_f32 v[18:19], v[82:83], v[32:33], v[18:19] op_sel:[1,0,0]
	v_mov_b32_e32 v33, v49
	global_load_b128 v[46:49], v[24:25], off offset:816
	s_wait_xcnt 0x0
	v_add_nc_u64_e32 v[24:25], 0x400, v[24:25]
	v_pk_fma_f32 v[18:19], v[84:85], v[30:31], v[18:19] op_sel_hi:[0,1,1]
	s_delay_alu instid0(VALU_DEP_1) | instskip(SKIP_2) | instid1(VALU_DEP_1)
	v_pk_fma_f32 v[18:19], v[76:77], v[32:33], v[18:19] op_sel_hi:[0,1,1]
	s_wait_loadcnt 0x2
	v_dual_mov_b32 v30, v50 :: v_dual_mov_b32 v33, v50
	v_pk_fma_f32 v[18:19], v[38:39], v[30:31], v[18:19] op_sel_hi:[0,1,1]
	v_mov_b32_e32 v30, v51
	s_delay_alu instid0(VALU_DEP_2) | instskip(SKIP_1) | instid1(VALU_DEP_2)
	v_pk_fma_f32 v[18:19], v[38:39], v[32:33], v[18:19] op_sel:[1,0,0]
	v_mov_b32_e32 v33, v51
	v_pk_fma_f32 v[18:19], v[40:41], v[30:31], v[18:19] op_sel_hi:[0,1,1]
	v_mov_b32_e32 v30, v52
	s_delay_alu instid0(VALU_DEP_2) | instskip(SKIP_1) | instid1(VALU_DEP_2)
	v_pk_fma_f32 v[18:19], v[42:43], v[32:33], v[18:19] op_sel_hi:[0,1,1]
	v_mov_b32_e32 v33, v52
	v_pk_fma_f32 v[18:19], v[30:31], v[62:63], v[18:19] op_sel_hi:[1,0,1]
	v_mov_b32_e32 v30, v53
	s_delay_alu instid0(VALU_DEP_2) | instskip(SKIP_1) | instid1(VALU_DEP_2)
	v_pk_fma_f32 v[18:19], v[62:63], v[32:33], v[18:19] op_sel:[1,0,0]
	v_mov_b32_e32 v33, v53
	v_pk_fma_f32 v[18:19], v[64:65], v[30:31], v[18:19] op_sel_hi:[0,1,1]
	s_wait_loadcnt 0x1
	v_mov_b32_e32 v30, v34
	s_delay_alu instid0(VALU_DEP_2) | instskip(SKIP_1) | instid1(VALU_DEP_2)
	v_pk_fma_f32 v[18:19], v[66:67], v[32:33], v[18:19] op_sel_hi:[0,1,1]
	v_mov_b32_e32 v33, v34
	v_pk_fma_f32 v[18:19], v[58:59], v[30:31], v[18:19] op_sel_hi:[0,1,1]
	v_mov_b32_e32 v30, v35
	s_delay_alu instid0(VALU_DEP_2) | instskip(SKIP_1) | instid1(VALU_DEP_2)
	v_pk_fma_f32 v[18:19], v[58:59], v[32:33], v[18:19] op_sel:[1,0,0]
	v_mov_b32_e32 v33, v35
	v_pk_fma_f32 v[18:19], v[60:61], v[30:31], v[18:19] op_sel_hi:[0,1,1]
	v_mov_b32_e32 v30, v36
	s_delay_alu instid0(VALU_DEP_2) | instskip(SKIP_1) | instid1(VALU_DEP_2)
	v_pk_fma_f32 v[18:19], v[68:69], v[32:33], v[18:19] op_sel_hi:[0,1,1]
	v_mov_b32_e32 v33, v36
	v_pk_fma_f32 v[18:19], v[70:71], v[30:31], v[18:19] op_sel_hi:[0,1,1]
	v_mov_b32_e32 v30, v37
	s_delay_alu instid0(VALU_DEP_2) | instskip(SKIP_1) | instid1(VALU_DEP_2)
	v_pk_fma_f32 v[18:19], v[70:71], v[32:33], v[18:19] op_sel:[1,0,0]
	v_mov_b32_e32 v33, v37
	v_pk_fma_f32 v[18:19], v[72:73], v[30:31], v[18:19] op_sel_hi:[0,1,1]
	v_mov_b32_e32 v30, v43
	s_delay_alu instid0(VALU_DEP_2) | instskip(SKIP_1) | instid1(VALU_DEP_3)
	v_pk_fma_f32 v[20:21], v[86:87], v[32:33], v[18:19] op_sel_hi:[0,1,1]
	v_mov_b32_e32 v33, v43
	v_pk_fma_f32 v[18:19], v[80:81], v[30:31], v[78:79] op_sel_hi:[0,1,1]
	v_mov_b32_e32 v30, v44
	s_delay_alu instid0(VALU_DEP_2) | instskip(SKIP_1) | instid1(VALU_DEP_2)
	v_pk_fma_f32 v[18:19], v[74:75], v[32:33], v[18:19] op_sel_hi:[0,1,1]
	v_mov_b32_e32 v33, v44
	v_pk_fma_f32 v[18:19], v[82:83], v[30:31], v[18:19] op_sel_hi:[0,1,1]
	v_mov_b32_e32 v30, v45
	s_delay_alu instid0(VALU_DEP_2) | instskip(SKIP_1) | instid1(VALU_DEP_2)
	v_pk_fma_f32 v[18:19], v[82:83], v[32:33], v[18:19] op_sel:[1,0,0]
	v_mov_b32_e32 v33, v45
	v_pk_fma_f32 v[18:19], v[84:85], v[30:31], v[18:19] op_sel_hi:[0,1,1]
	v_mov_b32_e32 v30, v54
	s_delay_alu instid0(VALU_DEP_2) | instskip(SKIP_1) | instid1(VALU_DEP_2)
	v_pk_fma_f32 v[18:19], v[76:77], v[32:33], v[18:19] op_sel_hi:[0,1,1]
	v_mov_b32_e32 v33, v54
	v_pk_fma_f32 v[18:19], v[38:39], v[30:31], v[18:19] op_sel_hi:[0,1,1]
	v_mov_b32_e32 v30, v55
	s_delay_alu instid0(VALU_DEP_2) | instskip(SKIP_1) | instid1(VALU_DEP_2)
	v_pk_fma_f32 v[18:19], v[38:39], v[32:33], v[18:19] op_sel:[1,0,0]
	;; [unrolled: 10-line block ×3, first 2 shown]
	v_mov_b32_e32 v33, v57
	v_pk_fma_f32 v[18:19], v[64:65], v[30:31], v[18:19] op_sel_hi:[0,1,1]
	s_delay_alu instid0(VALU_DEP_1) | instskip(SKIP_2) | instid1(VALU_DEP_1)
	v_pk_fma_f32 v[18:19], v[66:67], v[32:33], v[18:19] op_sel_hi:[0,1,1]
	s_wait_loadcnt 0x0
	v_dual_mov_b32 v30, v46 :: v_dual_mov_b32 v33, v46
	v_pk_fma_f32 v[18:19], v[58:59], v[30:31], v[18:19] op_sel_hi:[0,1,1]
	v_mov_b32_e32 v30, v47
	s_delay_alu instid0(VALU_DEP_2) | instskip(SKIP_1) | instid1(VALU_DEP_2)
	v_pk_fma_f32 v[18:19], v[58:59], v[32:33], v[18:19] op_sel:[1,0,0]
	v_mov_b32_e32 v33, v47
	v_pk_fma_f32 v[18:19], v[60:61], v[30:31], v[18:19] op_sel_hi:[0,1,1]
	v_mov_b32_e32 v30, v48
	s_delay_alu instid0(VALU_DEP_2) | instskip(SKIP_1) | instid1(VALU_DEP_2)
	v_pk_fma_f32 v[18:19], v[68:69], v[32:33], v[18:19] op_sel_hi:[0,1,1]
	v_mov_b32_e32 v33, v48
	v_pk_fma_f32 v[18:19], v[70:71], v[30:31], v[18:19] op_sel_hi:[0,1,1]
	v_mov_b32_e32 v30, v49
	s_delay_alu instid0(VALU_DEP_2) | instskip(SKIP_1) | instid1(VALU_DEP_2)
	v_pk_fma_f32 v[18:19], v[70:71], v[32:33], v[18:19] op_sel:[1,0,0]
	v_mov_b32_e32 v33, v49
	v_pk_fma_f32 v[18:19], v[72:73], v[30:31], v[18:19] op_sel_hi:[0,1,1]
	s_delay_alu instid0(VALU_DEP_1)
	v_pk_fma_f32 v[18:19], v[86:87], v[32:33], v[18:19] op_sel_hi:[0,1,1]
	s_and_not1_b32 exec_lo, exec_lo, s10
	s_cbranch_execnz .LBB125_17
; %bb.18:
	s_or_b32 exec_lo, exec_lo, s10
.LBB125_19:
	s_delay_alu instid0(SALU_CYCLE_1)
	s_or_b32 exec_lo, exec_lo, s7
.LBB125_20:
	s_delay_alu instid0(SALU_CYCLE_1)
	s_or_b32 exec_lo, exec_lo, s6
	s_cbranch_execz .LBB125_22
	s_branch .LBB125_33
.LBB125_21:
                                        ; implicit-def: $vgpr15
                                        ; implicit-def: $vgpr17
                                        ; implicit-def: $vgpr21
                                        ; implicit-def: $vgpr19
.LBB125_22:
	v_dual_mov_b32 v15, 0 :: v_dual_mov_b32 v14, 0
	v_dual_mov_b32 v17, 0 :: v_dual_mov_b32 v16, 0
	;; [unrolled: 1-line block ×4, first 2 shown]
	s_and_saveexec_b32 s6, s3
	s_cbranch_execz .LBB125_32
; %bb.23:
	v_dual_mov_b32 v15, v1 :: v_dual_bitop2_b32 v14, 4, v0 bitop3:0x54
	v_sub_nc_u64_e32 v[16:17], s[12:13], v[0:1]
	v_not_b32_e32 v19, v23
	v_not_b32_e32 v18, v22
	s_delay_alu instid0(VALU_DEP_4) | instskip(NEXT) | instid1(VALU_DEP_2)
	v_sub_nc_u64_e64 v[14:15], v[14:15], s[12:13]
	v_add_nc_u64_e32 v[16:17], v[16:17], v[18:19]
	s_delay_alu instid0(VALU_DEP_2) | instskip(NEXT) | instid1(VALU_DEP_1)
	v_add_nc_u64_e32 v[14:15], v[14:15], v[22:23]
	v_max_i64 v[14:15], v[14:15], v[10:11]
	s_delay_alu instid0(VALU_DEP_1) | instskip(NEXT) | instid1(VALU_DEP_1)
	v_add_nc_u64_e32 v[22:23], v[16:17], v[14:15]
	v_dual_mov_b32 v19, 0 :: v_dual_bitop2_b32 v18, 12, v22 bitop3:0x40
	s_delay_alu instid0(VALU_DEP_1) | instskip(SKIP_2) | instid1(VALU_DEP_4)
	v_dual_mov_b32 v20, v19 :: v_dual_mov_b32 v21, v19
	v_dual_mov_b32 v16, v19 :: v_dual_mov_b32 v17, v19
	v_mov_b32_e32 v14, v19
	v_cmp_ne_u64_e32 vcc_lo, 12, v[18:19]
	v_dual_mov_b32 v18, v19 :: v_dual_mov_b32 v15, v19
	s_and_saveexec_b32 s3, vcc_lo
	s_cbranch_execz .LBB125_27
; %bb.24:
	v_dual_lshrrev_b32 v1, 2, v22 :: v_dual_mov_b32 v25, 0
	v_lshl_add_u64 v[26:27], v[8:9], 2, s[8:9]
	v_bfrev_b32_e32 v28, 1
	s_mov_b32 s7, 0
	s_delay_alu instid0(VALU_DEP_3) | instskip(SKIP_2) | instid1(VALU_DEP_3)
	v_dual_mov_b32 v18, v25 :: v_dual_add_nc_u32 v1, 1, v1
	v_dual_mov_b32 v20, v25 :: v_dual_mov_b32 v21, v25
	v_dual_mov_b32 v16, v25 :: v_dual_mov_b32 v17, v25
	v_dual_mov_b32 v19, v25 :: v_dual_bitop2_b32 v24, 3, v1 bitop3:0x40
	v_dual_mov_b32 v14, v25 :: v_dual_mov_b32 v15, v25
	s_delay_alu instid0(VALU_DEP_2)
	v_sub_nc_u64_e32 v[30:31], 0, v[24:25]
.LBB125_25:                             ; =>This Inner Loop Header: Depth=1
	global_load_b32 v1, v[26:27], off
	s_clause 0x1
	global_load_b128 v[32:35], v[12:13], off offset:16
	global_load_b128 v[36:39], v[12:13], off
	v_add_nc_u64_e32 v[30:31], 1, v[30:31]
	v_add_nc_u64_e32 v[8:9], 4, v[8:9]
	s_wait_xcnt 0x2
	v_add_nc_u64_e32 v[26:27], 16, v[26:27]
	s_delay_alu instid0(VALU_DEP_3)
	v_cmp_eq_u64_e32 vcc_lo, 0, v[30:31]
	s_or_b32 s7, vcc_lo, s7
	s_wait_loadcnt 0x2
	v_subrev_nc_u32_e32 v1, s12, v1
	s_wait_loadcnt 0x0
	v_dual_mov_b32 v24, v36 :: v_dual_mov_b32 v29, v36
	s_delay_alu instid0(VALU_DEP_2) | instskip(NEXT) | instid1(VALU_DEP_1)
	v_lshlrev_b32_e32 v40, 2, v1
	v_ashrrev_i32_e32 v41, 31, v40
	s_wait_kmcnt 0x0
	s_delay_alu instid0(VALU_DEP_1)
	v_lshl_add_u64 v[56:57], v[40:41], 3, s[4:5]
	s_clause 0x1
	global_load_b128 v[40:43], v[56:57], off
	global_load_b128 v[44:47], v[56:57], off offset:16
	s_clause 0x1
	global_load_b128 v[48:51], v[12:13], off offset:32
	global_load_b128 v[52:55], v[12:13], off offset:48
	s_wait_xcnt 0x0
	v_add_nc_u64_e32 v[12:13], 0x100, v[12:13]
	s_wait_loadcnt 0x3
	v_pk_fma_f32 v[14:15], v[40:41], v[24:25], v[14:15] op_sel_hi:[0,1,1]
	v_dual_mov_b32 v24, v32 :: v_dual_mov_b32 v36, v43
	s_wait_loadcnt 0x2
	v_mov_b32_e32 v56, v47
	s_delay_alu instid0(VALU_DEP_3) | instskip(SKIP_1) | instid1(VALU_DEP_2)
	v_pk_fma_f32 v[14:15], v[40:41], v[28:29], v[14:15] op_sel:[1,0,0]
	v_mov_b32_e32 v29, v32
	v_pk_fma_f32 v[14:15], v[42:43], v[24:25], v[14:15] op_sel_hi:[0,1,1]
	s_wait_loadcnt 0x1
	v_mov_b32_e32 v24, v48
	s_delay_alu instid0(VALU_DEP_2) | instskip(SKIP_1) | instid1(VALU_DEP_2)
	v_pk_fma_f32 v[14:15], v[36:37], v[28:29], v[14:15] op_sel_hi:[0,1,1]
	v_mov_b32_e32 v29, v48
	v_pk_fma_f32 v[14:15], v[44:45], v[24:25], v[14:15] op_sel_hi:[0,1,1]
	s_wait_loadcnt 0x0
	v_mov_b32_e32 v24, v52
	s_delay_alu instid0(VALU_DEP_2) | instskip(SKIP_1) | instid1(VALU_DEP_2)
	v_pk_fma_f32 v[14:15], v[44:45], v[28:29], v[14:15] op_sel:[1,0,0]
	v_mov_b32_e32 v29, v52
	v_pk_fma_f32 v[14:15], v[46:47], v[24:25], v[14:15] op_sel_hi:[0,1,1]
	v_mov_b32_e32 v24, v37
	s_delay_alu instid0(VALU_DEP_2) | instskip(SKIP_1) | instid1(VALU_DEP_3)
	v_pk_fma_f32 v[14:15], v[56:57], v[28:29], v[14:15] op_sel_hi:[0,1,1]
	v_mov_b32_e32 v29, v37
	v_pk_fma_f32 v[16:17], v[40:41], v[24:25], v[16:17] op_sel_hi:[0,1,1]
	v_mov_b32_e32 v24, v33
	s_delay_alu instid0(VALU_DEP_2) | instskip(SKIP_1) | instid1(VALU_DEP_2)
	v_pk_fma_f32 v[16:17], v[40:41], v[28:29], v[16:17] op_sel:[1,0,0]
	v_mov_b32_e32 v29, v33
	v_pk_fma_f32 v[16:17], v[42:43], v[24:25], v[16:17] op_sel_hi:[0,1,1]
	v_mov_b32_e32 v24, v49
	s_delay_alu instid0(VALU_DEP_2) | instskip(SKIP_1) | instid1(VALU_DEP_2)
	v_pk_fma_f32 v[16:17], v[36:37], v[28:29], v[16:17] op_sel_hi:[0,1,1]
	v_mov_b32_e32 v29, v49
	v_pk_fma_f32 v[16:17], v[44:45], v[24:25], v[16:17] op_sel_hi:[0,1,1]
	v_mov_b32_e32 v24, v53
	s_delay_alu instid0(VALU_DEP_2) | instskip(SKIP_1) | instid1(VALU_DEP_2)
	v_pk_fma_f32 v[16:17], v[44:45], v[28:29], v[16:17] op_sel:[1,0,0]
	v_mov_b32_e32 v29, v53
	v_pk_fma_f32 v[16:17], v[46:47], v[24:25], v[16:17] op_sel_hi:[0,1,1]
	v_mov_b32_e32 v24, v38
	s_delay_alu instid0(VALU_DEP_2) | instskip(SKIP_1) | instid1(VALU_DEP_3)
	v_pk_fma_f32 v[16:17], v[56:57], v[28:29], v[16:17] op_sel_hi:[0,1,1]
	v_mov_b32_e32 v29, v38
	v_pk_fma_f32 v[20:21], v[40:41], v[24:25], v[20:21] op_sel_hi:[0,1,1]
	v_mov_b32_e32 v24, v34
	s_delay_alu instid0(VALU_DEP_2) | instskip(SKIP_1) | instid1(VALU_DEP_2)
	v_pk_fma_f32 v[20:21], v[40:41], v[28:29], v[20:21] op_sel:[1,0,0]
	v_mov_b32_e32 v29, v34
	v_pk_fma_f32 v[20:21], v[42:43], v[24:25], v[20:21] op_sel_hi:[0,1,1]
	v_mov_b32_e32 v24, v50
	s_delay_alu instid0(VALU_DEP_2) | instskip(SKIP_1) | instid1(VALU_DEP_2)
	v_pk_fma_f32 v[20:21], v[36:37], v[28:29], v[20:21] op_sel_hi:[0,1,1]
	v_mov_b32_e32 v29, v50
	v_pk_fma_f32 v[20:21], v[44:45], v[24:25], v[20:21] op_sel_hi:[0,1,1]
	;; [unrolled: 20-line block ×3, first 2 shown]
	v_mov_b32_e32 v24, v55
	s_delay_alu instid0(VALU_DEP_2) | instskip(SKIP_1) | instid1(VALU_DEP_2)
	v_pk_fma_f32 v[18:19], v[44:45], v[28:29], v[18:19] op_sel:[1,0,0]
	v_mov_b32_e32 v29, v55
	v_pk_fma_f32 v[18:19], v[46:47], v[24:25], v[18:19] op_sel_hi:[0,1,1]
	s_delay_alu instid0(VALU_DEP_1)
	v_pk_fma_f32 v[18:19], v[56:57], v[28:29], v[18:19] op_sel_hi:[0,1,1]
	s_and_not1_b32 exec_lo, exec_lo, s7
	s_cbranch_execnz .LBB125_25
; %bb.26:
	s_or_b32 exec_lo, exec_lo, s7
.LBB125_27:
	s_delay_alu instid0(SALU_CYCLE_1) | instskip(NEXT) | instid1(SALU_CYCLE_1)
	s_or_b32 exec_lo, exec_lo, s3
	s_mov_b32 s3, exec_lo
	v_cmpx_lt_u64_e32 11, v[22:23]
	s_cbranch_execz .LBB125_31
; %bb.28:
	v_lshl_add_u64 v[22:23], v[8:9], 2, s[8:9]
	v_mov_b32_e32 v25, 0
	v_bfrev_b32_e32 v26, 1
	s_mov_b32 s7, 0
	s_delay_alu instid0(VALU_DEP_3)
	v_add_nc_u64_e32 v[22:23], 32, v[22:23]
.LBB125_29:                             ; =>This Inner Loop Header: Depth=1
	s_clause 0x1
	global_load_b32 v1, v[22:23], off offset:-32
	global_load_b32 v7, v[22:23], off offset:-16
	s_clause 0x3
	global_load_b128 v[28:31], v[12:13], off
	global_load_b128 v[32:35], v[12:13], off offset:16
	global_load_b128 v[36:39], v[12:13], off offset:48
	;; [unrolled: 1-line block ×3, first 2 shown]
	s_clause 0x1
	global_load_b32 v84, v[22:23], off
	global_load_b32 v85, v[22:23], off offset:16
	s_clause 0x3
	global_load_b128 v[44:47], v[12:13], off offset:256
	global_load_b128 v[48:51], v[12:13], off offset:272
	;; [unrolled: 1-line block ×4, first 2 shown]
	v_add_nc_u64_e32 v[8:9], 16, v[8:9]
	s_wait_xcnt 0x4
	v_add_nc_u64_e32 v[22:23], 64, v[22:23]
	s_delay_alu instid0(VALU_DEP_2)
	v_cmp_ge_i64_e32 vcc_lo, v[8:9], v[10:11]
	s_or_b32 s7, vcc_lo, s7
	s_wait_loadcnt 0xb
	v_subrev_nc_u32_e32 v1, s12, v1
	s_wait_loadcnt 0xa
	v_subrev_nc_u32_e32 v7, s12, v7
	s_wait_loadcnt 0x9
	v_dual_mov_b32 v24, v28 :: v_dual_mov_b32 v27, v28
	s_delay_alu instid0(VALU_DEP_2) | instskip(SKIP_2) | instid1(VALU_DEP_2)
	v_dual_lshlrev_b32 v60, 2, v1 :: v_dual_lshlrev_b32 v62, 2, v7
	s_wait_loadcnt 0x5
	v_subrev_nc_u32_e32 v1, s12, v84
	v_dual_ashrrev_i32 v61, 31, v60 :: v_dual_ashrrev_i32 v63, 31, v62
	s_wait_kmcnt 0x0
	s_delay_alu instid0(VALU_DEP_1) | instskip(NEXT) | instid1(VALU_DEP_2)
	v_lshl_add_u64 v[76:77], v[60:61], 3, s[4:5]
	v_lshl_add_u64 v[78:79], v[62:63], 3, s[4:5]
	s_clause 0x3
	global_load_b128 v[60:63], v[76:77], off
	global_load_b128 v[64:67], v[76:77], off offset:16
	global_load_b128 v[68:71], v[78:79], off
	global_load_b128 v[72:75], v[78:79], off offset:16
	s_wait_loadcnt 0x3
	v_pk_fma_f32 v[14:15], v[60:61], v[24:25], v[14:15] op_sel_hi:[0,1,1]
	s_wait_xcnt 0x2
	v_dual_mov_b32 v24, v32 :: v_dual_mov_b32 v76, v63
	s_wait_loadcnt 0x2
	s_wait_xcnt 0x0
	v_mov_b32_e32 v78, v67
	v_pk_fma_f32 v[14:15], v[60:61], v[26:27], v[14:15] op_sel:[1,0,0]
	v_mov_b32_e32 v27, v32
	s_delay_alu instid0(VALU_DEP_2) | instskip(SKIP_1) | instid1(VALU_DEP_2)
	v_pk_fma_f32 v[14:15], v[62:63], v[24:25], v[14:15] op_sel_hi:[0,1,1]
	v_mov_b32_e32 v24, v40
	v_pk_fma_f32 v[14:15], v[76:77], v[26:27], v[14:15] op_sel_hi:[0,1,1]
	v_mov_b32_e32 v27, v40
	s_delay_alu instid0(VALU_DEP_2) | instskip(SKIP_1) | instid1(VALU_DEP_2)
	v_pk_fma_f32 v[14:15], v[64:65], v[24:25], v[14:15] op_sel_hi:[0,1,1]
	v_mov_b32_e32 v24, v36
	v_pk_fma_f32 v[14:15], v[64:65], v[26:27], v[14:15] op_sel:[1,0,0]
	v_mov_b32_e32 v27, v36
	s_delay_alu instid0(VALU_DEP_2) | instskip(SKIP_1) | instid1(VALU_DEP_2)
	v_pk_fma_f32 v[14:15], v[66:67], v[24:25], v[14:15] op_sel_hi:[0,1,1]
	v_mov_b32_e32 v24, v44
	v_pk_fma_f32 v[14:15], v[78:79], v[26:27], v[14:15] op_sel_hi:[0,1,1]
	v_mov_b32_e32 v27, v44
	s_wait_loadcnt 0x1
	s_delay_alu instid0(VALU_DEP_2) | instskip(SKIP_1) | instid1(VALU_DEP_2)
	v_pk_fma_f32 v[14:15], v[68:69], v[24:25], v[14:15] op_sel_hi:[0,1,1]
	v_mov_b32_e32 v24, v29
	v_pk_fma_f32 v[80:81], v[68:69], v[26:27], v[14:15] op_sel:[1,0,0]
	v_mov_b32_e32 v27, v29
	s_delay_alu instid0(VALU_DEP_3) | instskip(SKIP_1) | instid1(VALU_DEP_2)
	v_pk_fma_f32 v[14:15], v[60:61], v[24:25], v[16:17] op_sel_hi:[0,1,1]
	v_mov_b32_e32 v24, v33
	v_pk_fma_f32 v[14:15], v[60:61], v[26:27], v[14:15] op_sel:[1,0,0]
	v_mov_b32_e32 v27, v33
	s_delay_alu instid0(VALU_DEP_2) | instskip(SKIP_1) | instid1(VALU_DEP_2)
	v_pk_fma_f32 v[14:15], v[62:63], v[24:25], v[14:15] op_sel_hi:[0,1,1]
	v_mov_b32_e32 v24, v41
	v_pk_fma_f32 v[14:15], v[76:77], v[26:27], v[14:15] op_sel_hi:[0,1,1]
	v_mov_b32_e32 v27, v41
	s_delay_alu instid0(VALU_DEP_2) | instskip(SKIP_1) | instid1(VALU_DEP_2)
	v_pk_fma_f32 v[14:15], v[64:65], v[24:25], v[14:15] op_sel_hi:[0,1,1]
	v_mov_b32_e32 v24, v37
	v_pk_fma_f32 v[14:15], v[64:65], v[26:27], v[14:15] op_sel:[1,0,0]
	v_mov_b32_e32 v27, v37
	s_delay_alu instid0(VALU_DEP_2) | instskip(SKIP_1) | instid1(VALU_DEP_2)
	v_pk_fma_f32 v[14:15], v[66:67], v[24:25], v[14:15] op_sel_hi:[0,1,1]
	v_mov_b32_e32 v24, v45
	v_pk_fma_f32 v[14:15], v[78:79], v[26:27], v[14:15] op_sel_hi:[0,1,1]
	v_mov_b32_e32 v27, v45
	s_delay_alu instid0(VALU_DEP_2) | instskip(SKIP_1) | instid1(VALU_DEP_2)
	v_pk_fma_f32 v[14:15], v[68:69], v[24:25], v[14:15] op_sel_hi:[0,1,1]
	v_mov_b32_e32 v24, v30
	v_pk_fma_f32 v[44:45], v[68:69], v[26:27], v[14:15] op_sel:[1,0,0]
	v_mov_b32_e32 v27, v30
	s_delay_alu instid0(VALU_DEP_3) | instskip(SKIP_1) | instid1(VALU_DEP_2)
	v_pk_fma_f32 v[14:15], v[60:61], v[24:25], v[20:21] op_sel_hi:[0,1,1]
	v_mov_b32_e32 v24, v34
	v_pk_fma_f32 v[14:15], v[60:61], v[26:27], v[14:15] op_sel:[1,0,0]
	v_mov_b32_e32 v27, v34
	s_delay_alu instid0(VALU_DEP_2) | instskip(SKIP_1) | instid1(VALU_DEP_2)
	v_pk_fma_f32 v[14:15], v[62:63], v[24:25], v[14:15] op_sel_hi:[0,1,1]
	v_mov_b32_e32 v24, v42
	v_pk_fma_f32 v[14:15], v[76:77], v[26:27], v[14:15] op_sel_hi:[0,1,1]
	v_mov_b32_e32 v27, v42
	s_delay_alu instid0(VALU_DEP_2) | instskip(SKIP_1) | instid1(VALU_DEP_2)
	v_pk_fma_f32 v[14:15], v[64:65], v[24:25], v[14:15] op_sel_hi:[0,1,1]
	v_mov_b32_e32 v24, v38
	v_pk_fma_f32 v[14:15], v[64:65], v[26:27], v[14:15] op_sel:[1,0,0]
	v_dual_mov_b32 v27, v38 :: v_dual_lshlrev_b32 v38, 2, v1
	v_subrev_nc_u32_e32 v1, s12, v85
	s_delay_alu instid0(VALU_DEP_3) | instskip(SKIP_1) | instid1(VALU_DEP_2)
	v_pk_fma_f32 v[14:15], v[66:67], v[24:25], v[14:15] op_sel_hi:[0,1,1]
	v_mov_b32_e32 v24, v46
	v_pk_fma_f32 v[14:15], v[78:79], v[26:27], v[14:15] op_sel_hi:[0,1,1]
	v_mov_b32_e32 v27, v46
	s_delay_alu instid0(VALU_DEP_2) | instskip(SKIP_1) | instid1(VALU_DEP_2)
	v_pk_fma_f32 v[14:15], v[68:69], v[24:25], v[14:15] op_sel_hi:[0,1,1]
	v_mov_b32_e32 v24, v31
	v_pk_fma_f32 v[82:83], v[68:69], v[26:27], v[14:15] op_sel:[1,0,0]
	v_mov_b32_e32 v27, v31
	s_delay_alu instid0(VALU_DEP_3)
	v_pk_fma_f32 v[18:19], v[60:61], v[24:25], v[18:19] op_sel_hi:[0,1,1]
	v_mov_b32_e32 v24, v35
	global_load_b128 v[14:17], v[12:13], off offset:528
	v_pk_fma_f32 v[28:29], v[60:61], v[26:27], v[18:19] op_sel:[1,0,0]
	v_mov_b32_e32 v27, v35
	global_load_b128 v[18:21], v[12:13], off offset:512
	v_pk_fma_f32 v[32:33], v[62:63], v[24:25], v[28:29] op_sel_hi:[0,1,1]
	v_mov_b32_e32 v24, v43
	global_load_b128 v[28:31], v[12:13], off offset:544
	v_pk_fma_f32 v[36:37], v[76:77], v[26:27], v[32:33] op_sel_hi:[0,1,1]
	v_mov_b32_e32 v27, v43
	s_clause 0x1
	global_load_b128 v[32:35], v[12:13], off offset:560
	global_load_b128 v[40:43], v[12:13], off offset:784
	s_wait_loadcnt 0x5
	v_mov_b32_e32 v76, v75
	v_pk_fma_f32 v[36:37], v[64:65], v[24:25], v[36:37] op_sel_hi:[0,1,1]
	v_mov_b32_e32 v24, v39
	s_delay_alu instid0(VALU_DEP_2) | instskip(SKIP_1) | instid1(VALU_DEP_2)
	v_pk_fma_f32 v[36:37], v[64:65], v[26:27], v[36:37] op_sel:[1,0,0]
	v_dual_mov_b32 v27, v39 :: v_dual_ashrrev_i32 v39, 31, v38
	v_pk_fma_f32 v[66:67], v[66:67], v[24:25], v[36:37] op_sel_hi:[0,1,1]
	v_mov_b32_e32 v24, v47
	s_delay_alu instid0(VALU_DEP_3)
	v_lshl_add_u64 v[64:65], v[38:39], 3, s[4:5]
	s_clause 0x1
	global_load_b128 v[36:39], v[64:65], off
	global_load_b128 v[60:63], v[64:65], off offset:16
	s_wait_xcnt 0x0
	v_pk_fma_f32 v[64:65], v[78:79], v[26:27], v[66:67] op_sel_hi:[0,1,1]
	v_dual_mov_b32 v27, v47 :: v_dual_mov_b32 v66, v71
	s_delay_alu instid0(VALU_DEP_2) | instskip(SKIP_1) | instid1(VALU_DEP_2)
	v_pk_fma_f32 v[46:47], v[68:69], v[24:25], v[64:65] op_sel_hi:[0,1,1]
	v_mov_b32_e32 v24, v48
	v_pk_fma_f32 v[64:65], v[68:69], v[26:27], v[46:47] op_sel:[1,0,0]
	v_mov_b32_e32 v27, v48
	s_delay_alu instid0(VALU_DEP_3) | instskip(SKIP_1) | instid1(VALU_DEP_2)
	v_pk_fma_f32 v[46:47], v[70:71], v[24:25], v[80:81] op_sel_hi:[0,1,1]
	v_mov_b32_e32 v24, v56
	v_pk_fma_f32 v[46:47], v[66:67], v[26:27], v[46:47] op_sel_hi:[0,1,1]
	v_mov_b32_e32 v27, v56
	s_delay_alu instid0(VALU_DEP_2) | instskip(SKIP_1) | instid1(VALU_DEP_2)
	v_pk_fma_f32 v[46:47], v[72:73], v[24:25], v[46:47] op_sel_hi:[0,1,1]
	v_mov_b32_e32 v24, v52
	v_pk_fma_f32 v[46:47], v[72:73], v[26:27], v[46:47] op_sel:[1,0,0]
	v_dual_mov_b32 v27, v52 :: v_dual_lshlrev_b32 v52, 2, v1
	s_delay_alu instid0(VALU_DEP_2) | instskip(SKIP_2) | instid1(VALU_DEP_2)
	v_pk_fma_f32 v[46:47], v[74:75], v[24:25], v[46:47] op_sel_hi:[0,1,1]
	s_wait_loadcnt 0x5
	v_mov_b32_e32 v24, v18
	v_pk_fma_f32 v[46:47], v[76:77], v[26:27], v[46:47] op_sel_hi:[0,1,1]
	s_wait_loadcnt 0x1
	v_dual_mov_b32 v27, v18 :: v_dual_mov_b32 v78, v39
	s_delay_alu instid0(VALU_DEP_2) | instskip(SKIP_1) | instid1(VALU_DEP_2)
	v_pk_fma_f32 v[46:47], v[36:37], v[24:25], v[46:47] op_sel_hi:[0,1,1]
	v_mov_b32_e32 v24, v14
	v_pk_fma_f32 v[46:47], v[36:37], v[26:27], v[46:47] op_sel:[1,0,0]
	v_mov_b32_e32 v27, v14
	s_delay_alu instid0(VALU_DEP_2) | instskip(SKIP_1) | instid1(VALU_DEP_2)
	v_pk_fma_f32 v[46:47], v[38:39], v[24:25], v[46:47] op_sel_hi:[0,1,1]
	v_mov_b32_e32 v24, v28
	v_pk_fma_f32 v[46:47], v[78:79], v[26:27], v[46:47] op_sel_hi:[0,1,1]
	v_mov_b32_e32 v27, v49
	s_wait_loadcnt 0x0
	s_delay_alu instid0(VALU_DEP_2) | instskip(SKIP_1) | instid1(VALU_DEP_1)
	v_pk_fma_f32 v[68:69], v[60:61], v[24:25], v[46:47] op_sel_hi:[0,1,1]
	v_mov_b32_e32 v24, v49
	v_pk_fma_f32 v[44:45], v[70:71], v[24:25], v[44:45] op_sel_hi:[0,1,1]
	v_mov_b32_e32 v24, v57
	s_delay_alu instid0(VALU_DEP_2) | instskip(SKIP_1) | instid1(VALU_DEP_2)
	v_pk_fma_f32 v[44:45], v[66:67], v[26:27], v[44:45] op_sel_hi:[0,1,1]
	v_mov_b32_e32 v27, v57
	v_pk_fma_f32 v[44:45], v[72:73], v[24:25], v[44:45] op_sel_hi:[0,1,1]
	v_mov_b32_e32 v24, v53
	s_delay_alu instid0(VALU_DEP_2) | instskip(SKIP_1) | instid1(VALU_DEP_2)
	v_pk_fma_f32 v[44:45], v[72:73], v[26:27], v[44:45] op_sel:[1,0,0]
	v_dual_mov_b32 v27, v53 :: v_dual_ashrrev_i32 v53, 31, v52
	v_pk_fma_f32 v[44:45], v[74:75], v[24:25], v[44:45] op_sel_hi:[0,1,1]
	v_mov_b32_e32 v24, v19
	s_delay_alu instid0(VALU_DEP_3) | instskip(NEXT) | instid1(VALU_DEP_3)
	v_lshl_add_u64 v[52:53], v[52:53], 3, s[4:5]
	v_pk_fma_f32 v[44:45], v[76:77], v[26:27], v[44:45] op_sel_hi:[0,1,1]
	v_mov_b32_e32 v27, v19
	s_delay_alu instid0(VALU_DEP_2) | instskip(SKIP_4) | instid1(VALU_DEP_2)
	v_pk_fma_f32 v[18:19], v[36:37], v[24:25], v[44:45] op_sel_hi:[0,1,1]
	v_mov_b32_e32 v24, v15
	global_load_b128 v[44:47], v[12:13], off offset:768
	v_pk_fma_f32 v[18:19], v[36:37], v[26:27], v[18:19] op_sel:[1,0,0]
	v_mov_b32_e32 v27, v15
	v_pk_fma_f32 v[14:15], v[38:39], v[24:25], v[18:19] op_sel_hi:[0,1,1]
	v_mov_b32_e32 v24, v29
	s_delay_alu instid0(VALU_DEP_2) | instskip(SKIP_1) | instid1(VALU_DEP_2)
	v_pk_fma_f32 v[14:15], v[78:79], v[26:27], v[14:15] op_sel_hi:[0,1,1]
	v_mov_b32_e32 v27, v50
	v_pk_fma_f32 v[18:19], v[60:61], v[24:25], v[14:15] op_sel_hi:[0,1,1]
	v_mov_b32_e32 v24, v50
	s_delay_alu instid0(VALU_DEP_1) | instskip(SKIP_1) | instid1(VALU_DEP_2)
	v_pk_fma_f32 v[14:15], v[70:71], v[24:25], v[82:83] op_sel_hi:[0,1,1]
	v_mov_b32_e32 v24, v58
	v_pk_fma_f32 v[14:15], v[66:67], v[26:27], v[14:15] op_sel_hi:[0,1,1]
	v_mov_b32_e32 v27, v58
	s_delay_alu instid0(VALU_DEP_2) | instskip(SKIP_1) | instid1(VALU_DEP_2)
	v_pk_fma_f32 v[14:15], v[72:73], v[24:25], v[14:15] op_sel_hi:[0,1,1]
	v_mov_b32_e32 v24, v54
	v_pk_fma_f32 v[14:15], v[72:73], v[26:27], v[14:15] op_sel:[1,0,0]
	v_mov_b32_e32 v27, v54
	s_delay_alu instid0(VALU_DEP_2) | instskip(SKIP_1) | instid1(VALU_DEP_2)
	v_pk_fma_f32 v[14:15], v[74:75], v[24:25], v[14:15] op_sel_hi:[0,1,1]
	v_mov_b32_e32 v24, v20
	v_pk_fma_f32 v[14:15], v[76:77], v[26:27], v[14:15] op_sel_hi:[0,1,1]
	v_mov_b32_e32 v27, v20
	s_delay_alu instid0(VALU_DEP_2) | instskip(SKIP_1) | instid1(VALU_DEP_2)
	v_pk_fma_f32 v[14:15], v[36:37], v[24:25], v[14:15] op_sel_hi:[0,1,1]
	v_mov_b32_e32 v24, v16
	v_pk_fma_f32 v[14:15], v[36:37], v[26:27], v[14:15] op_sel:[1,0,0]
	v_mov_b32_e32 v27, v16
	s_delay_alu instid0(VALU_DEP_2) | instskip(SKIP_1) | instid1(VALU_DEP_2)
	v_pk_fma_f32 v[14:15], v[38:39], v[24:25], v[14:15] op_sel_hi:[0,1,1]
	v_mov_b32_e32 v24, v30
	v_pk_fma_f32 v[14:15], v[78:79], v[26:27], v[14:15] op_sel_hi:[0,1,1]
	v_mov_b32_e32 v27, v51
	s_delay_alu instid0(VALU_DEP_2) | instskip(SKIP_4) | instid1(VALU_DEP_2)
	v_pk_fma_f32 v[80:81], v[60:61], v[24:25], v[14:15] op_sel_hi:[0,1,1]
	v_mov_b32_e32 v24, v51
	global_load_b128 v[48:51], v[12:13], off offset:800
	v_pk_fma_f32 v[14:15], v[70:71], v[24:25], v[64:65] op_sel_hi:[0,1,1]
	v_mov_b32_e32 v24, v59
	v_pk_fma_f32 v[14:15], v[66:67], v[26:27], v[14:15] op_sel_hi:[0,1,1]
	v_mov_b32_e32 v27, v59
	s_clause 0x1
	global_load_b128 v[56:59], v[52:53], off
	global_load_b128 v[64:67], v[52:53], off offset:16
	v_mov_b32_e32 v70, v63
	v_pk_fma_f32 v[14:15], v[72:73], v[24:25], v[14:15] op_sel_hi:[0,1,1]
	v_mov_b32_e32 v24, v55
	s_delay_alu instid0(VALU_DEP_2)
	v_pk_fma_f32 v[14:15], v[72:73], v[26:27], v[14:15] op_sel:[1,0,0]
	v_mov_b32_e32 v27, v55
	global_load_b128 v[52:55], v[12:13], off offset:816
	s_wait_xcnt 0x0
	v_add_nc_u64_e32 v[12:13], 0x400, v[12:13]
	v_pk_fma_f32 v[14:15], v[74:75], v[24:25], v[14:15] op_sel_hi:[0,1,1]
	v_mov_b32_e32 v24, v21
	s_delay_alu instid0(VALU_DEP_2) | instskip(SKIP_1) | instid1(VALU_DEP_2)
	v_pk_fma_f32 v[14:15], v[76:77], v[26:27], v[14:15] op_sel_hi:[0,1,1]
	v_mov_b32_e32 v27, v21
	v_pk_fma_f32 v[14:15], v[36:37], v[24:25], v[14:15] op_sel_hi:[0,1,1]
	v_mov_b32_e32 v24, v17
	s_delay_alu instid0(VALU_DEP_2) | instskip(SKIP_1) | instid1(VALU_DEP_2)
	v_pk_fma_f32 v[14:15], v[36:37], v[26:27], v[14:15] op_sel:[1,0,0]
	v_mov_b32_e32 v27, v17
	v_pk_fma_f32 v[14:15], v[38:39], v[24:25], v[14:15] op_sel_hi:[0,1,1]
	v_mov_b32_e32 v24, v31
	s_delay_alu instid0(VALU_DEP_2) | instskip(SKIP_1) | instid1(VALU_DEP_2)
	v_pk_fma_f32 v[14:15], v[78:79], v[26:27], v[14:15] op_sel_hi:[0,1,1]
	v_mov_b32_e32 v27, v28
	v_pk_fma_f32 v[36:37], v[60:61], v[24:25], v[14:15] op_sel_hi:[0,1,1]
	v_mov_b32_e32 v24, v32
	s_delay_alu instid0(VALU_DEP_3) | instskip(SKIP_1) | instid1(VALU_DEP_2)
	v_pk_fma_f32 v[14:15], v[60:61], v[26:27], v[68:69] op_sel:[1,0,0]
	v_mov_b32_e32 v27, v32
	v_pk_fma_f32 v[14:15], v[62:63], v[24:25], v[14:15] op_sel_hi:[0,1,1]
	s_wait_loadcnt 0x2
	v_dual_mov_b32 v24, v44 :: v_dual_mov_b32 v72, v59
	s_wait_loadcnt 0x1
	v_mov_b32_e32 v74, v67
	v_pk_fma_f32 v[14:15], v[70:71], v[26:27], v[14:15] op_sel_hi:[0,1,1]
	v_mov_b32_e32 v27, v44
	s_delay_alu instid0(VALU_DEP_2) | instskip(SKIP_1) | instid1(VALU_DEP_2)
	v_pk_fma_f32 v[14:15], v[56:57], v[24:25], v[14:15] op_sel_hi:[0,1,1]
	v_mov_b32_e32 v24, v40
	v_pk_fma_f32 v[14:15], v[56:57], v[26:27], v[14:15] op_sel:[1,0,0]
	v_mov_b32_e32 v27, v40
	s_delay_alu instid0(VALU_DEP_2) | instskip(SKIP_1) | instid1(VALU_DEP_2)
	v_pk_fma_f32 v[14:15], v[58:59], v[24:25], v[14:15] op_sel_hi:[0,1,1]
	v_mov_b32_e32 v24, v48
	v_pk_fma_f32 v[14:15], v[72:73], v[26:27], v[14:15] op_sel_hi:[0,1,1]
	v_mov_b32_e32 v27, v48
	s_delay_alu instid0(VALU_DEP_2) | instskip(SKIP_2) | instid1(VALU_DEP_2)
	v_pk_fma_f32 v[14:15], v[64:65], v[24:25], v[14:15] op_sel_hi:[0,1,1]
	s_wait_loadcnt 0x0
	v_mov_b32_e32 v24, v52
	v_pk_fma_f32 v[14:15], v[64:65], v[26:27], v[14:15] op_sel:[1,0,0]
	v_mov_b32_e32 v27, v52
	s_delay_alu instid0(VALU_DEP_2) | instskip(SKIP_1) | instid1(VALU_DEP_2)
	v_pk_fma_f32 v[14:15], v[66:67], v[24:25], v[14:15] op_sel_hi:[0,1,1]
	v_mov_b32_e32 v24, v33
	v_pk_fma_f32 v[14:15], v[74:75], v[26:27], v[14:15] op_sel_hi:[0,1,1]
	v_mov_b32_e32 v27, v29
	s_delay_alu instid0(VALU_DEP_1) | instskip(SKIP_1) | instid1(VALU_DEP_2)
	v_pk_fma_f32 v[16:17], v[60:61], v[26:27], v[18:19] op_sel:[1,0,0]
	v_mov_b32_e32 v27, v33
	v_pk_fma_f32 v[16:17], v[62:63], v[24:25], v[16:17] op_sel_hi:[0,1,1]
	v_mov_b32_e32 v24, v45
	s_delay_alu instid0(VALU_DEP_2) | instskip(SKIP_1) | instid1(VALU_DEP_2)
	v_pk_fma_f32 v[16:17], v[70:71], v[26:27], v[16:17] op_sel_hi:[0,1,1]
	v_mov_b32_e32 v27, v45
	v_pk_fma_f32 v[16:17], v[56:57], v[24:25], v[16:17] op_sel_hi:[0,1,1]
	v_mov_b32_e32 v24, v41
	s_delay_alu instid0(VALU_DEP_2) | instskip(SKIP_1) | instid1(VALU_DEP_2)
	v_pk_fma_f32 v[16:17], v[56:57], v[26:27], v[16:17] op_sel:[1,0,0]
	v_mov_b32_e32 v27, v41
	v_pk_fma_f32 v[16:17], v[58:59], v[24:25], v[16:17] op_sel_hi:[0,1,1]
	v_mov_b32_e32 v24, v49
	s_delay_alu instid0(VALU_DEP_2) | instskip(SKIP_1) | instid1(VALU_DEP_2)
	v_pk_fma_f32 v[16:17], v[72:73], v[26:27], v[16:17] op_sel_hi:[0,1,1]
	v_mov_b32_e32 v27, v49
	v_pk_fma_f32 v[16:17], v[64:65], v[24:25], v[16:17] op_sel_hi:[0,1,1]
	v_mov_b32_e32 v24, v53
	s_delay_alu instid0(VALU_DEP_2) | instskip(SKIP_1) | instid1(VALU_DEP_2)
	v_pk_fma_f32 v[16:17], v[64:65], v[26:27], v[16:17] op_sel:[1,0,0]
	v_mov_b32_e32 v27, v53
	v_pk_fma_f32 v[16:17], v[66:67], v[24:25], v[16:17] op_sel_hi:[0,1,1]
	v_mov_b32_e32 v24, v34
	s_delay_alu instid0(VALU_DEP_2) | instskip(SKIP_1) | instid1(VALU_DEP_1)
	v_pk_fma_f32 v[16:17], v[74:75], v[26:27], v[16:17] op_sel_hi:[0,1,1]
	v_mov_b32_e32 v27, v30
	v_pk_fma_f32 v[18:19], v[60:61], v[26:27], v[80:81] op_sel:[1,0,0]
	v_mov_b32_e32 v27, v34
	s_delay_alu instid0(VALU_DEP_2) | instskip(SKIP_1) | instid1(VALU_DEP_2)
	v_pk_fma_f32 v[18:19], v[62:63], v[24:25], v[18:19] op_sel_hi:[0,1,1]
	v_mov_b32_e32 v24, v46
	v_pk_fma_f32 v[18:19], v[70:71], v[26:27], v[18:19] op_sel_hi:[0,1,1]
	v_mov_b32_e32 v27, v46
	s_delay_alu instid0(VALU_DEP_2) | instskip(SKIP_1) | instid1(VALU_DEP_2)
	v_pk_fma_f32 v[18:19], v[56:57], v[24:25], v[18:19] op_sel_hi:[0,1,1]
	v_mov_b32_e32 v24, v42
	v_pk_fma_f32 v[18:19], v[56:57], v[26:27], v[18:19] op_sel:[1,0,0]
	v_mov_b32_e32 v27, v42
	s_delay_alu instid0(VALU_DEP_2) | instskip(SKIP_1) | instid1(VALU_DEP_2)
	v_pk_fma_f32 v[18:19], v[58:59], v[24:25], v[18:19] op_sel_hi:[0,1,1]
	v_mov_b32_e32 v24, v50
	v_pk_fma_f32 v[18:19], v[72:73], v[26:27], v[18:19] op_sel_hi:[0,1,1]
	v_mov_b32_e32 v27, v50
	s_delay_alu instid0(VALU_DEP_2) | instskip(SKIP_1) | instid1(VALU_DEP_2)
	v_pk_fma_f32 v[18:19], v[64:65], v[24:25], v[18:19] op_sel_hi:[0,1,1]
	v_mov_b32_e32 v24, v54
	v_pk_fma_f32 v[18:19], v[64:65], v[26:27], v[18:19] op_sel:[1,0,0]
	v_mov_b32_e32 v27, v54
	s_delay_alu instid0(VALU_DEP_2) | instskip(SKIP_1) | instid1(VALU_DEP_2)
	v_pk_fma_f32 v[18:19], v[66:67], v[24:25], v[18:19] op_sel_hi:[0,1,1]
	v_mov_b32_e32 v24, v35
	v_pk_fma_f32 v[20:21], v[74:75], v[26:27], v[18:19] op_sel_hi:[0,1,1]
	v_mov_b32_e32 v27, v31
	s_delay_alu instid0(VALU_DEP_1) | instskip(SKIP_1) | instid1(VALU_DEP_2)
	v_pk_fma_f32 v[18:19], v[60:61], v[26:27], v[36:37] op_sel:[1,0,0]
	v_mov_b32_e32 v27, v35
	v_pk_fma_f32 v[18:19], v[62:63], v[24:25], v[18:19] op_sel_hi:[0,1,1]
	v_mov_b32_e32 v24, v47
	s_delay_alu instid0(VALU_DEP_2) | instskip(SKIP_1) | instid1(VALU_DEP_2)
	v_pk_fma_f32 v[18:19], v[70:71], v[26:27], v[18:19] op_sel_hi:[0,1,1]
	v_mov_b32_e32 v27, v47
	v_pk_fma_f32 v[18:19], v[56:57], v[24:25], v[18:19] op_sel_hi:[0,1,1]
	v_mov_b32_e32 v24, v43
	s_delay_alu instid0(VALU_DEP_2) | instskip(SKIP_1) | instid1(VALU_DEP_2)
	v_pk_fma_f32 v[18:19], v[56:57], v[26:27], v[18:19] op_sel:[1,0,0]
	v_mov_b32_e32 v27, v43
	v_pk_fma_f32 v[18:19], v[58:59], v[24:25], v[18:19] op_sel_hi:[0,1,1]
	v_mov_b32_e32 v24, v51
	s_delay_alu instid0(VALU_DEP_2) | instskip(SKIP_1) | instid1(VALU_DEP_2)
	v_pk_fma_f32 v[18:19], v[72:73], v[26:27], v[18:19] op_sel_hi:[0,1,1]
	v_mov_b32_e32 v27, v51
	v_pk_fma_f32 v[18:19], v[64:65], v[24:25], v[18:19] op_sel_hi:[0,1,1]
	v_mov_b32_e32 v24, v55
	s_delay_alu instid0(VALU_DEP_2) | instskip(SKIP_1) | instid1(VALU_DEP_2)
	v_pk_fma_f32 v[18:19], v[64:65], v[26:27], v[18:19] op_sel:[1,0,0]
	v_mov_b32_e32 v27, v55
	v_pk_fma_f32 v[18:19], v[66:67], v[24:25], v[18:19] op_sel_hi:[0,1,1]
	s_delay_alu instid0(VALU_DEP_1)
	v_pk_fma_f32 v[18:19], v[74:75], v[26:27], v[18:19] op_sel_hi:[0,1,1]
	s_and_not1_b32 exec_lo, exec_lo, s7
	s_cbranch_execnz .LBB125_29
; %bb.30:
	s_or_b32 exec_lo, exec_lo, s7
.LBB125_31:
	s_delay_alu instid0(SALU_CYCLE_1)
	s_or_b32 exec_lo, exec_lo, s3
.LBB125_32:
	s_delay_alu instid0(SALU_CYCLE_1)
	s_or_b32 exec_lo, exec_lo, s6
.LBB125_33:
	v_mbcnt_lo_u32_b32 v1, -1, 0
	s_delay_alu instid0(VALU_DEP_1) | instskip(NEXT) | instid1(VALU_DEP_1)
	v_xor_b32_e32 v7, 2, v1
	v_cmp_gt_i32_e32 vcc_lo, 32, v7
	v_cndmask_b32_e32 v7, v1, v7, vcc_lo
	s_delay_alu instid0(VALU_DEP_1)
	v_lshlrev_b32_e32 v7, 2, v7
	ds_bpermute_b32 v8, v7, v14
	ds_bpermute_b32 v9, v7, v15
	;; [unrolled: 1-line block ×8, first 2 shown]
	v_xor_b32_e32 v7, 1, v1
	s_delay_alu instid0(VALU_DEP_1) | instskip(SKIP_4) | instid1(VALU_DEP_3)
	v_cmp_gt_i32_e32 vcc_lo, 32, v7
	v_cndmask_b32_e32 v1, v1, v7, vcc_lo
	v_cmp_eq_u32_e32 vcc_lo, 3, v0
	s_wait_dscnt 0x6
	v_add_f32_e32 v7, v15, v9
	v_dual_add_f32 v1, v14, v8 :: v_dual_lshlrev_b32 v24, 2, v1
	s_wait_dscnt 0x4
	v_dual_add_f32 v8, v16, v10 :: v_dual_add_f32 v9, v17, v11
	s_wait_dscnt 0x2
	v_dual_add_f32 v10, v20, v12 :: v_dual_add_f32 v11, v21, v13
	;; [unrolled: 2-line block ×3, first 2 shown]
	ds_bpermute_b32 v14, v24, v1
	ds_bpermute_b32 v15, v24, v7
	;; [unrolled: 1-line block ×8, first 2 shown]
	s_and_b32 exec_lo, exec_lo, vcc_lo
	s_cbranch_execz .LBB125_6
; %bb.34:
	s_load_b64 s[0:1], s[0:1], 0x50
	v_cmp_eq_f32_e32 vcc_lo, 0, v4
	s_wait_dscnt 0x6
	v_dual_add_f32 v0, v1, v14 :: v_dual_add_f32 v22, v7, v15
	s_wait_dscnt 0x4
	v_dual_add_f32 v8, v8, v16 :: v_dual_add_f32 v20, v9, v17
	;; [unrolled: 2-line block ×4, first 2 shown]
	v_xor_b32_e32 v18, 0x80000000, v3
	v_lshlrev_b32_e32 v6, 2, v6
	s_xor_b32 s2, s2, -1
	s_delay_alu instid0(SALU_CYCLE_1) | instskip(NEXT) | instid1(SALU_CYCLE_1)
	s_and_b32 s2, vcc_lo, s2
	s_and_saveexec_b32 s3, s2
	s_delay_alu instid0(SALU_CYCLE_1)
	s_xor_b32 s2, exec_lo, s3
	s_cbranch_execz .LBB125_36
; %bb.35:
	v_dual_mov_b32 v19, v2 :: v_dual_ashrrev_i32 v7, 31, v6
	s_delay_alu instid0(VALU_DEP_1)
	v_pk_mul_f32 v[4:5], v[22:23], v[18:19] op_sel_hi:[0,1]
	v_pk_mul_f32 v[20:21], v[20:21], v[18:19] op_sel_hi:[0,1]
	;; [unrolled: 1-line block ×4, first 2 shown]
	s_wait_kmcnt 0x0
	v_lshl_add_u64 v[18:19], v[6:7], 3, s[0:1]
	v_pk_fma_f32 v[4:5], v[2:3], v[0:1], v[4:5] op_sel_hi:[1,0,1]
	v_pk_fma_f32 v[6:7], v[2:3], v[8:9], v[20:21] op_sel_hi:[1,0,1]
	;; [unrolled: 1-line block ×4, first 2 shown]
                                        ; implicit-def: $vgpr22
                                        ; implicit-def: $vgpr8
                                        ; implicit-def: $vgpr20
                                        ; implicit-def: $vgpr10
                                        ; implicit-def: $vgpr16
                                        ; implicit-def: $vgpr12
                                        ; implicit-def: $vgpr14
	s_clause 0x1
	global_store_b128 v[18:19], v[4:7], off
	global_store_b128 v[18:19], v[0:3], off offset:16
                                        ; implicit-def: $vgpr0
                                        ; implicit-def: $vgpr2_vgpr3
                                        ; implicit-def: $vgpr4_vgpr5
                                        ; implicit-def: $vgpr18
                                        ; implicit-def: $vgpr6
.LBB125_36:
	s_wait_xcnt 0x0
	s_and_not1_saveexec_b32 s2, s2
	s_cbranch_execz .LBB125_6
; %bb.37:
	v_dual_ashrrev_i32 v7, 31, v6 :: v_dual_mov_b32 v19, v2
	s_wait_kmcnt 0x0
	s_delay_alu instid0(VALU_DEP_1) | instskip(NEXT) | instid1(VALU_DEP_2)
	v_lshl_add_u64 v[32:33], v[6:7], 3, s[0:1]
	v_pk_mul_f32 v[6:7], v[22:23], v[18:19] op_sel_hi:[0,1]
	v_pk_mul_f32 v[20:21], v[20:21], v[18:19] op_sel_hi:[0,1]
	;; [unrolled: 1-line block ×4, first 2 shown]
	s_clause 0x1
	global_load_b128 v[24:27], v[32:33], off
	global_load_b128 v[28:31], v[32:33], off offset:16
	v_pk_fma_f32 v[0:1], v[2:3], v[0:1], v[6:7] op_sel_hi:[1,0,1]
	v_pk_fma_f32 v[6:7], v[2:3], v[8:9], v[20:21] op_sel_hi:[1,0,1]
	v_pk_fma_f32 v[8:9], v[2:3], v[10:11], v[16:17] op_sel_hi:[1,0,1]
	v_pk_fma_f32 v[2:3], v[2:3], v[12:13], v[14:15] op_sel_hi:[1,0,1]
	v_xor_b32_e32 v22, 0x80000000, v5
	s_wait_loadcnt 0x1
	v_dual_mov_b32 v23, v4 :: v_dual_mov_b32 v10, v27
	v_pk_fma_f32 v[0:1], v[4:5], v[24:25], v[0:1] op_sel_hi:[1,0,1]
	v_pk_fma_f32 v[6:7], v[4:5], v[26:27], v[6:7] op_sel_hi:[1,0,1]
	s_wait_loadcnt 0x0
	v_pk_fma_f32 v[8:9], v[4:5], v[28:29], v[8:9] op_sel_hi:[1,0,1]
	v_pk_fma_f32 v[12:13], v[4:5], v[30:31], v[2:3] op_sel_hi:[1,0,1]
	v_mov_b32_e32 v14, v31
	v_pk_fma_f32 v[0:1], v[22:23], v[24:25], v[0:1] op_sel:[0,1,0]
	v_pk_fma_f32 v[2:3], v[22:23], v[10:11], v[6:7] op_sel_hi:[1,0,1]
	v_pk_fma_f32 v[4:5], v[22:23], v[28:29], v[8:9] op_sel:[0,1,0]
	s_delay_alu instid0(VALU_DEP_4)
	v_pk_fma_f32 v[6:7], v[22:23], v[14:15], v[12:13] op_sel_hi:[1,0,1]
	s_clause 0x1
	global_store_b128 v[32:33], v[0:3], off
	global_store_b128 v[32:33], v[4:7], off offset:16
	s_sendmsg sendmsg(MSG_DEALLOC_VGPRS)
	s_endpgm
	.section	.rodata,"a",@progbits
	.p2align	6, 0x0
	.amdhsa_kernel _ZN9rocsparseL18bsrxmvn_4x4_kernelILj128ELj4E21rocsparse_complex_numIfElifS2_S2_EEvT3_20rocsparse_direction_NS_24const_host_device_scalarIT1_EES3_PKS3_PKT2_SC_S9_PKT4_PKT5_S7_PT6_21rocsparse_index_base_b
		.amdhsa_group_segment_fixed_size 0
		.amdhsa_private_segment_fixed_size 0
		.amdhsa_kernarg_size 96
		.amdhsa_user_sgpr_count 2
		.amdhsa_user_sgpr_dispatch_ptr 0
		.amdhsa_user_sgpr_queue_ptr 0
		.amdhsa_user_sgpr_kernarg_segment_ptr 1
		.amdhsa_user_sgpr_dispatch_id 0
		.amdhsa_user_sgpr_kernarg_preload_length 0
		.amdhsa_user_sgpr_kernarg_preload_offset 0
		.amdhsa_user_sgpr_private_segment_size 0
		.amdhsa_wavefront_size32 1
		.amdhsa_uses_dynamic_stack 0
		.amdhsa_enable_private_segment 0
		.amdhsa_system_sgpr_workgroup_id_x 1
		.amdhsa_system_sgpr_workgroup_id_y 0
		.amdhsa_system_sgpr_workgroup_id_z 0
		.amdhsa_system_sgpr_workgroup_info 0
		.amdhsa_system_vgpr_workitem_id 0
		.amdhsa_next_free_vgpr 98
		.amdhsa_next_free_sgpr 16
		.amdhsa_named_barrier_count 0
		.amdhsa_reserve_vcc 1
		.amdhsa_float_round_mode_32 0
		.amdhsa_float_round_mode_16_64 0
		.amdhsa_float_denorm_mode_32 3
		.amdhsa_float_denorm_mode_16_64 3
		.amdhsa_fp16_overflow 0
		.amdhsa_memory_ordered 1
		.amdhsa_forward_progress 1
		.amdhsa_inst_pref_size 64
		.amdhsa_round_robin_scheduling 0
		.amdhsa_exception_fp_ieee_invalid_op 0
		.amdhsa_exception_fp_denorm_src 0
		.amdhsa_exception_fp_ieee_div_zero 0
		.amdhsa_exception_fp_ieee_overflow 0
		.amdhsa_exception_fp_ieee_underflow 0
		.amdhsa_exception_fp_ieee_inexact 0
		.amdhsa_exception_int_div_zero 0
	.end_amdhsa_kernel
	.section	.text._ZN9rocsparseL18bsrxmvn_4x4_kernelILj128ELj4E21rocsparse_complex_numIfElifS2_S2_EEvT3_20rocsparse_direction_NS_24const_host_device_scalarIT1_EES3_PKS3_PKT2_SC_S9_PKT4_PKT5_S7_PT6_21rocsparse_index_base_b,"axG",@progbits,_ZN9rocsparseL18bsrxmvn_4x4_kernelILj128ELj4E21rocsparse_complex_numIfElifS2_S2_EEvT3_20rocsparse_direction_NS_24const_host_device_scalarIT1_EES3_PKS3_PKT2_SC_S9_PKT4_PKT5_S7_PT6_21rocsparse_index_base_b,comdat
.Lfunc_end125:
	.size	_ZN9rocsparseL18bsrxmvn_4x4_kernelILj128ELj4E21rocsparse_complex_numIfElifS2_S2_EEvT3_20rocsparse_direction_NS_24const_host_device_scalarIT1_EES3_PKS3_PKT2_SC_S9_PKT4_PKT5_S7_PT6_21rocsparse_index_base_b, .Lfunc_end125-_ZN9rocsparseL18bsrxmvn_4x4_kernelILj128ELj4E21rocsparse_complex_numIfElifS2_S2_EEvT3_20rocsparse_direction_NS_24const_host_device_scalarIT1_EES3_PKS3_PKT2_SC_S9_PKT4_PKT5_S7_PT6_21rocsparse_index_base_b
                                        ; -- End function
	.set _ZN9rocsparseL18bsrxmvn_4x4_kernelILj128ELj4E21rocsparse_complex_numIfElifS2_S2_EEvT3_20rocsparse_direction_NS_24const_host_device_scalarIT1_EES3_PKS3_PKT2_SC_S9_PKT4_PKT5_S7_PT6_21rocsparse_index_base_b.num_vgpr, 98
	.set _ZN9rocsparseL18bsrxmvn_4x4_kernelILj128ELj4E21rocsparse_complex_numIfElifS2_S2_EEvT3_20rocsparse_direction_NS_24const_host_device_scalarIT1_EES3_PKS3_PKT2_SC_S9_PKT4_PKT5_S7_PT6_21rocsparse_index_base_b.num_agpr, 0
	.set _ZN9rocsparseL18bsrxmvn_4x4_kernelILj128ELj4E21rocsparse_complex_numIfElifS2_S2_EEvT3_20rocsparse_direction_NS_24const_host_device_scalarIT1_EES3_PKS3_PKT2_SC_S9_PKT4_PKT5_S7_PT6_21rocsparse_index_base_b.numbered_sgpr, 16
	.set _ZN9rocsparseL18bsrxmvn_4x4_kernelILj128ELj4E21rocsparse_complex_numIfElifS2_S2_EEvT3_20rocsparse_direction_NS_24const_host_device_scalarIT1_EES3_PKS3_PKT2_SC_S9_PKT4_PKT5_S7_PT6_21rocsparse_index_base_b.num_named_barrier, 0
	.set _ZN9rocsparseL18bsrxmvn_4x4_kernelILj128ELj4E21rocsparse_complex_numIfElifS2_S2_EEvT3_20rocsparse_direction_NS_24const_host_device_scalarIT1_EES3_PKS3_PKT2_SC_S9_PKT4_PKT5_S7_PT6_21rocsparse_index_base_b.private_seg_size, 0
	.set _ZN9rocsparseL18bsrxmvn_4x4_kernelILj128ELj4E21rocsparse_complex_numIfElifS2_S2_EEvT3_20rocsparse_direction_NS_24const_host_device_scalarIT1_EES3_PKS3_PKT2_SC_S9_PKT4_PKT5_S7_PT6_21rocsparse_index_base_b.uses_vcc, 1
	.set _ZN9rocsparseL18bsrxmvn_4x4_kernelILj128ELj4E21rocsparse_complex_numIfElifS2_S2_EEvT3_20rocsparse_direction_NS_24const_host_device_scalarIT1_EES3_PKS3_PKT2_SC_S9_PKT4_PKT5_S7_PT6_21rocsparse_index_base_b.uses_flat_scratch, 1
	.set _ZN9rocsparseL18bsrxmvn_4x4_kernelILj128ELj4E21rocsparse_complex_numIfElifS2_S2_EEvT3_20rocsparse_direction_NS_24const_host_device_scalarIT1_EES3_PKS3_PKT2_SC_S9_PKT4_PKT5_S7_PT6_21rocsparse_index_base_b.has_dyn_sized_stack, 0
	.set _ZN9rocsparseL18bsrxmvn_4x4_kernelILj128ELj4E21rocsparse_complex_numIfElifS2_S2_EEvT3_20rocsparse_direction_NS_24const_host_device_scalarIT1_EES3_PKS3_PKT2_SC_S9_PKT4_PKT5_S7_PT6_21rocsparse_index_base_b.has_recursion, 0
	.set _ZN9rocsparseL18bsrxmvn_4x4_kernelILj128ELj4E21rocsparse_complex_numIfElifS2_S2_EEvT3_20rocsparse_direction_NS_24const_host_device_scalarIT1_EES3_PKS3_PKT2_SC_S9_PKT4_PKT5_S7_PT6_21rocsparse_index_base_b.has_indirect_call, 0
	.section	.AMDGPU.csdata,"",@progbits
; Kernel info:
; codeLenInByte = 8072
; TotalNumSgprs: 18
; NumVgprs: 98
; ScratchSize: 0
; MemoryBound: 0
; FloatMode: 240
; IeeeMode: 1
; LDSByteSize: 0 bytes/workgroup (compile time only)
; SGPRBlocks: 0
; VGPRBlocks: 6
; NumSGPRsForWavesPerEU: 18
; NumVGPRsForWavesPerEU: 98
; NamedBarCnt: 0
; Occupancy: 9
; WaveLimiterHint : 1
; COMPUTE_PGM_RSRC2:SCRATCH_EN: 0
; COMPUTE_PGM_RSRC2:USER_SGPR: 2
; COMPUTE_PGM_RSRC2:TRAP_HANDLER: 0
; COMPUTE_PGM_RSRC2:TGID_X_EN: 1
; COMPUTE_PGM_RSRC2:TGID_Y_EN: 0
; COMPUTE_PGM_RSRC2:TGID_Z_EN: 0
; COMPUTE_PGM_RSRC2:TIDIG_COMP_CNT: 0
	.section	.text._ZN9rocsparseL18bsrxmvn_4x4_kernelILj128ELj8E21rocsparse_complex_numIfElifS2_S2_EEvT3_20rocsparse_direction_NS_24const_host_device_scalarIT1_EES3_PKS3_PKT2_SC_S9_PKT4_PKT5_S7_PT6_21rocsparse_index_base_b,"axG",@progbits,_ZN9rocsparseL18bsrxmvn_4x4_kernelILj128ELj8E21rocsparse_complex_numIfElifS2_S2_EEvT3_20rocsparse_direction_NS_24const_host_device_scalarIT1_EES3_PKS3_PKT2_SC_S9_PKT4_PKT5_S7_PT6_21rocsparse_index_base_b,comdat
	.globl	_ZN9rocsparseL18bsrxmvn_4x4_kernelILj128ELj8E21rocsparse_complex_numIfElifS2_S2_EEvT3_20rocsparse_direction_NS_24const_host_device_scalarIT1_EES3_PKS3_PKT2_SC_S9_PKT4_PKT5_S7_PT6_21rocsparse_index_base_b ; -- Begin function _ZN9rocsparseL18bsrxmvn_4x4_kernelILj128ELj8E21rocsparse_complex_numIfElifS2_S2_EEvT3_20rocsparse_direction_NS_24const_host_device_scalarIT1_EES3_PKS3_PKT2_SC_S9_PKT4_PKT5_S7_PT6_21rocsparse_index_base_b
	.p2align	8
	.type	_ZN9rocsparseL18bsrxmvn_4x4_kernelILj128ELj8E21rocsparse_complex_numIfElifS2_S2_EEvT3_20rocsparse_direction_NS_24const_host_device_scalarIT1_EES3_PKS3_PKT2_SC_S9_PKT4_PKT5_S7_PT6_21rocsparse_index_base_b,@function
_ZN9rocsparseL18bsrxmvn_4x4_kernelILj128ELj8E21rocsparse_complex_numIfElifS2_S2_EEvT3_20rocsparse_direction_NS_24const_host_device_scalarIT1_EES3_PKS3_PKT2_SC_S9_PKT4_PKT5_S7_PT6_21rocsparse_index_base_b: ; @_ZN9rocsparseL18bsrxmvn_4x4_kernelILj128ELj8E21rocsparse_complex_numIfElifS2_S2_EEvT3_20rocsparse_direction_NS_24const_host_device_scalarIT1_EES3_PKS3_PKT2_SC_S9_PKT4_PKT5_S7_PT6_21rocsparse_index_base_b
; %bb.0:
	s_clause 0x2
	s_load_b64 s[12:13], s[0:1], 0x58
	s_load_b64 s[2:3], s[0:1], 0x8
	;; [unrolled: 1-line block ×3, first 2 shown]
	v_mov_b32_e32 v1, 0
	s_add_nc_u64 s[6:7], s[0:1], 8
	s_add_nc_u64 s[8:9], s[0:1], 0x48
	s_wait_kmcnt 0x0
	s_bitcmp1_b32 s13, 0
	s_cselect_b32 s3, s7, s3
	s_cselect_b32 s2, s6, s2
	s_cselect_b32 s5, s9, s5
	s_cselect_b32 s4, s8, s4
	s_clause 0x1
	flat_load_b64 v[2:3], v1, s[2:3]
	flat_load_b64 v[4:5], v1, s[4:5]
	s_wait_loadcnt_dscnt 0x101
	v_cmp_neq_f32_e32 vcc_lo, 0, v2
	v_cmp_neq_f32_e64 s3, 0, v3
	s_wait_loadcnt_dscnt 0x0
	v_cmp_neq_f32_e64 s4, 1.0, v4
	v_cmp_neq_f32_e64 s2, 0, v5
	s_or_b32 s5, vcc_lo, s3
	s_mov_b32 s3, 0
	s_or_b32 s4, s4, s2
	s_delay_alu instid0(SALU_CYCLE_1) | instskip(NEXT) | instid1(SALU_CYCLE_1)
	s_or_b32 s4, s5, s4
	s_and_saveexec_b32 s5, s4
	s_cbranch_execz .LBB126_6
; %bb.1:
	s_clause 0x1
	s_load_b64 s[4:5], s[0:1], 0x18
	s_load_b64 s[14:15], s[0:1], 0x0
	s_bfe_u32 s6, ttmp6, 0x4000c
	s_and_b32 s7, ttmp6, 15
	s_add_co_i32 s6, s6, 1
	s_getreg_b32 s8, hwreg(HW_REG_IB_STS2, 6, 4)
	s_mul_i32 s6, ttmp9, s6
	v_lshrrev_b32_e32 v1, 3, v0
	s_add_co_i32 s7, s7, s6
	s_cmp_eq_u32 s8, 0
	s_cselect_b32 s6, ttmp9, s7
	s_delay_alu instid0(VALU_DEP_1) | instid1(SALU_CYCLE_1)
	v_lshl_or_b32 v6, s6, 4, v1
	s_wait_kmcnt 0x0
	s_cmp_lg_u64 s[4:5], 0
	s_cbranch_scc0 .LBB126_7
; %bb.2:
	s_load_b32 s3, s[0:1], 0x10
	s_mov_b32 s6, 0
                                        ; implicit-def: $vgpr1
	s_wait_kmcnt 0x0
	v_cmp_gt_i32_e32 vcc_lo, s3, v6
	s_mov_b32 s3, 0
	s_and_saveexec_b32 s7, vcc_lo
	s_delay_alu instid0(SALU_CYCLE_1)
	s_xor_b32 s7, exec_lo, s7
	s_cbranch_execz .LBB126_4
; %bb.3:
	global_load_b32 v1, v6, s[4:5] scale_offset
	s_mov_b32 s3, exec_lo
	s_wait_loadcnt 0x0
	v_subrev_nc_u32_e32 v1, s12, v1
.LBB126_4:
	s_or_b32 exec_lo, exec_lo, s7
	s_delay_alu instid0(SALU_CYCLE_1)
	s_and_b32 vcc_lo, exec_lo, s6
	s_cbranch_vccz .LBB126_8
.LBB126_5:
	v_cmp_gt_i32_e32 vcc_lo, s14, v6
	s_and_not1_b32 s3, s3, exec_lo
	s_and_b32 s4, vcc_lo, exec_lo
	s_delay_alu instid0(SALU_CYCLE_1) | instskip(NEXT) | instid1(SALU_CYCLE_1)
	s_or_b32 s3, s3, s4
	s_and_b32 exec_lo, exec_lo, s3
	s_cbranch_execnz .LBB126_9
.LBB126_6:
	s_sendmsg sendmsg(MSG_DEALLOC_VGPRS)
	s_endpgm
.LBB126_7:
                                        ; implicit-def: $vgpr1
	s_cbranch_execnz .LBB126_5
.LBB126_8:
	s_delay_alu instid0(VALU_DEP_1)
	v_mov_b32_e32 v6, v1
	s_and_b32 exec_lo, exec_lo, s3
	s_cbranch_execz .LBB126_6
.LBB126_9:
	s_load_b256 s[4:11], s[0:1], 0x20
	s_mov_b32 s13, 0
	v_dual_mov_b32 v1, 0 :: v_dual_bitop2_b32 v0, 7, v0 bitop3:0x40
	s_wait_kmcnt 0x0
	s_cmp_eq_u64 s[6:7], 0
	global_load_b64 v[22:23], v6, s[4:5] scale_offset
	s_cselect_b32 vcc_lo, -1, 0
	v_ashrrev_i32_e32 v7, 31, v6
	s_cmp_eq_u32 s15, 1
	s_delay_alu instid0(VALU_DEP_1) | instskip(NEXT) | instid1(VALU_DEP_1)
	v_lshlrev_b64_e32 v[8:9], 3, v[6:7]
	v_add_nc_u64_e32 v[10:11], s[4:5], v[8:9]
	v_add_nc_u64_e32 v[8:9], s[6:7], v[8:9]
	s_wait_xcnt 0x0
	s_load_b64 s[4:5], s[0:1], 0x40
	s_delay_alu instid0(VALU_DEP_2) | instskip(NEXT) | instid1(VALU_DEP_1)
	v_add_nc_u64_e32 v[10:11], 8, v[10:11]
	v_dual_cndmask_b32 v9, v9, v11 :: v_dual_cndmask_b32 v8, v8, v10
	global_load_b64 v[10:11], v[8:9], off
	s_wait_loadcnt 0x1
	s_wait_xcnt 0x0
	v_sub_nc_u64_e64 v[8:9], v[22:23], s[12:13]
	s_delay_alu instid0(VALU_DEP_1) | instskip(NEXT) | instid1(VALU_DEP_1)
	v_add_nc_u64_e32 v[8:9], v[8:9], v[0:1]
	v_lshlrev_b64_e32 v[12:13], 6, v[8:9]
	s_delay_alu instid0(VALU_DEP_1) | instskip(SKIP_2) | instid1(VALU_DEP_1)
	v_add_nc_u64_e32 v[12:13], s[10:11], v[12:13]
	s_wait_loadcnt 0x0
	v_sub_nc_u64_e64 v[10:11], v[10:11], s[12:13]
	v_cmp_lt_i64_e64 s3, v[8:9], v[10:11]
	s_cbranch_scc1 .LBB126_21
; %bb.10:
	v_dual_mov_b32 v15, v1 :: v_dual_mov_b32 v14, v1
	v_dual_mov_b32 v17, v1 :: v_dual_mov_b32 v16, v1
	;; [unrolled: 1-line block ×4, first 2 shown]
	s_and_saveexec_b32 s6, s3
	s_cbranch_execz .LBB126_20
; %bb.11:
	v_dual_mov_b32 v15, v1 :: v_dual_bitop2_b32 v14, 8, v0 bitop3:0x54
	v_sub_nc_u64_e32 v[16:17], s[12:13], v[0:1]
	v_not_b32_e32 v19, v23
	v_not_b32_e32 v18, v22
	v_mov_b64_e32 v[24:25], v[12:13]
	v_sub_nc_u64_e64 v[14:15], v[14:15], s[12:13]
	v_mov_b64_e32 v[26:27], v[8:9]
	s_delay_alu instid0(VALU_DEP_4) | instskip(NEXT) | instid1(VALU_DEP_3)
	v_add_nc_u64_e32 v[16:17], v[16:17], v[18:19]
	v_add_nc_u64_e32 v[14:15], v[14:15], v[22:23]
	s_delay_alu instid0(VALU_DEP_1) | instskip(NEXT) | instid1(VALU_DEP_1)
	v_max_i64 v[14:15], v[14:15], v[10:11]
	v_add_nc_u64_e32 v[28:29], v[16:17], v[14:15]
	s_delay_alu instid0(VALU_DEP_1) | instskip(NEXT) | instid1(VALU_DEP_1)
	v_dual_mov_b32 v19, 0 :: v_dual_bitop2_b32 v18, 24, v28 bitop3:0x40
	v_dual_mov_b32 v20, v19 :: v_dual_mov_b32 v21, v19
	v_dual_mov_b32 v16, v19 :: v_dual_mov_b32 v17, v19
	s_delay_alu instid0(VALU_DEP_3)
	v_cmp_ne_u64_e32 vcc_lo, 24, v[18:19]
	v_dual_mov_b32 v14, v19 :: v_dual_mov_b32 v18, v19
	v_mov_b32_e32 v15, v19
	s_and_saveexec_b32 s7, vcc_lo
	s_cbranch_execz .LBB126_15
; %bb.12:
	v_dual_lshrrev_b32 v7, 3, v28 :: v_dual_mov_b32 v31, 0
	v_mov_b64_e32 v[26:27], v[8:9]
	v_mov_b64_e32 v[24:25], v[12:13]
	v_lshl_add_u64 v[32:33], v[8:9], 2, s[8:9]
	s_delay_alu instid0(VALU_DEP_4) | instskip(SKIP_2) | instid1(VALU_DEP_3)
	v_dual_mov_b32 v18, v31 :: v_dual_add_nc_u32 v7, 1, v7
	v_bfrev_b32_e32 v34, 1
	v_dual_mov_b32 v20, v31 :: v_dual_mov_b32 v21, v31
	v_dual_mov_b32 v19, v31 :: v_dual_bitop2_b32 v30, 3, v7 bitop3:0x40
	v_dual_mov_b32 v16, v31 :: v_dual_mov_b32 v17, v31
	v_dual_mov_b32 v14, v31 :: v_dual_mov_b32 v15, v31
	s_delay_alu instid0(VALU_DEP_3)
	v_sub_nc_u64_e32 v[36:37], 0, v[30:31]
	s_mov_b32 s10, 0
.LBB126_13:                             ; =>This Inner Loop Header: Depth=1
	global_load_b32 v7, v[32:33], off
	s_clause 0x1
	global_load_b128 v[38:41], v[24:25], off offset:16
	global_load_b128 v[42:45], v[24:25], off
	v_add_nc_u64_e32 v[36:37], 1, v[36:37]
	v_add_nc_u64_e32 v[26:27], 8, v[26:27]
	s_wait_xcnt 0x2
	v_add_nc_u64_e32 v[32:33], 32, v[32:33]
	s_delay_alu instid0(VALU_DEP_3)
	v_cmp_eq_u64_e32 vcc_lo, 0, v[36:37]
	s_or_b32 s10, vcc_lo, s10
	s_wait_loadcnt 0x2
	v_subrev_nc_u32_e32 v7, s12, v7
	s_wait_loadcnt 0x0
	v_dual_mov_b32 v30, v42 :: v_dual_mov_b32 v35, v42
	s_delay_alu instid0(VALU_DEP_2) | instskip(NEXT) | instid1(VALU_DEP_1)
	v_lshlrev_b32_e32 v46, 2, v7
	v_ashrrev_i32_e32 v47, 31, v46
	s_wait_kmcnt 0x0
	s_delay_alu instid0(VALU_DEP_1)
	v_lshl_add_u64 v[62:63], v[46:47], 3, s[4:5]
	s_clause 0x1
	global_load_b128 v[46:49], v[62:63], off
	global_load_b128 v[50:53], v[62:63], off offset:16
	s_clause 0x1
	global_load_b128 v[54:57], v[24:25], off offset:32
	global_load_b128 v[58:61], v[24:25], off offset:48
	s_wait_xcnt 0x0
	v_add_nc_u64_e32 v[24:25], 0x200, v[24:25]
	s_wait_loadcnt 0x3
	v_pk_fma_f32 v[14:15], v[46:47], v[30:31], v[14:15] op_sel_hi:[0,1,1]
	v_dual_mov_b32 v30, v43 :: v_dual_mov_b32 v42, v49
	s_wait_loadcnt 0x2
	v_mov_b32_e32 v62, v53
	s_delay_alu instid0(VALU_DEP_3) | instskip(SKIP_1) | instid1(VALU_DEP_2)
	v_pk_fma_f32 v[14:15], v[46:47], v[34:35], v[14:15] op_sel:[1,0,0]
	v_mov_b32_e32 v35, v43
	v_pk_fma_f32 v[14:15], v[48:49], v[30:31], v[14:15] op_sel_hi:[0,1,1]
	v_mov_b32_e32 v30, v44
	s_delay_alu instid0(VALU_DEP_2) | instskip(SKIP_1) | instid1(VALU_DEP_2)
	v_pk_fma_f32 v[14:15], v[42:43], v[34:35], v[14:15] op_sel_hi:[0,1,1]
	v_mov_b32_e32 v35, v44
	v_pk_fma_f32 v[14:15], v[50:51], v[30:31], v[14:15] op_sel_hi:[0,1,1]
	v_mov_b32_e32 v30, v45
	s_delay_alu instid0(VALU_DEP_2) | instskip(SKIP_1) | instid1(VALU_DEP_2)
	v_pk_fma_f32 v[14:15], v[50:51], v[34:35], v[14:15] op_sel:[1,0,0]
	v_mov_b32_e32 v35, v45
	v_pk_fma_f32 v[14:15], v[52:53], v[30:31], v[14:15] op_sel_hi:[0,1,1]
	v_mov_b32_e32 v30, v38
	s_delay_alu instid0(VALU_DEP_2) | instskip(SKIP_1) | instid1(VALU_DEP_3)
	v_pk_fma_f32 v[14:15], v[62:63], v[34:35], v[14:15] op_sel_hi:[0,1,1]
	v_mov_b32_e32 v35, v38
	v_pk_fma_f32 v[16:17], v[46:47], v[30:31], v[16:17] op_sel_hi:[0,1,1]
	v_mov_b32_e32 v30, v39
	s_delay_alu instid0(VALU_DEP_2) | instskip(SKIP_1) | instid1(VALU_DEP_2)
	v_pk_fma_f32 v[16:17], v[46:47], v[34:35], v[16:17] op_sel:[1,0,0]
	v_mov_b32_e32 v35, v39
	v_pk_fma_f32 v[16:17], v[48:49], v[30:31], v[16:17] op_sel_hi:[0,1,1]
	v_mov_b32_e32 v30, v40
	s_delay_alu instid0(VALU_DEP_2) | instskip(SKIP_1) | instid1(VALU_DEP_2)
	v_pk_fma_f32 v[16:17], v[42:43], v[34:35], v[16:17] op_sel_hi:[0,1,1]
	v_mov_b32_e32 v35, v40
	v_pk_fma_f32 v[16:17], v[50:51], v[30:31], v[16:17] op_sel_hi:[0,1,1]
	v_mov_b32_e32 v30, v41
	s_delay_alu instid0(VALU_DEP_2) | instskip(SKIP_1) | instid1(VALU_DEP_2)
	v_pk_fma_f32 v[16:17], v[50:51], v[34:35], v[16:17] op_sel:[1,0,0]
	v_mov_b32_e32 v35, v41
	v_pk_fma_f32 v[16:17], v[52:53], v[30:31], v[16:17] op_sel_hi:[0,1,1]
	s_wait_loadcnt 0x1
	v_mov_b32_e32 v30, v54
	s_delay_alu instid0(VALU_DEP_2) | instskip(SKIP_1) | instid1(VALU_DEP_3)
	v_pk_fma_f32 v[16:17], v[62:63], v[34:35], v[16:17] op_sel_hi:[0,1,1]
	v_mov_b32_e32 v35, v54
	v_pk_fma_f32 v[20:21], v[46:47], v[30:31], v[20:21] op_sel_hi:[0,1,1]
	v_mov_b32_e32 v30, v55
	s_delay_alu instid0(VALU_DEP_2) | instskip(SKIP_1) | instid1(VALU_DEP_2)
	v_pk_fma_f32 v[20:21], v[46:47], v[34:35], v[20:21] op_sel:[1,0,0]
	v_mov_b32_e32 v35, v55
	v_pk_fma_f32 v[20:21], v[48:49], v[30:31], v[20:21] op_sel_hi:[0,1,1]
	v_mov_b32_e32 v30, v56
	s_delay_alu instid0(VALU_DEP_2) | instskip(SKIP_1) | instid1(VALU_DEP_2)
	v_pk_fma_f32 v[20:21], v[42:43], v[34:35], v[20:21] op_sel_hi:[0,1,1]
	v_mov_b32_e32 v35, v56
	v_pk_fma_f32 v[20:21], v[50:51], v[30:31], v[20:21] op_sel_hi:[0,1,1]
	v_mov_b32_e32 v30, v57
	s_delay_alu instid0(VALU_DEP_2) | instskip(SKIP_1) | instid1(VALU_DEP_2)
	v_pk_fma_f32 v[20:21], v[50:51], v[34:35], v[20:21] op_sel:[1,0,0]
	v_mov_b32_e32 v35, v57
	v_pk_fma_f32 v[20:21], v[52:53], v[30:31], v[20:21] op_sel_hi:[0,1,1]
	s_wait_loadcnt 0x0
	v_mov_b32_e32 v30, v58
	s_delay_alu instid0(VALU_DEP_2) | instskip(SKIP_1) | instid1(VALU_DEP_3)
	v_pk_fma_f32 v[20:21], v[62:63], v[34:35], v[20:21] op_sel_hi:[0,1,1]
	v_mov_b32_e32 v35, v58
	v_pk_fma_f32 v[18:19], v[46:47], v[30:31], v[18:19] op_sel_hi:[0,1,1]
	v_mov_b32_e32 v30, v59
	s_delay_alu instid0(VALU_DEP_2) | instskip(SKIP_1) | instid1(VALU_DEP_2)
	v_pk_fma_f32 v[18:19], v[46:47], v[34:35], v[18:19] op_sel:[1,0,0]
	v_mov_b32_e32 v35, v59
	v_pk_fma_f32 v[18:19], v[48:49], v[30:31], v[18:19] op_sel_hi:[0,1,1]
	v_mov_b32_e32 v30, v60
	s_delay_alu instid0(VALU_DEP_2) | instskip(SKIP_1) | instid1(VALU_DEP_2)
	v_pk_fma_f32 v[18:19], v[42:43], v[34:35], v[18:19] op_sel_hi:[0,1,1]
	v_mov_b32_e32 v35, v60
	v_pk_fma_f32 v[18:19], v[50:51], v[30:31], v[18:19] op_sel_hi:[0,1,1]
	v_mov_b32_e32 v30, v61
	s_delay_alu instid0(VALU_DEP_2) | instskip(SKIP_1) | instid1(VALU_DEP_2)
	v_pk_fma_f32 v[18:19], v[50:51], v[34:35], v[18:19] op_sel:[1,0,0]
	v_mov_b32_e32 v35, v61
	v_pk_fma_f32 v[18:19], v[52:53], v[30:31], v[18:19] op_sel_hi:[0,1,1]
	s_delay_alu instid0(VALU_DEP_1)
	v_pk_fma_f32 v[18:19], v[62:63], v[34:35], v[18:19] op_sel_hi:[0,1,1]
	s_and_not1_b32 exec_lo, exec_lo, s10
	s_cbranch_execnz .LBB126_13
; %bb.14:
	s_or_b32 exec_lo, exec_lo, s10
.LBB126_15:
	s_delay_alu instid0(SALU_CYCLE_1) | instskip(NEXT) | instid1(SALU_CYCLE_1)
	s_or_b32 exec_lo, exec_lo, s7
	s_mov_b32 s7, exec_lo
	v_cmpx_lt_u64_e32 23, v[28:29]
	s_cbranch_execz .LBB126_19
; %bb.16:
	v_lshl_add_u64 v[28:29], v[26:27], 2, s[8:9]
	v_mov_b32_e32 v31, 0
	v_bfrev_b32_e32 v32, 1
	s_mov_b32 s10, 0
	s_delay_alu instid0(VALU_DEP_3)
	v_add_nc_u64_e32 v[28:29], 64, v[28:29]
.LBB126_17:                             ; =>This Inner Loop Header: Depth=1
	s_clause 0x1
	global_load_b32 v7, v[28:29], off offset:-64
	global_load_b32 v30, v[28:29], off offset:-32
	s_clause 0x7
	global_load_b128 v[34:37], v[24:25], off
	global_load_b128 v[38:41], v[24:25], off offset:16
	global_load_b128 v[42:45], v[24:25], off offset:560
	global_load_b128 v[46:49], v[24:25], off offset:544
	global_load_b128 v[50:53], v[24:25], off offset:528
	global_load_b128 v[54:57], v[24:25], off offset:512
	global_load_b128 v[58:61], v[24:25], off offset:48
	global_load_b128 v[62:65], v[24:25], off offset:32
	s_clause 0x1
	global_load_b32 v94, v[28:29], off
	global_load_b32 v95, v[28:29], off offset:32
	global_load_b128 v[66:69], v[24:25], off offset:1024
	v_add_nc_u64_e32 v[26:27], 32, v[26:27]
	s_wait_xcnt 0x1
	v_add_nc_u64_e32 v[28:29], 0x80, v[28:29]
	s_delay_alu instid0(VALU_DEP_2)
	v_cmp_ge_i64_e32 vcc_lo, v[26:27], v[10:11]
	s_or_b32 s10, vcc_lo, s10
	s_wait_loadcnt 0xc
	v_subrev_nc_u32_e32 v7, s12, v7
	s_wait_loadcnt 0xb
	v_subrev_nc_u32_e32 v71, s12, v30
	s_wait_loadcnt 0xa
	v_dual_mov_b32 v30, v34 :: v_dual_mov_b32 v33, v34
	s_delay_alu instid0(VALU_DEP_2) | instskip(SKIP_3) | instid1(VALU_DEP_2)
	v_lshlrev_b32_e32 v72, 2, v71
	v_lshlrev_b32_e32 v70, 2, v7
	s_wait_loadcnt 0x2
	v_subrev_nc_u32_e32 v7, s12, v94
	v_dual_ashrrev_i32 v73, 31, v72 :: v_dual_ashrrev_i32 v71, 31, v70
	s_wait_kmcnt 0x0
	s_delay_alu instid0(VALU_DEP_1) | instskip(NEXT) | instid1(VALU_DEP_2)
	v_lshl_add_u64 v[88:89], v[72:73], 3, s[4:5]
	v_lshl_add_u64 v[86:87], v[70:71], 3, s[4:5]
	s_clause 0x3
	global_load_b128 v[70:73], v[86:87], off
	global_load_b128 v[74:77], v[86:87], off offset:16
	global_load_b128 v[78:81], v[88:89], off
	global_load_b128 v[82:85], v[88:89], off offset:16
	s_wait_loadcnt 0x3
	v_pk_fma_f32 v[14:15], v[70:71], v[30:31], v[14:15] op_sel_hi:[0,1,1]
	s_wait_xcnt 0x2
	v_dual_mov_b32 v30, v35 :: v_dual_mov_b32 v86, v73
	s_wait_loadcnt 0x2
	s_wait_xcnt 0x0
	v_mov_b32_e32 v88, v77
	v_pk_fma_f32 v[14:15], v[70:71], v[32:33], v[14:15] op_sel:[1,0,0]
	v_mov_b32_e32 v33, v35
	s_delay_alu instid0(VALU_DEP_2) | instskip(SKIP_1) | instid1(VALU_DEP_2)
	v_pk_fma_f32 v[14:15], v[72:73], v[30:31], v[14:15] op_sel_hi:[0,1,1]
	v_mov_b32_e32 v30, v36
	v_pk_fma_f32 v[14:15], v[86:87], v[32:33], v[14:15] op_sel_hi:[0,1,1]
	v_mov_b32_e32 v33, v36
	s_delay_alu instid0(VALU_DEP_2) | instskip(SKIP_1) | instid1(VALU_DEP_2)
	v_pk_fma_f32 v[14:15], v[74:75], v[30:31], v[14:15] op_sel_hi:[0,1,1]
	v_mov_b32_e32 v30, v37
	v_pk_fma_f32 v[14:15], v[74:75], v[32:33], v[14:15] op_sel:[1,0,0]
	v_mov_b32_e32 v33, v37
	s_delay_alu instid0(VALU_DEP_2) | instskip(SKIP_1) | instid1(VALU_DEP_2)
	v_pk_fma_f32 v[14:15], v[76:77], v[30:31], v[14:15] op_sel_hi:[0,1,1]
	v_mov_b32_e32 v30, v54
	v_pk_fma_f32 v[14:15], v[88:89], v[32:33], v[14:15] op_sel_hi:[0,1,1]
	v_mov_b32_e32 v33, v54
	s_wait_loadcnt 0x1
	s_delay_alu instid0(VALU_DEP_2) | instskip(SKIP_1) | instid1(VALU_DEP_2)
	v_pk_fma_f32 v[14:15], v[78:79], v[30:31], v[14:15] op_sel_hi:[0,1,1]
	v_mov_b32_e32 v30, v38
	v_pk_fma_f32 v[90:91], v[78:79], v[32:33], v[14:15] op_sel:[1,0,0]
	v_mov_b32_e32 v33, v38
	s_delay_alu instid0(VALU_DEP_3) | instskip(SKIP_1) | instid1(VALU_DEP_2)
	v_pk_fma_f32 v[14:15], v[70:71], v[30:31], v[16:17] op_sel_hi:[0,1,1]
	v_mov_b32_e32 v30, v39
	v_pk_fma_f32 v[14:15], v[70:71], v[32:33], v[14:15] op_sel:[1,0,0]
	v_mov_b32_e32 v33, v39
	v_subrev_nc_u32_e32 v39, s12, v95
	s_delay_alu instid0(VALU_DEP_3) | instskip(SKIP_1) | instid1(VALU_DEP_2)
	v_pk_fma_f32 v[14:15], v[72:73], v[30:31], v[14:15] op_sel_hi:[0,1,1]
	v_mov_b32_e32 v30, v40
	v_pk_fma_f32 v[14:15], v[86:87], v[32:33], v[14:15] op_sel_hi:[0,1,1]
	s_delay_alu instid0(VALU_DEP_4) | instskip(SKIP_1) | instid1(VALU_DEP_3)
	v_dual_mov_b32 v33, v40 :: v_dual_lshlrev_b32 v40, 2, v39
	v_lshlrev_b32_e32 v38, 2, v7
	v_pk_fma_f32 v[14:15], v[74:75], v[30:31], v[14:15] op_sel_hi:[0,1,1]
	v_mov_b32_e32 v30, v41
	s_delay_alu instid0(VALU_DEP_2)
	v_pk_fma_f32 v[34:35], v[74:75], v[32:33], v[14:15] op_sel:[1,0,0]
	v_dual_mov_b32 v33, v41 :: v_dual_ashrrev_i32 v41, 31, v40
	v_ashrrev_i32_e32 v39, 31, v38
	global_load_b128 v[14:17], v[24:25], off offset:1536
	v_pk_fma_f32 v[34:35], v[76:77], v[30:31], v[34:35] op_sel_hi:[0,1,1]
	v_mov_b32_e32 v30, v50
	v_lshl_add_u64 v[94:95], v[40:41], 3, s[4:5]
	s_delay_alu instid0(VALU_DEP_3) | instskip(SKIP_1) | instid1(VALU_DEP_2)
	v_pk_fma_f32 v[34:35], v[88:89], v[32:33], v[34:35] op_sel_hi:[0,1,1]
	v_mov_b32_e32 v33, v50
	v_pk_fma_f32 v[34:35], v[78:79], v[30:31], v[34:35] op_sel_hi:[0,1,1]
	v_mov_b32_e32 v30, v62
	s_delay_alu instid0(VALU_DEP_2) | instskip(SKIP_1) | instid1(VALU_DEP_3)
	v_pk_fma_f32 v[92:93], v[78:79], v[32:33], v[34:35] op_sel:[1,0,0]
	v_mov_b32_e32 v33, v62
	v_pk_fma_f32 v[20:21], v[70:71], v[30:31], v[20:21] op_sel_hi:[0,1,1]
	v_mov_b32_e32 v30, v63
	global_load_b128 v[34:37], v[24:25], off offset:1040
	v_pk_fma_f32 v[20:21], v[70:71], v[32:33], v[20:21] op_sel:[1,0,0]
	v_mov_b32_e32 v33, v63
	v_lshl_add_u64 v[62:63], v[38:39], 3, s[4:5]
	s_delay_alu instid0(VALU_DEP_3) | instskip(SKIP_4) | instid1(VALU_DEP_2)
	v_pk_fma_f32 v[20:21], v[72:73], v[30:31], v[20:21] op_sel_hi:[0,1,1]
	v_mov_b32_e32 v30, v64
	global_load_b128 v[38:41], v[62:63], off
	v_pk_fma_f32 v[20:21], v[86:87], v[32:33], v[20:21] op_sel_hi:[0,1,1]
	v_mov_b32_e32 v33, v64
	v_pk_fma_f32 v[20:21], v[74:75], v[30:31], v[20:21] op_sel_hi:[0,1,1]
	v_mov_b32_e32 v30, v65
	s_delay_alu instid0(VALU_DEP_2) | instskip(SKIP_1) | instid1(VALU_DEP_2)
	v_pk_fma_f32 v[20:21], v[74:75], v[32:33], v[20:21] op_sel:[1,0,0]
	v_mov_b32_e32 v33, v65
	v_pk_fma_f32 v[20:21], v[76:77], v[30:31], v[20:21] op_sel_hi:[0,1,1]
	v_mov_b32_e32 v30, v46
	s_delay_alu instid0(VALU_DEP_2) | instskip(SKIP_1) | instid1(VALU_DEP_2)
	v_pk_fma_f32 v[20:21], v[88:89], v[32:33], v[20:21] op_sel_hi:[0,1,1]
	v_mov_b32_e32 v33, v46
	v_pk_fma_f32 v[20:21], v[78:79], v[30:31], v[20:21] op_sel_hi:[0,1,1]
	v_mov_b32_e32 v30, v58
	s_delay_alu instid0(VALU_DEP_2) | instskip(SKIP_1) | instid1(VALU_DEP_3)
	v_pk_fma_f32 v[96:97], v[78:79], v[32:33], v[20:21] op_sel:[1,0,0]
	v_mov_b32_e32 v33, v58
	v_pk_fma_f32 v[18:19], v[70:71], v[30:31], v[18:19] op_sel_hi:[0,1,1]
	v_mov_b32_e32 v30, v59
	s_delay_alu instid0(VALU_DEP_2) | instskip(SKIP_1) | instid1(VALU_DEP_2)
	v_pk_fma_f32 v[18:19], v[70:71], v[32:33], v[18:19] op_sel:[1,0,0]
	v_mov_b32_e32 v33, v59
	v_pk_fma_f32 v[18:19], v[72:73], v[30:31], v[18:19] op_sel_hi:[0,1,1]
	v_mov_b32_e32 v30, v60
	global_load_b128 v[70:73], v[94:95], off offset:16
	v_pk_fma_f32 v[18:19], v[86:87], v[32:33], v[18:19] op_sel_hi:[0,1,1]
	v_mov_b32_e32 v33, v60
	s_delay_alu instid0(VALU_DEP_2) | instskip(SKIP_1) | instid1(VALU_DEP_2)
	v_pk_fma_f32 v[18:19], v[74:75], v[30:31], v[18:19] op_sel_hi:[0,1,1]
	v_mov_b32_e32 v30, v61
	v_pk_fma_f32 v[18:19], v[74:75], v[32:33], v[18:19] op_sel:[1,0,0]
	v_mov_b32_e32 v33, v61
	s_clause 0x1
	global_load_b128 v[58:61], v[94:95], off
	global_load_b128 v[62:65], v[62:63], off offset:16
	v_mov_b32_e32 v74, v81
	v_pk_fma_f32 v[18:19], v[76:77], v[30:31], v[18:19] op_sel_hi:[0,1,1]
	s_wait_loadcnt 0x6
	v_dual_mov_b32 v30, v42 :: v_dual_mov_b32 v76, v85
	s_delay_alu instid0(VALU_DEP_2) | instskip(SKIP_1) | instid1(VALU_DEP_2)
	v_pk_fma_f32 v[18:19], v[88:89], v[32:33], v[18:19] op_sel_hi:[0,1,1]
	v_mov_b32_e32 v33, v42
	v_pk_fma_f32 v[18:19], v[78:79], v[30:31], v[18:19] op_sel_hi:[0,1,1]
	v_mov_b32_e32 v30, v55
	s_delay_alu instid0(VALU_DEP_2) | instskip(SKIP_1) | instid1(VALU_DEP_3)
	v_pk_fma_f32 v[78:79], v[78:79], v[32:33], v[18:19] op_sel:[1,0,0]
	v_mov_b32_e32 v33, v55
	v_pk_fma_f32 v[18:19], v[80:81], v[30:31], v[90:91] op_sel_hi:[0,1,1]
	v_mov_b32_e32 v30, v56
	s_delay_alu instid0(VALU_DEP_2) | instskip(SKIP_1) | instid1(VALU_DEP_2)
	v_pk_fma_f32 v[18:19], v[74:75], v[32:33], v[18:19] op_sel_hi:[0,1,1]
	v_mov_b32_e32 v33, v56
	v_pk_fma_f32 v[18:19], v[82:83], v[30:31], v[18:19] op_sel_hi:[0,1,1]
	v_mov_b32_e32 v30, v57
	s_delay_alu instid0(VALU_DEP_2) | instskip(SKIP_1) | instid1(VALU_DEP_2)
	v_pk_fma_f32 v[18:19], v[82:83], v[32:33], v[18:19] op_sel:[1,0,0]
	v_mov_b32_e32 v33, v57
	v_pk_fma_f32 v[18:19], v[84:85], v[30:31], v[18:19] op_sel_hi:[0,1,1]
	v_mov_b32_e32 v30, v66
	s_delay_alu instid0(VALU_DEP_2) | instskip(SKIP_2) | instid1(VALU_DEP_2)
	v_pk_fma_f32 v[18:19], v[76:77], v[32:33], v[18:19] op_sel_hi:[0,1,1]
	s_wait_loadcnt 0x3
	v_dual_mov_b32 v33, v66 :: v_dual_mov_b32 v42, v41
	v_pk_fma_f32 v[18:19], v[38:39], v[30:31], v[18:19] op_sel_hi:[0,1,1]
	v_mov_b32_e32 v30, v67
	s_delay_alu instid0(VALU_DEP_2) | instskip(SKIP_1) | instid1(VALU_DEP_2)
	v_pk_fma_f32 v[18:19], v[38:39], v[32:33], v[18:19] op_sel:[1,0,0]
	v_mov_b32_e32 v33, v67
	v_pk_fma_f32 v[18:19], v[40:41], v[30:31], v[18:19] op_sel_hi:[0,1,1]
	v_mov_b32_e32 v30, v68
	s_delay_alu instid0(VALU_DEP_2)
	v_pk_fma_f32 v[18:19], v[42:43], v[32:33], v[18:19] op_sel_hi:[0,1,1]
	s_wait_loadcnt 0x2
	v_dual_mov_b32 v33, v68 :: v_dual_mov_b32 v86, v73
	s_wait_loadcnt 0x1
	v_mov_b32_e32 v68, v61
	s_wait_loadcnt 0x0
	v_pk_fma_f32 v[18:19], v[30:31], v[62:63], v[18:19] op_sel_hi:[1,0,1]
	v_dual_mov_b32 v30, v69 :: v_dual_mov_b32 v66, v65
	s_delay_alu instid0(VALU_DEP_2) | instskip(SKIP_4) | instid1(VALU_DEP_2)
	v_pk_fma_f32 v[54:55], v[62:63], v[32:33], v[18:19] op_sel:[1,0,0]
	global_load_b128 v[18:21], v[24:25], off offset:1552
	v_mov_b32_e32 v33, v69
	v_pk_fma_f32 v[54:55], v[64:65], v[30:31], v[54:55] op_sel_hi:[0,1,1]
	v_mov_b32_e32 v30, v14
	v_pk_fma_f32 v[54:55], v[66:67], v[32:33], v[54:55] op_sel_hi:[0,1,1]
	v_mov_b32_e32 v33, v14
	s_delay_alu instid0(VALU_DEP_2) | instskip(SKIP_1) | instid1(VALU_DEP_2)
	v_pk_fma_f32 v[54:55], v[58:59], v[30:31], v[54:55] op_sel_hi:[0,1,1]
	v_mov_b32_e32 v30, v15
	v_pk_fma_f32 v[54:55], v[58:59], v[32:33], v[54:55] op_sel:[1,0,0]
	v_mov_b32_e32 v33, v15
	s_delay_alu instid0(VALU_DEP_2) | instskip(SKIP_4) | instid1(VALU_DEP_2)
	v_pk_fma_f32 v[14:15], v[60:61], v[30:31], v[54:55] op_sel_hi:[0,1,1]
	v_mov_b32_e32 v30, v16
	global_load_b128 v[54:57], v[24:25], off offset:1072
	v_pk_fma_f32 v[14:15], v[68:69], v[32:33], v[14:15] op_sel_hi:[0,1,1]
	v_mov_b32_e32 v33, v16
	v_pk_fma_f32 v[14:15], v[70:71], v[30:31], v[14:15] op_sel_hi:[0,1,1]
	v_mov_b32_e32 v30, v17
	s_delay_alu instid0(VALU_DEP_2) | instskip(SKIP_1) | instid1(VALU_DEP_2)
	v_pk_fma_f32 v[14:15], v[70:71], v[32:33], v[14:15] op_sel:[1,0,0]
	v_mov_b32_e32 v33, v17
	v_pk_fma_f32 v[14:15], v[72:73], v[30:31], v[14:15] op_sel_hi:[0,1,1]
	v_mov_b32_e32 v30, v51
	s_delay_alu instid0(VALU_DEP_2) | instskip(SKIP_1) | instid1(VALU_DEP_3)
	v_pk_fma_f32 v[14:15], v[86:87], v[32:33], v[14:15] op_sel_hi:[0,1,1]
	v_mov_b32_e32 v33, v51
	v_pk_fma_f32 v[16:17], v[80:81], v[30:31], v[92:93] op_sel_hi:[0,1,1]
	v_mov_b32_e32 v30, v52
	s_delay_alu instid0(VALU_DEP_2) | instskip(SKIP_1) | instid1(VALU_DEP_2)
	v_pk_fma_f32 v[16:17], v[74:75], v[32:33], v[16:17] op_sel_hi:[0,1,1]
	v_mov_b32_e32 v33, v52
	v_pk_fma_f32 v[16:17], v[82:83], v[30:31], v[16:17] op_sel_hi:[0,1,1]
	v_mov_b32_e32 v30, v53
	s_delay_alu instid0(VALU_DEP_2) | instskip(SKIP_4) | instid1(VALU_DEP_2)
	v_pk_fma_f32 v[16:17], v[82:83], v[32:33], v[16:17] op_sel:[1,0,0]
	v_mov_b32_e32 v33, v53
	global_load_b128 v[50:53], v[24:25], off offset:1056
	v_pk_fma_f32 v[16:17], v[84:85], v[30:31], v[16:17] op_sel_hi:[0,1,1]
	v_mov_b32_e32 v30, v34
	v_pk_fma_f32 v[16:17], v[76:77], v[32:33], v[16:17] op_sel_hi:[0,1,1]
	v_mov_b32_e32 v33, v34
	s_delay_alu instid0(VALU_DEP_2) | instskip(SKIP_1) | instid1(VALU_DEP_2)
	v_pk_fma_f32 v[16:17], v[38:39], v[30:31], v[16:17] op_sel_hi:[0,1,1]
	v_mov_b32_e32 v30, v35
	v_pk_fma_f32 v[16:17], v[38:39], v[32:33], v[16:17] op_sel:[1,0,0]
	v_mov_b32_e32 v33, v35
	s_delay_alu instid0(VALU_DEP_2) | instskip(SKIP_1) | instid1(VALU_DEP_2)
	v_pk_fma_f32 v[16:17], v[40:41], v[30:31], v[16:17] op_sel_hi:[0,1,1]
	v_mov_b32_e32 v30, v36
	v_pk_fma_f32 v[16:17], v[42:43], v[32:33], v[16:17] op_sel_hi:[0,1,1]
	v_mov_b32_e32 v33, v36
	s_delay_alu instid0(VALU_DEP_2) | instskip(SKIP_1) | instid1(VALU_DEP_2)
	v_pk_fma_f32 v[16:17], v[30:31], v[62:63], v[16:17] op_sel_hi:[1,0,1]
	v_mov_b32_e32 v30, v37
	v_pk_fma_f32 v[16:17], v[62:63], v[32:33], v[16:17] op_sel:[1,0,0]
	v_mov_b32_e32 v33, v37
	global_load_b128 v[34:37], v[24:25], off offset:1568
	v_pk_fma_f32 v[16:17], v[64:65], v[30:31], v[16:17] op_sel_hi:[0,1,1]
	s_delay_alu instid0(VALU_DEP_1) | instskip(SKIP_2) | instid1(VALU_DEP_1)
	v_pk_fma_f32 v[16:17], v[66:67], v[32:33], v[16:17] op_sel_hi:[0,1,1]
	s_wait_loadcnt 0x3
	v_dual_mov_b32 v30, v18 :: v_dual_mov_b32 v33, v18
	v_pk_fma_f32 v[16:17], v[58:59], v[30:31], v[16:17] op_sel_hi:[0,1,1]
	v_mov_b32_e32 v30, v19
	s_delay_alu instid0(VALU_DEP_2) | instskip(SKIP_1) | instid1(VALU_DEP_2)
	v_pk_fma_f32 v[16:17], v[58:59], v[32:33], v[16:17] op_sel:[1,0,0]
	v_mov_b32_e32 v33, v19
	v_pk_fma_f32 v[16:17], v[60:61], v[30:31], v[16:17] op_sel_hi:[0,1,1]
	v_mov_b32_e32 v30, v20
	s_delay_alu instid0(VALU_DEP_2) | instskip(SKIP_1) | instid1(VALU_DEP_2)
	v_pk_fma_f32 v[16:17], v[68:69], v[32:33], v[16:17] op_sel_hi:[0,1,1]
	v_mov_b32_e32 v33, v20
	v_pk_fma_f32 v[16:17], v[70:71], v[30:31], v[16:17] op_sel_hi:[0,1,1]
	v_mov_b32_e32 v30, v21
	s_delay_alu instid0(VALU_DEP_2) | instskip(SKIP_1) | instid1(VALU_DEP_2)
	v_pk_fma_f32 v[16:17], v[70:71], v[32:33], v[16:17] op_sel:[1,0,0]
	v_mov_b32_e32 v33, v21
	v_pk_fma_f32 v[16:17], v[72:73], v[30:31], v[16:17] op_sel_hi:[0,1,1]
	v_mov_b32_e32 v30, v47
	s_delay_alu instid0(VALU_DEP_2) | instskip(SKIP_1) | instid1(VALU_DEP_3)
	v_pk_fma_f32 v[16:17], v[86:87], v[32:33], v[16:17] op_sel_hi:[0,1,1]
	v_mov_b32_e32 v33, v47
	v_pk_fma_f32 v[18:19], v[80:81], v[30:31], v[96:97] op_sel_hi:[0,1,1]
	v_mov_b32_e32 v30, v48
	s_delay_alu instid0(VALU_DEP_2) | instskip(SKIP_1) | instid1(VALU_DEP_2)
	v_pk_fma_f32 v[18:19], v[74:75], v[32:33], v[18:19] op_sel_hi:[0,1,1]
	v_mov_b32_e32 v33, v48
	v_pk_fma_f32 v[18:19], v[82:83], v[30:31], v[18:19] op_sel_hi:[0,1,1]
	v_mov_b32_e32 v30, v49
	s_delay_alu instid0(VALU_DEP_2)
	v_pk_fma_f32 v[18:19], v[82:83], v[32:33], v[18:19] op_sel:[1,0,0]
	v_mov_b32_e32 v33, v49
	global_load_b128 v[46:49], v[24:25], off offset:1584
	s_wait_xcnt 0x0
	v_add_nc_u64_e32 v[24:25], 0x800, v[24:25]
	v_pk_fma_f32 v[18:19], v[84:85], v[30:31], v[18:19] op_sel_hi:[0,1,1]
	s_delay_alu instid0(VALU_DEP_1) | instskip(SKIP_2) | instid1(VALU_DEP_1)
	v_pk_fma_f32 v[18:19], v[76:77], v[32:33], v[18:19] op_sel_hi:[0,1,1]
	s_wait_loadcnt 0x2
	v_dual_mov_b32 v30, v50 :: v_dual_mov_b32 v33, v50
	v_pk_fma_f32 v[18:19], v[38:39], v[30:31], v[18:19] op_sel_hi:[0,1,1]
	v_mov_b32_e32 v30, v51
	s_delay_alu instid0(VALU_DEP_2) | instskip(SKIP_1) | instid1(VALU_DEP_2)
	v_pk_fma_f32 v[18:19], v[38:39], v[32:33], v[18:19] op_sel:[1,0,0]
	v_mov_b32_e32 v33, v51
	v_pk_fma_f32 v[18:19], v[40:41], v[30:31], v[18:19] op_sel_hi:[0,1,1]
	v_mov_b32_e32 v30, v52
	s_delay_alu instid0(VALU_DEP_2) | instskip(SKIP_1) | instid1(VALU_DEP_2)
	v_pk_fma_f32 v[18:19], v[42:43], v[32:33], v[18:19] op_sel_hi:[0,1,1]
	v_mov_b32_e32 v33, v52
	v_pk_fma_f32 v[18:19], v[30:31], v[62:63], v[18:19] op_sel_hi:[1,0,1]
	v_mov_b32_e32 v30, v53
	s_delay_alu instid0(VALU_DEP_2) | instskip(SKIP_1) | instid1(VALU_DEP_2)
	v_pk_fma_f32 v[18:19], v[62:63], v[32:33], v[18:19] op_sel:[1,0,0]
	v_mov_b32_e32 v33, v53
	v_pk_fma_f32 v[18:19], v[64:65], v[30:31], v[18:19] op_sel_hi:[0,1,1]
	s_wait_loadcnt 0x1
	v_mov_b32_e32 v30, v34
	s_delay_alu instid0(VALU_DEP_2) | instskip(SKIP_1) | instid1(VALU_DEP_2)
	v_pk_fma_f32 v[18:19], v[66:67], v[32:33], v[18:19] op_sel_hi:[0,1,1]
	v_mov_b32_e32 v33, v34
	v_pk_fma_f32 v[18:19], v[58:59], v[30:31], v[18:19] op_sel_hi:[0,1,1]
	v_mov_b32_e32 v30, v35
	s_delay_alu instid0(VALU_DEP_2) | instskip(SKIP_1) | instid1(VALU_DEP_2)
	v_pk_fma_f32 v[18:19], v[58:59], v[32:33], v[18:19] op_sel:[1,0,0]
	v_mov_b32_e32 v33, v35
	v_pk_fma_f32 v[18:19], v[60:61], v[30:31], v[18:19] op_sel_hi:[0,1,1]
	v_mov_b32_e32 v30, v36
	s_delay_alu instid0(VALU_DEP_2) | instskip(SKIP_1) | instid1(VALU_DEP_2)
	v_pk_fma_f32 v[18:19], v[68:69], v[32:33], v[18:19] op_sel_hi:[0,1,1]
	v_mov_b32_e32 v33, v36
	v_pk_fma_f32 v[18:19], v[70:71], v[30:31], v[18:19] op_sel_hi:[0,1,1]
	v_mov_b32_e32 v30, v37
	s_delay_alu instid0(VALU_DEP_2) | instskip(SKIP_1) | instid1(VALU_DEP_2)
	v_pk_fma_f32 v[18:19], v[70:71], v[32:33], v[18:19] op_sel:[1,0,0]
	v_mov_b32_e32 v33, v37
	v_pk_fma_f32 v[18:19], v[72:73], v[30:31], v[18:19] op_sel_hi:[0,1,1]
	v_mov_b32_e32 v30, v43
	s_delay_alu instid0(VALU_DEP_2) | instskip(SKIP_1) | instid1(VALU_DEP_3)
	v_pk_fma_f32 v[20:21], v[86:87], v[32:33], v[18:19] op_sel_hi:[0,1,1]
	v_mov_b32_e32 v33, v43
	v_pk_fma_f32 v[18:19], v[80:81], v[30:31], v[78:79] op_sel_hi:[0,1,1]
	v_mov_b32_e32 v30, v44
	s_delay_alu instid0(VALU_DEP_2) | instskip(SKIP_1) | instid1(VALU_DEP_2)
	v_pk_fma_f32 v[18:19], v[74:75], v[32:33], v[18:19] op_sel_hi:[0,1,1]
	v_mov_b32_e32 v33, v44
	v_pk_fma_f32 v[18:19], v[82:83], v[30:31], v[18:19] op_sel_hi:[0,1,1]
	v_mov_b32_e32 v30, v45
	s_delay_alu instid0(VALU_DEP_2) | instskip(SKIP_1) | instid1(VALU_DEP_2)
	v_pk_fma_f32 v[18:19], v[82:83], v[32:33], v[18:19] op_sel:[1,0,0]
	v_mov_b32_e32 v33, v45
	v_pk_fma_f32 v[18:19], v[84:85], v[30:31], v[18:19] op_sel_hi:[0,1,1]
	v_mov_b32_e32 v30, v54
	s_delay_alu instid0(VALU_DEP_2) | instskip(SKIP_1) | instid1(VALU_DEP_2)
	v_pk_fma_f32 v[18:19], v[76:77], v[32:33], v[18:19] op_sel_hi:[0,1,1]
	v_mov_b32_e32 v33, v54
	v_pk_fma_f32 v[18:19], v[38:39], v[30:31], v[18:19] op_sel_hi:[0,1,1]
	v_mov_b32_e32 v30, v55
	s_delay_alu instid0(VALU_DEP_2) | instskip(SKIP_1) | instid1(VALU_DEP_2)
	v_pk_fma_f32 v[18:19], v[38:39], v[32:33], v[18:19] op_sel:[1,0,0]
	;; [unrolled: 10-line block ×3, first 2 shown]
	v_mov_b32_e32 v33, v57
	v_pk_fma_f32 v[18:19], v[64:65], v[30:31], v[18:19] op_sel_hi:[0,1,1]
	s_delay_alu instid0(VALU_DEP_1) | instskip(SKIP_2) | instid1(VALU_DEP_1)
	v_pk_fma_f32 v[18:19], v[66:67], v[32:33], v[18:19] op_sel_hi:[0,1,1]
	s_wait_loadcnt 0x0
	v_dual_mov_b32 v30, v46 :: v_dual_mov_b32 v33, v46
	v_pk_fma_f32 v[18:19], v[58:59], v[30:31], v[18:19] op_sel_hi:[0,1,1]
	v_mov_b32_e32 v30, v47
	s_delay_alu instid0(VALU_DEP_2) | instskip(SKIP_1) | instid1(VALU_DEP_2)
	v_pk_fma_f32 v[18:19], v[58:59], v[32:33], v[18:19] op_sel:[1,0,0]
	v_mov_b32_e32 v33, v47
	v_pk_fma_f32 v[18:19], v[60:61], v[30:31], v[18:19] op_sel_hi:[0,1,1]
	v_mov_b32_e32 v30, v48
	s_delay_alu instid0(VALU_DEP_2) | instskip(SKIP_1) | instid1(VALU_DEP_2)
	v_pk_fma_f32 v[18:19], v[68:69], v[32:33], v[18:19] op_sel_hi:[0,1,1]
	v_mov_b32_e32 v33, v48
	v_pk_fma_f32 v[18:19], v[70:71], v[30:31], v[18:19] op_sel_hi:[0,1,1]
	v_mov_b32_e32 v30, v49
	s_delay_alu instid0(VALU_DEP_2) | instskip(SKIP_1) | instid1(VALU_DEP_2)
	v_pk_fma_f32 v[18:19], v[70:71], v[32:33], v[18:19] op_sel:[1,0,0]
	v_mov_b32_e32 v33, v49
	v_pk_fma_f32 v[18:19], v[72:73], v[30:31], v[18:19] op_sel_hi:[0,1,1]
	s_delay_alu instid0(VALU_DEP_1)
	v_pk_fma_f32 v[18:19], v[86:87], v[32:33], v[18:19] op_sel_hi:[0,1,1]
	s_and_not1_b32 exec_lo, exec_lo, s10
	s_cbranch_execnz .LBB126_17
; %bb.18:
	s_or_b32 exec_lo, exec_lo, s10
.LBB126_19:
	s_delay_alu instid0(SALU_CYCLE_1)
	s_or_b32 exec_lo, exec_lo, s7
.LBB126_20:
	s_delay_alu instid0(SALU_CYCLE_1)
	s_or_b32 exec_lo, exec_lo, s6
	s_cbranch_execz .LBB126_22
	s_branch .LBB126_33
.LBB126_21:
                                        ; implicit-def: $vgpr15
                                        ; implicit-def: $vgpr17
                                        ; implicit-def: $vgpr21
                                        ; implicit-def: $vgpr19
.LBB126_22:
	v_dual_mov_b32 v15, 0 :: v_dual_mov_b32 v14, 0
	v_dual_mov_b32 v17, 0 :: v_dual_mov_b32 v16, 0
	;; [unrolled: 1-line block ×4, first 2 shown]
	s_and_saveexec_b32 s6, s3
	s_cbranch_execz .LBB126_32
; %bb.23:
	v_dual_mov_b32 v15, v1 :: v_dual_bitop2_b32 v14, 8, v0 bitop3:0x54
	v_sub_nc_u64_e32 v[16:17], s[12:13], v[0:1]
	v_not_b32_e32 v19, v23
	v_not_b32_e32 v18, v22
	s_delay_alu instid0(VALU_DEP_4) | instskip(NEXT) | instid1(VALU_DEP_2)
	v_sub_nc_u64_e64 v[14:15], v[14:15], s[12:13]
	v_add_nc_u64_e32 v[16:17], v[16:17], v[18:19]
	s_delay_alu instid0(VALU_DEP_2) | instskip(NEXT) | instid1(VALU_DEP_1)
	v_add_nc_u64_e32 v[14:15], v[14:15], v[22:23]
	v_max_i64 v[14:15], v[14:15], v[10:11]
	s_delay_alu instid0(VALU_DEP_1) | instskip(NEXT) | instid1(VALU_DEP_1)
	v_add_nc_u64_e32 v[22:23], v[16:17], v[14:15]
	v_dual_mov_b32 v19, 0 :: v_dual_bitop2_b32 v18, 24, v22 bitop3:0x40
	s_delay_alu instid0(VALU_DEP_1) | instskip(SKIP_2) | instid1(VALU_DEP_4)
	v_dual_mov_b32 v20, v19 :: v_dual_mov_b32 v21, v19
	v_dual_mov_b32 v16, v19 :: v_dual_mov_b32 v17, v19
	v_mov_b32_e32 v14, v19
	v_cmp_ne_u64_e32 vcc_lo, 24, v[18:19]
	v_dual_mov_b32 v18, v19 :: v_dual_mov_b32 v15, v19
	s_and_saveexec_b32 s3, vcc_lo
	s_cbranch_execz .LBB126_27
; %bb.24:
	v_dual_lshrrev_b32 v1, 3, v22 :: v_dual_mov_b32 v25, 0
	v_lshl_add_u64 v[26:27], v[8:9], 2, s[8:9]
	v_bfrev_b32_e32 v28, 1
	s_mov_b32 s7, 0
	s_delay_alu instid0(VALU_DEP_3) | instskip(SKIP_2) | instid1(VALU_DEP_3)
	v_dual_mov_b32 v18, v25 :: v_dual_add_nc_u32 v1, 1, v1
	v_dual_mov_b32 v20, v25 :: v_dual_mov_b32 v21, v25
	v_dual_mov_b32 v16, v25 :: v_dual_mov_b32 v17, v25
	v_dual_mov_b32 v19, v25 :: v_dual_bitop2_b32 v24, 3, v1 bitop3:0x40
	v_dual_mov_b32 v14, v25 :: v_dual_mov_b32 v15, v25
	s_delay_alu instid0(VALU_DEP_2)
	v_sub_nc_u64_e32 v[30:31], 0, v[24:25]
.LBB126_25:                             ; =>This Inner Loop Header: Depth=1
	global_load_b32 v1, v[26:27], off
	s_clause 0x1
	global_load_b128 v[32:35], v[12:13], off offset:16
	global_load_b128 v[36:39], v[12:13], off
	v_add_nc_u64_e32 v[30:31], 1, v[30:31]
	v_add_nc_u64_e32 v[8:9], 8, v[8:9]
	s_wait_xcnt 0x2
	v_add_nc_u64_e32 v[26:27], 32, v[26:27]
	s_delay_alu instid0(VALU_DEP_3)
	v_cmp_eq_u64_e32 vcc_lo, 0, v[30:31]
	s_or_b32 s7, vcc_lo, s7
	s_wait_loadcnt 0x2
	v_subrev_nc_u32_e32 v1, s12, v1
	s_wait_loadcnt 0x0
	v_dual_mov_b32 v24, v36 :: v_dual_mov_b32 v29, v36
	s_delay_alu instid0(VALU_DEP_2) | instskip(NEXT) | instid1(VALU_DEP_1)
	v_lshlrev_b32_e32 v40, 2, v1
	v_ashrrev_i32_e32 v41, 31, v40
	s_wait_kmcnt 0x0
	s_delay_alu instid0(VALU_DEP_1)
	v_lshl_add_u64 v[56:57], v[40:41], 3, s[4:5]
	s_clause 0x1
	global_load_b128 v[40:43], v[56:57], off
	global_load_b128 v[44:47], v[56:57], off offset:16
	s_clause 0x1
	global_load_b128 v[48:51], v[12:13], off offset:32
	global_load_b128 v[52:55], v[12:13], off offset:48
	s_wait_xcnt 0x0
	v_add_nc_u64_e32 v[12:13], 0x200, v[12:13]
	s_wait_loadcnt 0x3
	v_pk_fma_f32 v[14:15], v[40:41], v[24:25], v[14:15] op_sel_hi:[0,1,1]
	v_dual_mov_b32 v24, v32 :: v_dual_mov_b32 v36, v43
	s_wait_loadcnt 0x2
	v_mov_b32_e32 v56, v47
	s_delay_alu instid0(VALU_DEP_3) | instskip(SKIP_1) | instid1(VALU_DEP_2)
	v_pk_fma_f32 v[14:15], v[40:41], v[28:29], v[14:15] op_sel:[1,0,0]
	v_mov_b32_e32 v29, v32
	v_pk_fma_f32 v[14:15], v[42:43], v[24:25], v[14:15] op_sel_hi:[0,1,1]
	s_wait_loadcnt 0x1
	v_mov_b32_e32 v24, v48
	s_delay_alu instid0(VALU_DEP_2) | instskip(SKIP_1) | instid1(VALU_DEP_2)
	v_pk_fma_f32 v[14:15], v[36:37], v[28:29], v[14:15] op_sel_hi:[0,1,1]
	v_mov_b32_e32 v29, v48
	v_pk_fma_f32 v[14:15], v[44:45], v[24:25], v[14:15] op_sel_hi:[0,1,1]
	s_wait_loadcnt 0x0
	v_mov_b32_e32 v24, v52
	s_delay_alu instid0(VALU_DEP_2) | instskip(SKIP_1) | instid1(VALU_DEP_2)
	v_pk_fma_f32 v[14:15], v[44:45], v[28:29], v[14:15] op_sel:[1,0,0]
	v_mov_b32_e32 v29, v52
	v_pk_fma_f32 v[14:15], v[46:47], v[24:25], v[14:15] op_sel_hi:[0,1,1]
	v_mov_b32_e32 v24, v37
	s_delay_alu instid0(VALU_DEP_2) | instskip(SKIP_1) | instid1(VALU_DEP_3)
	v_pk_fma_f32 v[14:15], v[56:57], v[28:29], v[14:15] op_sel_hi:[0,1,1]
	v_mov_b32_e32 v29, v37
	v_pk_fma_f32 v[16:17], v[40:41], v[24:25], v[16:17] op_sel_hi:[0,1,1]
	v_mov_b32_e32 v24, v33
	s_delay_alu instid0(VALU_DEP_2) | instskip(SKIP_1) | instid1(VALU_DEP_2)
	v_pk_fma_f32 v[16:17], v[40:41], v[28:29], v[16:17] op_sel:[1,0,0]
	v_mov_b32_e32 v29, v33
	v_pk_fma_f32 v[16:17], v[42:43], v[24:25], v[16:17] op_sel_hi:[0,1,1]
	v_mov_b32_e32 v24, v49
	s_delay_alu instid0(VALU_DEP_2) | instskip(SKIP_1) | instid1(VALU_DEP_2)
	v_pk_fma_f32 v[16:17], v[36:37], v[28:29], v[16:17] op_sel_hi:[0,1,1]
	v_mov_b32_e32 v29, v49
	v_pk_fma_f32 v[16:17], v[44:45], v[24:25], v[16:17] op_sel_hi:[0,1,1]
	v_mov_b32_e32 v24, v53
	s_delay_alu instid0(VALU_DEP_2) | instskip(SKIP_1) | instid1(VALU_DEP_2)
	v_pk_fma_f32 v[16:17], v[44:45], v[28:29], v[16:17] op_sel:[1,0,0]
	v_mov_b32_e32 v29, v53
	v_pk_fma_f32 v[16:17], v[46:47], v[24:25], v[16:17] op_sel_hi:[0,1,1]
	v_mov_b32_e32 v24, v38
	s_delay_alu instid0(VALU_DEP_2) | instskip(SKIP_1) | instid1(VALU_DEP_3)
	v_pk_fma_f32 v[16:17], v[56:57], v[28:29], v[16:17] op_sel_hi:[0,1,1]
	v_mov_b32_e32 v29, v38
	v_pk_fma_f32 v[20:21], v[40:41], v[24:25], v[20:21] op_sel_hi:[0,1,1]
	v_mov_b32_e32 v24, v34
	s_delay_alu instid0(VALU_DEP_2) | instskip(SKIP_1) | instid1(VALU_DEP_2)
	v_pk_fma_f32 v[20:21], v[40:41], v[28:29], v[20:21] op_sel:[1,0,0]
	v_mov_b32_e32 v29, v34
	v_pk_fma_f32 v[20:21], v[42:43], v[24:25], v[20:21] op_sel_hi:[0,1,1]
	v_mov_b32_e32 v24, v50
	s_delay_alu instid0(VALU_DEP_2) | instskip(SKIP_1) | instid1(VALU_DEP_2)
	v_pk_fma_f32 v[20:21], v[36:37], v[28:29], v[20:21] op_sel_hi:[0,1,1]
	v_mov_b32_e32 v29, v50
	v_pk_fma_f32 v[20:21], v[44:45], v[24:25], v[20:21] op_sel_hi:[0,1,1]
	;; [unrolled: 20-line block ×3, first 2 shown]
	v_mov_b32_e32 v24, v55
	s_delay_alu instid0(VALU_DEP_2) | instskip(SKIP_1) | instid1(VALU_DEP_2)
	v_pk_fma_f32 v[18:19], v[44:45], v[28:29], v[18:19] op_sel:[1,0,0]
	v_mov_b32_e32 v29, v55
	v_pk_fma_f32 v[18:19], v[46:47], v[24:25], v[18:19] op_sel_hi:[0,1,1]
	s_delay_alu instid0(VALU_DEP_1)
	v_pk_fma_f32 v[18:19], v[56:57], v[28:29], v[18:19] op_sel_hi:[0,1,1]
	s_and_not1_b32 exec_lo, exec_lo, s7
	s_cbranch_execnz .LBB126_25
; %bb.26:
	s_or_b32 exec_lo, exec_lo, s7
.LBB126_27:
	s_delay_alu instid0(SALU_CYCLE_1) | instskip(NEXT) | instid1(SALU_CYCLE_1)
	s_or_b32 exec_lo, exec_lo, s3
	s_mov_b32 s3, exec_lo
	v_cmpx_lt_u64_e32 23, v[22:23]
	s_cbranch_execz .LBB126_31
; %bb.28:
	v_lshl_add_u64 v[22:23], v[8:9], 2, s[8:9]
	v_mov_b32_e32 v25, 0
	v_bfrev_b32_e32 v26, 1
	s_mov_b32 s7, 0
	s_delay_alu instid0(VALU_DEP_3)
	v_add_nc_u64_e32 v[22:23], 64, v[22:23]
.LBB126_29:                             ; =>This Inner Loop Header: Depth=1
	s_clause 0x1
	global_load_b32 v1, v[22:23], off offset:-64
	global_load_b32 v7, v[22:23], off offset:-32
	s_clause 0x3
	global_load_b128 v[28:31], v[12:13], off
	global_load_b128 v[32:35], v[12:13], off offset:16
	global_load_b128 v[36:39], v[12:13], off offset:48
	;; [unrolled: 1-line block ×3, first 2 shown]
	s_clause 0x1
	global_load_b32 v84, v[22:23], off
	global_load_b32 v85, v[22:23], off offset:32
	s_clause 0x3
	global_load_b128 v[44:47], v[12:13], off offset:512
	global_load_b128 v[48:51], v[12:13], off offset:528
	;; [unrolled: 1-line block ×4, first 2 shown]
	v_add_nc_u64_e32 v[8:9], 32, v[8:9]
	s_wait_xcnt 0x4
	v_add_nc_u64_e32 v[22:23], 0x80, v[22:23]
	s_delay_alu instid0(VALU_DEP_2)
	v_cmp_ge_i64_e32 vcc_lo, v[8:9], v[10:11]
	s_or_b32 s7, vcc_lo, s7
	s_wait_loadcnt 0xb
	v_subrev_nc_u32_e32 v1, s12, v1
	s_wait_loadcnt 0xa
	v_subrev_nc_u32_e32 v7, s12, v7
	s_wait_loadcnt 0x9
	v_dual_mov_b32 v24, v28 :: v_dual_mov_b32 v27, v28
	s_delay_alu instid0(VALU_DEP_2) | instskip(SKIP_2) | instid1(VALU_DEP_2)
	v_dual_lshlrev_b32 v60, 2, v1 :: v_dual_lshlrev_b32 v62, 2, v7
	s_wait_loadcnt 0x5
	v_subrev_nc_u32_e32 v1, s12, v84
	v_dual_ashrrev_i32 v61, 31, v60 :: v_dual_ashrrev_i32 v63, 31, v62
	s_wait_kmcnt 0x0
	s_delay_alu instid0(VALU_DEP_1) | instskip(NEXT) | instid1(VALU_DEP_2)
	v_lshl_add_u64 v[76:77], v[60:61], 3, s[4:5]
	v_lshl_add_u64 v[78:79], v[62:63], 3, s[4:5]
	s_clause 0x3
	global_load_b128 v[60:63], v[76:77], off
	global_load_b128 v[64:67], v[76:77], off offset:16
	global_load_b128 v[68:71], v[78:79], off
	global_load_b128 v[72:75], v[78:79], off offset:16
	s_wait_loadcnt 0x3
	v_pk_fma_f32 v[14:15], v[60:61], v[24:25], v[14:15] op_sel_hi:[0,1,1]
	s_wait_xcnt 0x2
	v_dual_mov_b32 v24, v32 :: v_dual_mov_b32 v76, v63
	s_wait_loadcnt 0x2
	s_wait_xcnt 0x0
	v_mov_b32_e32 v78, v67
	v_pk_fma_f32 v[14:15], v[60:61], v[26:27], v[14:15] op_sel:[1,0,0]
	v_mov_b32_e32 v27, v32
	s_delay_alu instid0(VALU_DEP_2) | instskip(SKIP_1) | instid1(VALU_DEP_2)
	v_pk_fma_f32 v[14:15], v[62:63], v[24:25], v[14:15] op_sel_hi:[0,1,1]
	v_mov_b32_e32 v24, v40
	v_pk_fma_f32 v[14:15], v[76:77], v[26:27], v[14:15] op_sel_hi:[0,1,1]
	v_mov_b32_e32 v27, v40
	s_delay_alu instid0(VALU_DEP_2) | instskip(SKIP_1) | instid1(VALU_DEP_2)
	v_pk_fma_f32 v[14:15], v[64:65], v[24:25], v[14:15] op_sel_hi:[0,1,1]
	v_mov_b32_e32 v24, v36
	v_pk_fma_f32 v[14:15], v[64:65], v[26:27], v[14:15] op_sel:[1,0,0]
	v_mov_b32_e32 v27, v36
	s_delay_alu instid0(VALU_DEP_2) | instskip(SKIP_1) | instid1(VALU_DEP_2)
	v_pk_fma_f32 v[14:15], v[66:67], v[24:25], v[14:15] op_sel_hi:[0,1,1]
	v_mov_b32_e32 v24, v44
	v_pk_fma_f32 v[14:15], v[78:79], v[26:27], v[14:15] op_sel_hi:[0,1,1]
	v_mov_b32_e32 v27, v44
	s_wait_loadcnt 0x1
	s_delay_alu instid0(VALU_DEP_2) | instskip(SKIP_1) | instid1(VALU_DEP_2)
	v_pk_fma_f32 v[14:15], v[68:69], v[24:25], v[14:15] op_sel_hi:[0,1,1]
	v_mov_b32_e32 v24, v29
	v_pk_fma_f32 v[80:81], v[68:69], v[26:27], v[14:15] op_sel:[1,0,0]
	v_mov_b32_e32 v27, v29
	s_delay_alu instid0(VALU_DEP_3) | instskip(SKIP_1) | instid1(VALU_DEP_2)
	v_pk_fma_f32 v[14:15], v[60:61], v[24:25], v[16:17] op_sel_hi:[0,1,1]
	v_mov_b32_e32 v24, v33
	v_pk_fma_f32 v[14:15], v[60:61], v[26:27], v[14:15] op_sel:[1,0,0]
	v_mov_b32_e32 v27, v33
	s_delay_alu instid0(VALU_DEP_2) | instskip(SKIP_1) | instid1(VALU_DEP_2)
	v_pk_fma_f32 v[14:15], v[62:63], v[24:25], v[14:15] op_sel_hi:[0,1,1]
	v_mov_b32_e32 v24, v41
	v_pk_fma_f32 v[14:15], v[76:77], v[26:27], v[14:15] op_sel_hi:[0,1,1]
	v_mov_b32_e32 v27, v41
	s_delay_alu instid0(VALU_DEP_2) | instskip(SKIP_1) | instid1(VALU_DEP_2)
	v_pk_fma_f32 v[14:15], v[64:65], v[24:25], v[14:15] op_sel_hi:[0,1,1]
	v_mov_b32_e32 v24, v37
	v_pk_fma_f32 v[14:15], v[64:65], v[26:27], v[14:15] op_sel:[1,0,0]
	v_mov_b32_e32 v27, v37
	s_delay_alu instid0(VALU_DEP_2) | instskip(SKIP_1) | instid1(VALU_DEP_2)
	v_pk_fma_f32 v[14:15], v[66:67], v[24:25], v[14:15] op_sel_hi:[0,1,1]
	v_mov_b32_e32 v24, v45
	v_pk_fma_f32 v[14:15], v[78:79], v[26:27], v[14:15] op_sel_hi:[0,1,1]
	v_mov_b32_e32 v27, v45
	s_delay_alu instid0(VALU_DEP_2) | instskip(SKIP_1) | instid1(VALU_DEP_2)
	v_pk_fma_f32 v[14:15], v[68:69], v[24:25], v[14:15] op_sel_hi:[0,1,1]
	v_mov_b32_e32 v24, v30
	v_pk_fma_f32 v[44:45], v[68:69], v[26:27], v[14:15] op_sel:[1,0,0]
	v_mov_b32_e32 v27, v30
	s_delay_alu instid0(VALU_DEP_3) | instskip(SKIP_1) | instid1(VALU_DEP_2)
	v_pk_fma_f32 v[14:15], v[60:61], v[24:25], v[20:21] op_sel_hi:[0,1,1]
	v_mov_b32_e32 v24, v34
	v_pk_fma_f32 v[14:15], v[60:61], v[26:27], v[14:15] op_sel:[1,0,0]
	v_mov_b32_e32 v27, v34
	s_delay_alu instid0(VALU_DEP_2) | instskip(SKIP_1) | instid1(VALU_DEP_2)
	v_pk_fma_f32 v[14:15], v[62:63], v[24:25], v[14:15] op_sel_hi:[0,1,1]
	v_mov_b32_e32 v24, v42
	v_pk_fma_f32 v[14:15], v[76:77], v[26:27], v[14:15] op_sel_hi:[0,1,1]
	v_mov_b32_e32 v27, v42
	s_delay_alu instid0(VALU_DEP_2) | instskip(SKIP_1) | instid1(VALU_DEP_2)
	v_pk_fma_f32 v[14:15], v[64:65], v[24:25], v[14:15] op_sel_hi:[0,1,1]
	v_mov_b32_e32 v24, v38
	v_pk_fma_f32 v[14:15], v[64:65], v[26:27], v[14:15] op_sel:[1,0,0]
	v_dual_mov_b32 v27, v38 :: v_dual_lshlrev_b32 v38, 2, v1
	v_subrev_nc_u32_e32 v1, s12, v85
	s_delay_alu instid0(VALU_DEP_3) | instskip(SKIP_1) | instid1(VALU_DEP_2)
	v_pk_fma_f32 v[14:15], v[66:67], v[24:25], v[14:15] op_sel_hi:[0,1,1]
	v_mov_b32_e32 v24, v46
	v_pk_fma_f32 v[14:15], v[78:79], v[26:27], v[14:15] op_sel_hi:[0,1,1]
	v_mov_b32_e32 v27, v46
	s_delay_alu instid0(VALU_DEP_2) | instskip(SKIP_1) | instid1(VALU_DEP_2)
	v_pk_fma_f32 v[14:15], v[68:69], v[24:25], v[14:15] op_sel_hi:[0,1,1]
	v_mov_b32_e32 v24, v31
	v_pk_fma_f32 v[82:83], v[68:69], v[26:27], v[14:15] op_sel:[1,0,0]
	v_mov_b32_e32 v27, v31
	s_delay_alu instid0(VALU_DEP_3)
	v_pk_fma_f32 v[18:19], v[60:61], v[24:25], v[18:19] op_sel_hi:[0,1,1]
	v_mov_b32_e32 v24, v35
	global_load_b128 v[14:17], v[12:13], off offset:1040
	v_pk_fma_f32 v[28:29], v[60:61], v[26:27], v[18:19] op_sel:[1,0,0]
	v_mov_b32_e32 v27, v35
	global_load_b128 v[18:21], v[12:13], off offset:1024
	v_pk_fma_f32 v[32:33], v[62:63], v[24:25], v[28:29] op_sel_hi:[0,1,1]
	v_mov_b32_e32 v24, v43
	global_load_b128 v[28:31], v[12:13], off offset:1056
	v_pk_fma_f32 v[36:37], v[76:77], v[26:27], v[32:33] op_sel_hi:[0,1,1]
	v_mov_b32_e32 v27, v43
	s_clause 0x1
	global_load_b128 v[32:35], v[12:13], off offset:1072
	global_load_b128 v[40:43], v[12:13], off offset:1552
	s_wait_loadcnt 0x5
	v_mov_b32_e32 v76, v75
	v_pk_fma_f32 v[36:37], v[64:65], v[24:25], v[36:37] op_sel_hi:[0,1,1]
	v_mov_b32_e32 v24, v39
	s_delay_alu instid0(VALU_DEP_2) | instskip(SKIP_1) | instid1(VALU_DEP_2)
	v_pk_fma_f32 v[36:37], v[64:65], v[26:27], v[36:37] op_sel:[1,0,0]
	v_dual_mov_b32 v27, v39 :: v_dual_ashrrev_i32 v39, 31, v38
	v_pk_fma_f32 v[66:67], v[66:67], v[24:25], v[36:37] op_sel_hi:[0,1,1]
	v_mov_b32_e32 v24, v47
	s_delay_alu instid0(VALU_DEP_3)
	v_lshl_add_u64 v[64:65], v[38:39], 3, s[4:5]
	s_clause 0x1
	global_load_b128 v[36:39], v[64:65], off
	global_load_b128 v[60:63], v[64:65], off offset:16
	s_wait_xcnt 0x0
	v_pk_fma_f32 v[64:65], v[78:79], v[26:27], v[66:67] op_sel_hi:[0,1,1]
	v_dual_mov_b32 v27, v47 :: v_dual_mov_b32 v66, v71
	s_delay_alu instid0(VALU_DEP_2) | instskip(SKIP_1) | instid1(VALU_DEP_2)
	v_pk_fma_f32 v[46:47], v[68:69], v[24:25], v[64:65] op_sel_hi:[0,1,1]
	v_mov_b32_e32 v24, v48
	v_pk_fma_f32 v[64:65], v[68:69], v[26:27], v[46:47] op_sel:[1,0,0]
	v_mov_b32_e32 v27, v48
	s_delay_alu instid0(VALU_DEP_3) | instskip(SKIP_1) | instid1(VALU_DEP_2)
	v_pk_fma_f32 v[46:47], v[70:71], v[24:25], v[80:81] op_sel_hi:[0,1,1]
	v_mov_b32_e32 v24, v56
	v_pk_fma_f32 v[46:47], v[66:67], v[26:27], v[46:47] op_sel_hi:[0,1,1]
	v_mov_b32_e32 v27, v56
	s_delay_alu instid0(VALU_DEP_2) | instskip(SKIP_1) | instid1(VALU_DEP_2)
	v_pk_fma_f32 v[46:47], v[72:73], v[24:25], v[46:47] op_sel_hi:[0,1,1]
	v_mov_b32_e32 v24, v52
	v_pk_fma_f32 v[46:47], v[72:73], v[26:27], v[46:47] op_sel:[1,0,0]
	v_dual_mov_b32 v27, v52 :: v_dual_lshlrev_b32 v52, 2, v1
	s_delay_alu instid0(VALU_DEP_2) | instskip(SKIP_2) | instid1(VALU_DEP_2)
	v_pk_fma_f32 v[46:47], v[74:75], v[24:25], v[46:47] op_sel_hi:[0,1,1]
	s_wait_loadcnt 0x5
	v_mov_b32_e32 v24, v18
	v_pk_fma_f32 v[46:47], v[76:77], v[26:27], v[46:47] op_sel_hi:[0,1,1]
	s_wait_loadcnt 0x1
	v_dual_mov_b32 v27, v18 :: v_dual_mov_b32 v78, v39
	s_delay_alu instid0(VALU_DEP_2) | instskip(SKIP_1) | instid1(VALU_DEP_2)
	v_pk_fma_f32 v[46:47], v[36:37], v[24:25], v[46:47] op_sel_hi:[0,1,1]
	v_mov_b32_e32 v24, v14
	v_pk_fma_f32 v[46:47], v[36:37], v[26:27], v[46:47] op_sel:[1,0,0]
	v_mov_b32_e32 v27, v14
	s_delay_alu instid0(VALU_DEP_2) | instskip(SKIP_1) | instid1(VALU_DEP_2)
	v_pk_fma_f32 v[46:47], v[38:39], v[24:25], v[46:47] op_sel_hi:[0,1,1]
	v_mov_b32_e32 v24, v28
	v_pk_fma_f32 v[46:47], v[78:79], v[26:27], v[46:47] op_sel_hi:[0,1,1]
	v_mov_b32_e32 v27, v49
	s_wait_loadcnt 0x0
	s_delay_alu instid0(VALU_DEP_2) | instskip(SKIP_1) | instid1(VALU_DEP_1)
	v_pk_fma_f32 v[68:69], v[60:61], v[24:25], v[46:47] op_sel_hi:[0,1,1]
	v_mov_b32_e32 v24, v49
	v_pk_fma_f32 v[44:45], v[70:71], v[24:25], v[44:45] op_sel_hi:[0,1,1]
	v_mov_b32_e32 v24, v57
	s_delay_alu instid0(VALU_DEP_2) | instskip(SKIP_1) | instid1(VALU_DEP_2)
	v_pk_fma_f32 v[44:45], v[66:67], v[26:27], v[44:45] op_sel_hi:[0,1,1]
	v_mov_b32_e32 v27, v57
	v_pk_fma_f32 v[44:45], v[72:73], v[24:25], v[44:45] op_sel_hi:[0,1,1]
	v_mov_b32_e32 v24, v53
	s_delay_alu instid0(VALU_DEP_2) | instskip(SKIP_1) | instid1(VALU_DEP_2)
	v_pk_fma_f32 v[44:45], v[72:73], v[26:27], v[44:45] op_sel:[1,0,0]
	v_dual_mov_b32 v27, v53 :: v_dual_ashrrev_i32 v53, 31, v52
	v_pk_fma_f32 v[44:45], v[74:75], v[24:25], v[44:45] op_sel_hi:[0,1,1]
	v_mov_b32_e32 v24, v19
	s_delay_alu instid0(VALU_DEP_3) | instskip(NEXT) | instid1(VALU_DEP_3)
	v_lshl_add_u64 v[52:53], v[52:53], 3, s[4:5]
	v_pk_fma_f32 v[44:45], v[76:77], v[26:27], v[44:45] op_sel_hi:[0,1,1]
	v_mov_b32_e32 v27, v19
	s_delay_alu instid0(VALU_DEP_2) | instskip(SKIP_4) | instid1(VALU_DEP_2)
	v_pk_fma_f32 v[18:19], v[36:37], v[24:25], v[44:45] op_sel_hi:[0,1,1]
	v_mov_b32_e32 v24, v15
	global_load_b128 v[44:47], v[12:13], off offset:1536
	v_pk_fma_f32 v[18:19], v[36:37], v[26:27], v[18:19] op_sel:[1,0,0]
	v_mov_b32_e32 v27, v15
	v_pk_fma_f32 v[14:15], v[38:39], v[24:25], v[18:19] op_sel_hi:[0,1,1]
	v_mov_b32_e32 v24, v29
	s_delay_alu instid0(VALU_DEP_2) | instskip(SKIP_1) | instid1(VALU_DEP_2)
	v_pk_fma_f32 v[14:15], v[78:79], v[26:27], v[14:15] op_sel_hi:[0,1,1]
	v_mov_b32_e32 v27, v50
	v_pk_fma_f32 v[18:19], v[60:61], v[24:25], v[14:15] op_sel_hi:[0,1,1]
	v_mov_b32_e32 v24, v50
	s_delay_alu instid0(VALU_DEP_1) | instskip(SKIP_1) | instid1(VALU_DEP_2)
	v_pk_fma_f32 v[14:15], v[70:71], v[24:25], v[82:83] op_sel_hi:[0,1,1]
	v_mov_b32_e32 v24, v58
	v_pk_fma_f32 v[14:15], v[66:67], v[26:27], v[14:15] op_sel_hi:[0,1,1]
	v_mov_b32_e32 v27, v58
	s_delay_alu instid0(VALU_DEP_2) | instskip(SKIP_1) | instid1(VALU_DEP_2)
	v_pk_fma_f32 v[14:15], v[72:73], v[24:25], v[14:15] op_sel_hi:[0,1,1]
	v_mov_b32_e32 v24, v54
	v_pk_fma_f32 v[14:15], v[72:73], v[26:27], v[14:15] op_sel:[1,0,0]
	v_mov_b32_e32 v27, v54
	s_delay_alu instid0(VALU_DEP_2) | instskip(SKIP_1) | instid1(VALU_DEP_2)
	v_pk_fma_f32 v[14:15], v[74:75], v[24:25], v[14:15] op_sel_hi:[0,1,1]
	v_mov_b32_e32 v24, v20
	v_pk_fma_f32 v[14:15], v[76:77], v[26:27], v[14:15] op_sel_hi:[0,1,1]
	v_mov_b32_e32 v27, v20
	s_delay_alu instid0(VALU_DEP_2) | instskip(SKIP_1) | instid1(VALU_DEP_2)
	v_pk_fma_f32 v[14:15], v[36:37], v[24:25], v[14:15] op_sel_hi:[0,1,1]
	v_mov_b32_e32 v24, v16
	v_pk_fma_f32 v[14:15], v[36:37], v[26:27], v[14:15] op_sel:[1,0,0]
	v_mov_b32_e32 v27, v16
	s_delay_alu instid0(VALU_DEP_2) | instskip(SKIP_1) | instid1(VALU_DEP_2)
	v_pk_fma_f32 v[14:15], v[38:39], v[24:25], v[14:15] op_sel_hi:[0,1,1]
	v_mov_b32_e32 v24, v30
	v_pk_fma_f32 v[14:15], v[78:79], v[26:27], v[14:15] op_sel_hi:[0,1,1]
	v_mov_b32_e32 v27, v51
	s_delay_alu instid0(VALU_DEP_2) | instskip(SKIP_4) | instid1(VALU_DEP_2)
	v_pk_fma_f32 v[80:81], v[60:61], v[24:25], v[14:15] op_sel_hi:[0,1,1]
	v_mov_b32_e32 v24, v51
	global_load_b128 v[48:51], v[12:13], off offset:1568
	v_pk_fma_f32 v[14:15], v[70:71], v[24:25], v[64:65] op_sel_hi:[0,1,1]
	v_mov_b32_e32 v24, v59
	v_pk_fma_f32 v[14:15], v[66:67], v[26:27], v[14:15] op_sel_hi:[0,1,1]
	v_mov_b32_e32 v27, v59
	s_clause 0x1
	global_load_b128 v[56:59], v[52:53], off
	global_load_b128 v[64:67], v[52:53], off offset:16
	v_mov_b32_e32 v70, v63
	v_pk_fma_f32 v[14:15], v[72:73], v[24:25], v[14:15] op_sel_hi:[0,1,1]
	v_mov_b32_e32 v24, v55
	s_delay_alu instid0(VALU_DEP_2)
	v_pk_fma_f32 v[14:15], v[72:73], v[26:27], v[14:15] op_sel:[1,0,0]
	v_mov_b32_e32 v27, v55
	global_load_b128 v[52:55], v[12:13], off offset:1584
	s_wait_xcnt 0x0
	v_add_nc_u64_e32 v[12:13], 0x800, v[12:13]
	v_pk_fma_f32 v[14:15], v[74:75], v[24:25], v[14:15] op_sel_hi:[0,1,1]
	v_mov_b32_e32 v24, v21
	s_delay_alu instid0(VALU_DEP_2) | instskip(SKIP_1) | instid1(VALU_DEP_2)
	v_pk_fma_f32 v[14:15], v[76:77], v[26:27], v[14:15] op_sel_hi:[0,1,1]
	v_mov_b32_e32 v27, v21
	v_pk_fma_f32 v[14:15], v[36:37], v[24:25], v[14:15] op_sel_hi:[0,1,1]
	v_mov_b32_e32 v24, v17
	s_delay_alu instid0(VALU_DEP_2) | instskip(SKIP_1) | instid1(VALU_DEP_2)
	v_pk_fma_f32 v[14:15], v[36:37], v[26:27], v[14:15] op_sel:[1,0,0]
	v_mov_b32_e32 v27, v17
	v_pk_fma_f32 v[14:15], v[38:39], v[24:25], v[14:15] op_sel_hi:[0,1,1]
	v_mov_b32_e32 v24, v31
	s_delay_alu instid0(VALU_DEP_2) | instskip(SKIP_1) | instid1(VALU_DEP_2)
	v_pk_fma_f32 v[14:15], v[78:79], v[26:27], v[14:15] op_sel_hi:[0,1,1]
	v_mov_b32_e32 v27, v28
	v_pk_fma_f32 v[36:37], v[60:61], v[24:25], v[14:15] op_sel_hi:[0,1,1]
	v_mov_b32_e32 v24, v32
	s_delay_alu instid0(VALU_DEP_3) | instskip(SKIP_1) | instid1(VALU_DEP_2)
	v_pk_fma_f32 v[14:15], v[60:61], v[26:27], v[68:69] op_sel:[1,0,0]
	v_mov_b32_e32 v27, v32
	v_pk_fma_f32 v[14:15], v[62:63], v[24:25], v[14:15] op_sel_hi:[0,1,1]
	s_wait_loadcnt 0x2
	v_dual_mov_b32 v24, v44 :: v_dual_mov_b32 v72, v59
	s_wait_loadcnt 0x1
	v_mov_b32_e32 v74, v67
	v_pk_fma_f32 v[14:15], v[70:71], v[26:27], v[14:15] op_sel_hi:[0,1,1]
	v_mov_b32_e32 v27, v44
	s_delay_alu instid0(VALU_DEP_2) | instskip(SKIP_1) | instid1(VALU_DEP_2)
	v_pk_fma_f32 v[14:15], v[56:57], v[24:25], v[14:15] op_sel_hi:[0,1,1]
	v_mov_b32_e32 v24, v40
	v_pk_fma_f32 v[14:15], v[56:57], v[26:27], v[14:15] op_sel:[1,0,0]
	v_mov_b32_e32 v27, v40
	s_delay_alu instid0(VALU_DEP_2) | instskip(SKIP_1) | instid1(VALU_DEP_2)
	v_pk_fma_f32 v[14:15], v[58:59], v[24:25], v[14:15] op_sel_hi:[0,1,1]
	v_mov_b32_e32 v24, v48
	v_pk_fma_f32 v[14:15], v[72:73], v[26:27], v[14:15] op_sel_hi:[0,1,1]
	v_mov_b32_e32 v27, v48
	s_delay_alu instid0(VALU_DEP_2) | instskip(SKIP_2) | instid1(VALU_DEP_2)
	v_pk_fma_f32 v[14:15], v[64:65], v[24:25], v[14:15] op_sel_hi:[0,1,1]
	s_wait_loadcnt 0x0
	v_mov_b32_e32 v24, v52
	v_pk_fma_f32 v[14:15], v[64:65], v[26:27], v[14:15] op_sel:[1,0,0]
	v_mov_b32_e32 v27, v52
	s_delay_alu instid0(VALU_DEP_2) | instskip(SKIP_1) | instid1(VALU_DEP_2)
	v_pk_fma_f32 v[14:15], v[66:67], v[24:25], v[14:15] op_sel_hi:[0,1,1]
	v_mov_b32_e32 v24, v33
	v_pk_fma_f32 v[14:15], v[74:75], v[26:27], v[14:15] op_sel_hi:[0,1,1]
	v_mov_b32_e32 v27, v29
	s_delay_alu instid0(VALU_DEP_1) | instskip(SKIP_1) | instid1(VALU_DEP_2)
	v_pk_fma_f32 v[16:17], v[60:61], v[26:27], v[18:19] op_sel:[1,0,0]
	v_mov_b32_e32 v27, v33
	v_pk_fma_f32 v[16:17], v[62:63], v[24:25], v[16:17] op_sel_hi:[0,1,1]
	v_mov_b32_e32 v24, v45
	s_delay_alu instid0(VALU_DEP_2) | instskip(SKIP_1) | instid1(VALU_DEP_2)
	v_pk_fma_f32 v[16:17], v[70:71], v[26:27], v[16:17] op_sel_hi:[0,1,1]
	v_mov_b32_e32 v27, v45
	v_pk_fma_f32 v[16:17], v[56:57], v[24:25], v[16:17] op_sel_hi:[0,1,1]
	v_mov_b32_e32 v24, v41
	s_delay_alu instid0(VALU_DEP_2) | instskip(SKIP_1) | instid1(VALU_DEP_2)
	v_pk_fma_f32 v[16:17], v[56:57], v[26:27], v[16:17] op_sel:[1,0,0]
	v_mov_b32_e32 v27, v41
	v_pk_fma_f32 v[16:17], v[58:59], v[24:25], v[16:17] op_sel_hi:[0,1,1]
	v_mov_b32_e32 v24, v49
	s_delay_alu instid0(VALU_DEP_2) | instskip(SKIP_1) | instid1(VALU_DEP_2)
	v_pk_fma_f32 v[16:17], v[72:73], v[26:27], v[16:17] op_sel_hi:[0,1,1]
	v_mov_b32_e32 v27, v49
	v_pk_fma_f32 v[16:17], v[64:65], v[24:25], v[16:17] op_sel_hi:[0,1,1]
	v_mov_b32_e32 v24, v53
	s_delay_alu instid0(VALU_DEP_2) | instskip(SKIP_1) | instid1(VALU_DEP_2)
	v_pk_fma_f32 v[16:17], v[64:65], v[26:27], v[16:17] op_sel:[1,0,0]
	v_mov_b32_e32 v27, v53
	v_pk_fma_f32 v[16:17], v[66:67], v[24:25], v[16:17] op_sel_hi:[0,1,1]
	v_mov_b32_e32 v24, v34
	s_delay_alu instid0(VALU_DEP_2) | instskip(SKIP_1) | instid1(VALU_DEP_1)
	v_pk_fma_f32 v[16:17], v[74:75], v[26:27], v[16:17] op_sel_hi:[0,1,1]
	v_mov_b32_e32 v27, v30
	v_pk_fma_f32 v[18:19], v[60:61], v[26:27], v[80:81] op_sel:[1,0,0]
	v_mov_b32_e32 v27, v34
	s_delay_alu instid0(VALU_DEP_2) | instskip(SKIP_1) | instid1(VALU_DEP_2)
	v_pk_fma_f32 v[18:19], v[62:63], v[24:25], v[18:19] op_sel_hi:[0,1,1]
	v_mov_b32_e32 v24, v46
	v_pk_fma_f32 v[18:19], v[70:71], v[26:27], v[18:19] op_sel_hi:[0,1,1]
	v_mov_b32_e32 v27, v46
	s_delay_alu instid0(VALU_DEP_2) | instskip(SKIP_1) | instid1(VALU_DEP_2)
	v_pk_fma_f32 v[18:19], v[56:57], v[24:25], v[18:19] op_sel_hi:[0,1,1]
	v_mov_b32_e32 v24, v42
	v_pk_fma_f32 v[18:19], v[56:57], v[26:27], v[18:19] op_sel:[1,0,0]
	v_mov_b32_e32 v27, v42
	s_delay_alu instid0(VALU_DEP_2) | instskip(SKIP_1) | instid1(VALU_DEP_2)
	v_pk_fma_f32 v[18:19], v[58:59], v[24:25], v[18:19] op_sel_hi:[0,1,1]
	v_mov_b32_e32 v24, v50
	v_pk_fma_f32 v[18:19], v[72:73], v[26:27], v[18:19] op_sel_hi:[0,1,1]
	v_mov_b32_e32 v27, v50
	s_delay_alu instid0(VALU_DEP_2) | instskip(SKIP_1) | instid1(VALU_DEP_2)
	v_pk_fma_f32 v[18:19], v[64:65], v[24:25], v[18:19] op_sel_hi:[0,1,1]
	v_mov_b32_e32 v24, v54
	v_pk_fma_f32 v[18:19], v[64:65], v[26:27], v[18:19] op_sel:[1,0,0]
	v_mov_b32_e32 v27, v54
	s_delay_alu instid0(VALU_DEP_2) | instskip(SKIP_1) | instid1(VALU_DEP_2)
	v_pk_fma_f32 v[18:19], v[66:67], v[24:25], v[18:19] op_sel_hi:[0,1,1]
	v_mov_b32_e32 v24, v35
	v_pk_fma_f32 v[20:21], v[74:75], v[26:27], v[18:19] op_sel_hi:[0,1,1]
	v_mov_b32_e32 v27, v31
	s_delay_alu instid0(VALU_DEP_1) | instskip(SKIP_1) | instid1(VALU_DEP_2)
	v_pk_fma_f32 v[18:19], v[60:61], v[26:27], v[36:37] op_sel:[1,0,0]
	v_mov_b32_e32 v27, v35
	v_pk_fma_f32 v[18:19], v[62:63], v[24:25], v[18:19] op_sel_hi:[0,1,1]
	v_mov_b32_e32 v24, v47
	s_delay_alu instid0(VALU_DEP_2) | instskip(SKIP_1) | instid1(VALU_DEP_2)
	v_pk_fma_f32 v[18:19], v[70:71], v[26:27], v[18:19] op_sel_hi:[0,1,1]
	v_mov_b32_e32 v27, v47
	v_pk_fma_f32 v[18:19], v[56:57], v[24:25], v[18:19] op_sel_hi:[0,1,1]
	v_mov_b32_e32 v24, v43
	s_delay_alu instid0(VALU_DEP_2) | instskip(SKIP_1) | instid1(VALU_DEP_2)
	v_pk_fma_f32 v[18:19], v[56:57], v[26:27], v[18:19] op_sel:[1,0,0]
	v_mov_b32_e32 v27, v43
	v_pk_fma_f32 v[18:19], v[58:59], v[24:25], v[18:19] op_sel_hi:[0,1,1]
	v_mov_b32_e32 v24, v51
	s_delay_alu instid0(VALU_DEP_2) | instskip(SKIP_1) | instid1(VALU_DEP_2)
	v_pk_fma_f32 v[18:19], v[72:73], v[26:27], v[18:19] op_sel_hi:[0,1,1]
	v_mov_b32_e32 v27, v51
	v_pk_fma_f32 v[18:19], v[64:65], v[24:25], v[18:19] op_sel_hi:[0,1,1]
	v_mov_b32_e32 v24, v55
	s_delay_alu instid0(VALU_DEP_2) | instskip(SKIP_1) | instid1(VALU_DEP_2)
	v_pk_fma_f32 v[18:19], v[64:65], v[26:27], v[18:19] op_sel:[1,0,0]
	v_mov_b32_e32 v27, v55
	v_pk_fma_f32 v[18:19], v[66:67], v[24:25], v[18:19] op_sel_hi:[0,1,1]
	s_delay_alu instid0(VALU_DEP_1)
	v_pk_fma_f32 v[18:19], v[74:75], v[26:27], v[18:19] op_sel_hi:[0,1,1]
	s_and_not1_b32 exec_lo, exec_lo, s7
	s_cbranch_execnz .LBB126_29
; %bb.30:
	s_or_b32 exec_lo, exec_lo, s7
.LBB126_31:
	s_delay_alu instid0(SALU_CYCLE_1)
	s_or_b32 exec_lo, exec_lo, s3
.LBB126_32:
	s_delay_alu instid0(SALU_CYCLE_1)
	s_or_b32 exec_lo, exec_lo, s6
.LBB126_33:
	v_mbcnt_lo_u32_b32 v1, -1, 0
	s_delay_alu instid0(VALU_DEP_1) | instskip(SKIP_1) | instid1(VALU_DEP_1)
	v_xor_b32_e32 v23, 2, v1
	v_xor_b32_e32 v7, 4, v1
	v_cmp_gt_i32_e32 vcc_lo, 32, v7
	v_cndmask_b32_e32 v7, v1, v7, vcc_lo
	s_delay_alu instid0(VALU_DEP_1)
	v_lshlrev_b32_e32 v7, 2, v7
	ds_bpermute_b32 v9, v7, v15
	s_wait_dscnt 0x0
	v_add_f32_e32 v9, v15, v9
	ds_bpermute_b32 v10, v7, v16
	ds_bpermute_b32 v8, v7, v14
	;; [unrolled: 1-line block ×7, first 2 shown]
	s_wait_dscnt 0x6
	v_add_f32_e32 v10, v16, v10
	v_cmp_gt_i32_e32 vcc_lo, 32, v23
	s_wait_dscnt 0x4
	v_dual_add_f32 v8, v14, v8 :: v_dual_add_f32 v11, v17, v11
	s_wait_dscnt 0x1
	v_dual_add_f32 v13, v21, v13 :: v_dual_add_f32 v14, v18, v22
	v_cndmask_b32_e32 v23, v1, v23, vcc_lo
	s_wait_dscnt 0x0
	v_dual_add_f32 v15, v19, v7 :: v_dual_add_f32 v12, v20, v12
	s_delay_alu instid0(VALU_DEP_2)
	v_lshlrev_b32_e32 v23, 2, v23
	ds_bpermute_b32 v7, v23, v8
	ds_bpermute_b32 v16, v23, v9
	;; [unrolled: 1-line block ×8, first 2 shown]
	v_xor_b32_e32 v23, 1, v1
	s_delay_alu instid0(VALU_DEP_1) | instskip(SKIP_3) | instid1(VALU_DEP_2)
	v_cmp_gt_i32_e32 vcc_lo, 32, v23
	v_cndmask_b32_e32 v1, v1, v23, vcc_lo
	v_cmp_eq_u32_e32 vcc_lo, 7, v0
	s_wait_dscnt 0x7
	v_dual_lshlrev_b32 v23, 2, v1 :: v_dual_add_f32 v1, v8, v7
	s_wait_dscnt 0x5
	v_dual_add_f32 v7, v9, v16 :: v_dual_add_f32 v8, v10, v17
	s_wait_dscnt 0x3
	v_dual_add_f32 v9, v11, v18 :: v_dual_add_f32 v10, v12, v19
	;; [unrolled: 2-line block ×3, first 2 shown]
	s_wait_dscnt 0x0
	v_add_f32_e32 v13, v15, v22
	ds_bpermute_b32 v14, v23, v1
	ds_bpermute_b32 v15, v23, v7
	;; [unrolled: 1-line block ×8, first 2 shown]
	s_and_b32 exec_lo, exec_lo, vcc_lo
	s_cbranch_execz .LBB126_6
; %bb.34:
	s_load_b64 s[0:1], s[0:1], 0x50
	v_cmp_eq_f32_e32 vcc_lo, 0, v4
	s_wait_dscnt 0x6
	v_dual_add_f32 v0, v1, v14 :: v_dual_add_f32 v22, v7, v15
	s_wait_dscnt 0x4
	v_dual_add_f32 v8, v8, v16 :: v_dual_add_f32 v20, v9, v17
	;; [unrolled: 2-line block ×4, first 2 shown]
	v_xor_b32_e32 v18, 0x80000000, v3
	v_lshlrev_b32_e32 v6, 2, v6
	s_xor_b32 s2, s2, -1
	s_delay_alu instid0(SALU_CYCLE_1) | instskip(NEXT) | instid1(SALU_CYCLE_1)
	s_and_b32 s2, vcc_lo, s2
	s_and_saveexec_b32 s3, s2
	s_delay_alu instid0(SALU_CYCLE_1)
	s_xor_b32 s2, exec_lo, s3
	s_cbranch_execz .LBB126_36
; %bb.35:
	v_dual_mov_b32 v19, v2 :: v_dual_ashrrev_i32 v7, 31, v6
	s_delay_alu instid0(VALU_DEP_1)
	v_pk_mul_f32 v[4:5], v[22:23], v[18:19] op_sel_hi:[0,1]
	v_pk_mul_f32 v[20:21], v[20:21], v[18:19] op_sel_hi:[0,1]
	;; [unrolled: 1-line block ×4, first 2 shown]
	s_wait_kmcnt 0x0
	v_lshl_add_u64 v[18:19], v[6:7], 3, s[0:1]
	v_pk_fma_f32 v[4:5], v[2:3], v[0:1], v[4:5] op_sel_hi:[1,0,1]
	v_pk_fma_f32 v[6:7], v[2:3], v[8:9], v[20:21] op_sel_hi:[1,0,1]
	;; [unrolled: 1-line block ×4, first 2 shown]
                                        ; implicit-def: $vgpr22
                                        ; implicit-def: $vgpr8
                                        ; implicit-def: $vgpr20
                                        ; implicit-def: $vgpr10
                                        ; implicit-def: $vgpr16
                                        ; implicit-def: $vgpr12
                                        ; implicit-def: $vgpr14
	s_clause 0x1
	global_store_b128 v[18:19], v[4:7], off
	global_store_b128 v[18:19], v[0:3], off offset:16
                                        ; implicit-def: $vgpr0
                                        ; implicit-def: $vgpr2_vgpr3
                                        ; implicit-def: $vgpr4_vgpr5
                                        ; implicit-def: $vgpr18
                                        ; implicit-def: $vgpr6
.LBB126_36:
	s_wait_xcnt 0x0
	s_and_not1_saveexec_b32 s2, s2
	s_cbranch_execz .LBB126_6
; %bb.37:
	v_dual_ashrrev_i32 v7, 31, v6 :: v_dual_mov_b32 v19, v2
	s_wait_kmcnt 0x0
	s_delay_alu instid0(VALU_DEP_1) | instskip(NEXT) | instid1(VALU_DEP_2)
	v_lshl_add_u64 v[32:33], v[6:7], 3, s[0:1]
	v_pk_mul_f32 v[6:7], v[22:23], v[18:19] op_sel_hi:[0,1]
	v_pk_mul_f32 v[20:21], v[20:21], v[18:19] op_sel_hi:[0,1]
	;; [unrolled: 1-line block ×4, first 2 shown]
	s_clause 0x1
	global_load_b128 v[24:27], v[32:33], off
	global_load_b128 v[28:31], v[32:33], off offset:16
	v_pk_fma_f32 v[0:1], v[2:3], v[0:1], v[6:7] op_sel_hi:[1,0,1]
	v_pk_fma_f32 v[6:7], v[2:3], v[8:9], v[20:21] op_sel_hi:[1,0,1]
	;; [unrolled: 1-line block ×4, first 2 shown]
	v_xor_b32_e32 v22, 0x80000000, v5
	s_wait_loadcnt 0x1
	v_dual_mov_b32 v23, v4 :: v_dual_mov_b32 v10, v27
	v_pk_fma_f32 v[0:1], v[4:5], v[24:25], v[0:1] op_sel_hi:[1,0,1]
	v_pk_fma_f32 v[6:7], v[4:5], v[26:27], v[6:7] op_sel_hi:[1,0,1]
	s_wait_loadcnt 0x0
	v_pk_fma_f32 v[8:9], v[4:5], v[28:29], v[8:9] op_sel_hi:[1,0,1]
	v_pk_fma_f32 v[12:13], v[4:5], v[30:31], v[2:3] op_sel_hi:[1,0,1]
	v_mov_b32_e32 v14, v31
	v_pk_fma_f32 v[0:1], v[22:23], v[24:25], v[0:1] op_sel:[0,1,0]
	v_pk_fma_f32 v[2:3], v[22:23], v[10:11], v[6:7] op_sel_hi:[1,0,1]
	v_pk_fma_f32 v[4:5], v[22:23], v[28:29], v[8:9] op_sel:[0,1,0]
	s_delay_alu instid0(VALU_DEP_4)
	v_pk_fma_f32 v[6:7], v[22:23], v[14:15], v[12:13] op_sel_hi:[1,0,1]
	s_clause 0x1
	global_store_b128 v[32:33], v[0:3], off
	global_store_b128 v[32:33], v[4:7], off offset:16
	s_sendmsg sendmsg(MSG_DEALLOC_VGPRS)
	s_endpgm
	.section	.rodata,"a",@progbits
	.p2align	6, 0x0
	.amdhsa_kernel _ZN9rocsparseL18bsrxmvn_4x4_kernelILj128ELj8E21rocsparse_complex_numIfElifS2_S2_EEvT3_20rocsparse_direction_NS_24const_host_device_scalarIT1_EES3_PKS3_PKT2_SC_S9_PKT4_PKT5_S7_PT6_21rocsparse_index_base_b
		.amdhsa_group_segment_fixed_size 0
		.amdhsa_private_segment_fixed_size 0
		.amdhsa_kernarg_size 96
		.amdhsa_user_sgpr_count 2
		.amdhsa_user_sgpr_dispatch_ptr 0
		.amdhsa_user_sgpr_queue_ptr 0
		.amdhsa_user_sgpr_kernarg_segment_ptr 1
		.amdhsa_user_sgpr_dispatch_id 0
		.amdhsa_user_sgpr_kernarg_preload_length 0
		.amdhsa_user_sgpr_kernarg_preload_offset 0
		.amdhsa_user_sgpr_private_segment_size 0
		.amdhsa_wavefront_size32 1
		.amdhsa_uses_dynamic_stack 0
		.amdhsa_enable_private_segment 0
		.amdhsa_system_sgpr_workgroup_id_x 1
		.amdhsa_system_sgpr_workgroup_id_y 0
		.amdhsa_system_sgpr_workgroup_id_z 0
		.amdhsa_system_sgpr_workgroup_info 0
		.amdhsa_system_vgpr_workitem_id 0
		.amdhsa_next_free_vgpr 98
		.amdhsa_next_free_sgpr 16
		.amdhsa_named_barrier_count 0
		.amdhsa_reserve_vcc 1
		.amdhsa_float_round_mode_32 0
		.amdhsa_float_round_mode_16_64 0
		.amdhsa_float_denorm_mode_32 3
		.amdhsa_float_denorm_mode_16_64 3
		.amdhsa_fp16_overflow 0
		.amdhsa_memory_ordered 1
		.amdhsa_forward_progress 1
		.amdhsa_inst_pref_size 65
		.amdhsa_round_robin_scheduling 0
		.amdhsa_exception_fp_ieee_invalid_op 0
		.amdhsa_exception_fp_denorm_src 0
		.amdhsa_exception_fp_ieee_div_zero 0
		.amdhsa_exception_fp_ieee_overflow 0
		.amdhsa_exception_fp_ieee_underflow 0
		.amdhsa_exception_fp_ieee_inexact 0
		.amdhsa_exception_int_div_zero 0
	.end_amdhsa_kernel
	.section	.text._ZN9rocsparseL18bsrxmvn_4x4_kernelILj128ELj8E21rocsparse_complex_numIfElifS2_S2_EEvT3_20rocsparse_direction_NS_24const_host_device_scalarIT1_EES3_PKS3_PKT2_SC_S9_PKT4_PKT5_S7_PT6_21rocsparse_index_base_b,"axG",@progbits,_ZN9rocsparseL18bsrxmvn_4x4_kernelILj128ELj8E21rocsparse_complex_numIfElifS2_S2_EEvT3_20rocsparse_direction_NS_24const_host_device_scalarIT1_EES3_PKS3_PKT2_SC_S9_PKT4_PKT5_S7_PT6_21rocsparse_index_base_b,comdat
.Lfunc_end126:
	.size	_ZN9rocsparseL18bsrxmvn_4x4_kernelILj128ELj8E21rocsparse_complex_numIfElifS2_S2_EEvT3_20rocsparse_direction_NS_24const_host_device_scalarIT1_EES3_PKS3_PKT2_SC_S9_PKT4_PKT5_S7_PT6_21rocsparse_index_base_b, .Lfunc_end126-_ZN9rocsparseL18bsrxmvn_4x4_kernelILj128ELj8E21rocsparse_complex_numIfElifS2_S2_EEvT3_20rocsparse_direction_NS_24const_host_device_scalarIT1_EES3_PKS3_PKT2_SC_S9_PKT4_PKT5_S7_PT6_21rocsparse_index_base_b
                                        ; -- End function
	.set _ZN9rocsparseL18bsrxmvn_4x4_kernelILj128ELj8E21rocsparse_complex_numIfElifS2_S2_EEvT3_20rocsparse_direction_NS_24const_host_device_scalarIT1_EES3_PKS3_PKT2_SC_S9_PKT4_PKT5_S7_PT6_21rocsparse_index_base_b.num_vgpr, 98
	.set _ZN9rocsparseL18bsrxmvn_4x4_kernelILj128ELj8E21rocsparse_complex_numIfElifS2_S2_EEvT3_20rocsparse_direction_NS_24const_host_device_scalarIT1_EES3_PKS3_PKT2_SC_S9_PKT4_PKT5_S7_PT6_21rocsparse_index_base_b.num_agpr, 0
	.set _ZN9rocsparseL18bsrxmvn_4x4_kernelILj128ELj8E21rocsparse_complex_numIfElifS2_S2_EEvT3_20rocsparse_direction_NS_24const_host_device_scalarIT1_EES3_PKS3_PKT2_SC_S9_PKT4_PKT5_S7_PT6_21rocsparse_index_base_b.numbered_sgpr, 16
	.set _ZN9rocsparseL18bsrxmvn_4x4_kernelILj128ELj8E21rocsparse_complex_numIfElifS2_S2_EEvT3_20rocsparse_direction_NS_24const_host_device_scalarIT1_EES3_PKS3_PKT2_SC_S9_PKT4_PKT5_S7_PT6_21rocsparse_index_base_b.num_named_barrier, 0
	.set _ZN9rocsparseL18bsrxmvn_4x4_kernelILj128ELj8E21rocsparse_complex_numIfElifS2_S2_EEvT3_20rocsparse_direction_NS_24const_host_device_scalarIT1_EES3_PKS3_PKT2_SC_S9_PKT4_PKT5_S7_PT6_21rocsparse_index_base_b.private_seg_size, 0
	.set _ZN9rocsparseL18bsrxmvn_4x4_kernelILj128ELj8E21rocsparse_complex_numIfElifS2_S2_EEvT3_20rocsparse_direction_NS_24const_host_device_scalarIT1_EES3_PKS3_PKT2_SC_S9_PKT4_PKT5_S7_PT6_21rocsparse_index_base_b.uses_vcc, 1
	.set _ZN9rocsparseL18bsrxmvn_4x4_kernelILj128ELj8E21rocsparse_complex_numIfElifS2_S2_EEvT3_20rocsparse_direction_NS_24const_host_device_scalarIT1_EES3_PKS3_PKT2_SC_S9_PKT4_PKT5_S7_PT6_21rocsparse_index_base_b.uses_flat_scratch, 1
	.set _ZN9rocsparseL18bsrxmvn_4x4_kernelILj128ELj8E21rocsparse_complex_numIfElifS2_S2_EEvT3_20rocsparse_direction_NS_24const_host_device_scalarIT1_EES3_PKS3_PKT2_SC_S9_PKT4_PKT5_S7_PT6_21rocsparse_index_base_b.has_dyn_sized_stack, 0
	.set _ZN9rocsparseL18bsrxmvn_4x4_kernelILj128ELj8E21rocsparse_complex_numIfElifS2_S2_EEvT3_20rocsparse_direction_NS_24const_host_device_scalarIT1_EES3_PKS3_PKT2_SC_S9_PKT4_PKT5_S7_PT6_21rocsparse_index_base_b.has_recursion, 0
	.set _ZN9rocsparseL18bsrxmvn_4x4_kernelILj128ELj8E21rocsparse_complex_numIfElifS2_S2_EEvT3_20rocsparse_direction_NS_24const_host_device_scalarIT1_EES3_PKS3_PKT2_SC_S9_PKT4_PKT5_S7_PT6_21rocsparse_index_base_b.has_indirect_call, 0
	.section	.AMDGPU.csdata,"",@progbits
; Kernel info:
; codeLenInByte = 8224
; TotalNumSgprs: 18
; NumVgprs: 98
; ScratchSize: 0
; MemoryBound: 0
; FloatMode: 240
; IeeeMode: 1
; LDSByteSize: 0 bytes/workgroup (compile time only)
; SGPRBlocks: 0
; VGPRBlocks: 6
; NumSGPRsForWavesPerEU: 18
; NumVGPRsForWavesPerEU: 98
; NamedBarCnt: 0
; Occupancy: 9
; WaveLimiterHint : 1
; COMPUTE_PGM_RSRC2:SCRATCH_EN: 0
; COMPUTE_PGM_RSRC2:USER_SGPR: 2
; COMPUTE_PGM_RSRC2:TRAP_HANDLER: 0
; COMPUTE_PGM_RSRC2:TGID_X_EN: 1
; COMPUTE_PGM_RSRC2:TGID_Y_EN: 0
; COMPUTE_PGM_RSRC2:TGID_Z_EN: 0
; COMPUTE_PGM_RSRC2:TIDIG_COMP_CNT: 0
	.section	.text._ZN9rocsparseL18bsrxmvn_4x4_kernelILj128ELj16E21rocsparse_complex_numIfElifS2_S2_EEvT3_20rocsparse_direction_NS_24const_host_device_scalarIT1_EES3_PKS3_PKT2_SC_S9_PKT4_PKT5_S7_PT6_21rocsparse_index_base_b,"axG",@progbits,_ZN9rocsparseL18bsrxmvn_4x4_kernelILj128ELj16E21rocsparse_complex_numIfElifS2_S2_EEvT3_20rocsparse_direction_NS_24const_host_device_scalarIT1_EES3_PKS3_PKT2_SC_S9_PKT4_PKT5_S7_PT6_21rocsparse_index_base_b,comdat
	.globl	_ZN9rocsparseL18bsrxmvn_4x4_kernelILj128ELj16E21rocsparse_complex_numIfElifS2_S2_EEvT3_20rocsparse_direction_NS_24const_host_device_scalarIT1_EES3_PKS3_PKT2_SC_S9_PKT4_PKT5_S7_PT6_21rocsparse_index_base_b ; -- Begin function _ZN9rocsparseL18bsrxmvn_4x4_kernelILj128ELj16E21rocsparse_complex_numIfElifS2_S2_EEvT3_20rocsparse_direction_NS_24const_host_device_scalarIT1_EES3_PKS3_PKT2_SC_S9_PKT4_PKT5_S7_PT6_21rocsparse_index_base_b
	.p2align	8
	.type	_ZN9rocsparseL18bsrxmvn_4x4_kernelILj128ELj16E21rocsparse_complex_numIfElifS2_S2_EEvT3_20rocsparse_direction_NS_24const_host_device_scalarIT1_EES3_PKS3_PKT2_SC_S9_PKT4_PKT5_S7_PT6_21rocsparse_index_base_b,@function
_ZN9rocsparseL18bsrxmvn_4x4_kernelILj128ELj16E21rocsparse_complex_numIfElifS2_S2_EEvT3_20rocsparse_direction_NS_24const_host_device_scalarIT1_EES3_PKS3_PKT2_SC_S9_PKT4_PKT5_S7_PT6_21rocsparse_index_base_b: ; @_ZN9rocsparseL18bsrxmvn_4x4_kernelILj128ELj16E21rocsparse_complex_numIfElifS2_S2_EEvT3_20rocsparse_direction_NS_24const_host_device_scalarIT1_EES3_PKS3_PKT2_SC_S9_PKT4_PKT5_S7_PT6_21rocsparse_index_base_b
; %bb.0:
	s_clause 0x2
	s_load_b64 s[12:13], s[0:1], 0x58
	s_load_b64 s[2:3], s[0:1], 0x8
	s_load_b64 s[4:5], s[0:1], 0x48
	v_mov_b32_e32 v1, 0
	s_add_nc_u64 s[6:7], s[0:1], 8
	s_add_nc_u64 s[8:9], s[0:1], 0x48
	s_wait_kmcnt 0x0
	s_bitcmp1_b32 s13, 0
	s_cselect_b32 s3, s7, s3
	s_cselect_b32 s2, s6, s2
	;; [unrolled: 1-line block ×4, first 2 shown]
	s_clause 0x1
	flat_load_b64 v[2:3], v1, s[2:3]
	flat_load_b64 v[4:5], v1, s[4:5]
	s_wait_loadcnt_dscnt 0x101
	v_cmp_neq_f32_e32 vcc_lo, 0, v2
	v_cmp_neq_f32_e64 s3, 0, v3
	s_wait_loadcnt_dscnt 0x0
	v_cmp_neq_f32_e64 s4, 1.0, v4
	v_cmp_neq_f32_e64 s2, 0, v5
	s_or_b32 s5, vcc_lo, s3
	s_mov_b32 s3, 0
	s_or_b32 s4, s4, s2
	s_delay_alu instid0(SALU_CYCLE_1) | instskip(NEXT) | instid1(SALU_CYCLE_1)
	s_or_b32 s4, s5, s4
	s_and_saveexec_b32 s5, s4
	s_cbranch_execz .LBB127_6
; %bb.1:
	s_clause 0x1
	s_load_b64 s[4:5], s[0:1], 0x18
	s_load_b64 s[14:15], s[0:1], 0x0
	s_bfe_u32 s6, ttmp6, 0x4000c
	s_and_b32 s7, ttmp6, 15
	s_add_co_i32 s6, s6, 1
	s_getreg_b32 s8, hwreg(HW_REG_IB_STS2, 6, 4)
	s_mul_i32 s6, ttmp9, s6
	v_lshrrev_b32_e32 v1, 4, v0
	s_add_co_i32 s7, s7, s6
	s_cmp_eq_u32 s8, 0
	s_cselect_b32 s6, ttmp9, s7
	s_delay_alu instid0(VALU_DEP_1) | instid1(SALU_CYCLE_1)
	v_lshl_or_b32 v6, s6, 3, v1
	s_wait_kmcnt 0x0
	s_cmp_lg_u64 s[4:5], 0
	s_cbranch_scc0 .LBB127_7
; %bb.2:
	s_load_b32 s3, s[0:1], 0x10
	s_mov_b32 s6, 0
                                        ; implicit-def: $vgpr1
	s_wait_kmcnt 0x0
	v_cmp_gt_i32_e32 vcc_lo, s3, v6
	s_mov_b32 s3, 0
	s_and_saveexec_b32 s7, vcc_lo
	s_delay_alu instid0(SALU_CYCLE_1)
	s_xor_b32 s7, exec_lo, s7
	s_cbranch_execz .LBB127_4
; %bb.3:
	global_load_b32 v1, v6, s[4:5] scale_offset
	s_mov_b32 s3, exec_lo
	s_wait_loadcnt 0x0
	v_subrev_nc_u32_e32 v1, s12, v1
.LBB127_4:
	s_or_b32 exec_lo, exec_lo, s7
	s_delay_alu instid0(SALU_CYCLE_1)
	s_and_b32 vcc_lo, exec_lo, s6
	s_cbranch_vccz .LBB127_8
.LBB127_5:
	v_cmp_gt_i32_e32 vcc_lo, s14, v6
	s_and_not1_b32 s3, s3, exec_lo
	s_and_b32 s4, vcc_lo, exec_lo
	s_delay_alu instid0(SALU_CYCLE_1) | instskip(NEXT) | instid1(SALU_CYCLE_1)
	s_or_b32 s3, s3, s4
	s_and_b32 exec_lo, exec_lo, s3
	s_cbranch_execnz .LBB127_9
.LBB127_6:
	s_sendmsg sendmsg(MSG_DEALLOC_VGPRS)
	s_endpgm
.LBB127_7:
                                        ; implicit-def: $vgpr1
	s_cbranch_execnz .LBB127_5
.LBB127_8:
	s_delay_alu instid0(VALU_DEP_1)
	v_mov_b32_e32 v6, v1
	s_and_b32 exec_lo, exec_lo, s3
	s_cbranch_execz .LBB127_6
.LBB127_9:
	s_load_b256 s[4:11], s[0:1], 0x20
	s_mov_b32 s13, 0
	v_dual_mov_b32 v1, 0 :: v_dual_bitop2_b32 v0, 15, v0 bitop3:0x40
	s_wait_kmcnt 0x0
	s_cmp_eq_u64 s[6:7], 0
	global_load_b64 v[22:23], v6, s[4:5] scale_offset
	s_cselect_b32 vcc_lo, -1, 0
	v_ashrrev_i32_e32 v7, 31, v6
	s_cmp_eq_u32 s15, 1
	s_delay_alu instid0(VALU_DEP_1) | instskip(NEXT) | instid1(VALU_DEP_1)
	v_lshlrev_b64_e32 v[8:9], 3, v[6:7]
	v_add_nc_u64_e32 v[10:11], s[4:5], v[8:9]
	v_add_nc_u64_e32 v[8:9], s[6:7], v[8:9]
	s_wait_xcnt 0x0
	s_load_b64 s[4:5], s[0:1], 0x40
	s_delay_alu instid0(VALU_DEP_2) | instskip(NEXT) | instid1(VALU_DEP_1)
	v_add_nc_u64_e32 v[10:11], 8, v[10:11]
	v_dual_cndmask_b32 v9, v9, v11 :: v_dual_cndmask_b32 v8, v8, v10
	global_load_b64 v[10:11], v[8:9], off
	s_wait_loadcnt 0x1
	s_wait_xcnt 0x0
	v_sub_nc_u64_e64 v[8:9], v[22:23], s[12:13]
	s_delay_alu instid0(VALU_DEP_1) | instskip(NEXT) | instid1(VALU_DEP_1)
	v_add_nc_u64_e32 v[8:9], v[8:9], v[0:1]
	v_lshlrev_b64_e32 v[12:13], 6, v[8:9]
	s_delay_alu instid0(VALU_DEP_1) | instskip(SKIP_2) | instid1(VALU_DEP_1)
	v_add_nc_u64_e32 v[12:13], s[10:11], v[12:13]
	s_wait_loadcnt 0x0
	v_sub_nc_u64_e64 v[10:11], v[10:11], s[12:13]
	v_cmp_lt_i64_e64 s3, v[8:9], v[10:11]
	s_cbranch_scc1 .LBB127_21
; %bb.10:
	v_dual_mov_b32 v15, v1 :: v_dual_mov_b32 v14, v1
	v_dual_mov_b32 v17, v1 :: v_dual_mov_b32 v16, v1
	;; [unrolled: 1-line block ×4, first 2 shown]
	s_and_saveexec_b32 s6, s3
	s_cbranch_execz .LBB127_20
; %bb.11:
	v_dual_mov_b32 v15, v1 :: v_dual_bitop2_b32 v14, 16, v0 bitop3:0x54
	v_sub_nc_u64_e32 v[16:17], s[12:13], v[0:1]
	v_not_b32_e32 v19, v23
	v_not_b32_e32 v18, v22
	v_mov_b64_e32 v[24:25], v[12:13]
	v_sub_nc_u64_e64 v[14:15], v[14:15], s[12:13]
	v_mov_b64_e32 v[26:27], v[8:9]
	s_delay_alu instid0(VALU_DEP_4) | instskip(NEXT) | instid1(VALU_DEP_3)
	v_add_nc_u64_e32 v[16:17], v[16:17], v[18:19]
	v_add_nc_u64_e32 v[14:15], v[14:15], v[22:23]
	s_delay_alu instid0(VALU_DEP_1) | instskip(NEXT) | instid1(VALU_DEP_1)
	v_max_i64 v[14:15], v[14:15], v[10:11]
	v_add_nc_u64_e32 v[28:29], v[16:17], v[14:15]
	s_delay_alu instid0(VALU_DEP_1) | instskip(NEXT) | instid1(VALU_DEP_1)
	v_dual_mov_b32 v19, 0 :: v_dual_bitop2_b32 v18, 48, v28 bitop3:0x40
	v_dual_mov_b32 v20, v19 :: v_dual_mov_b32 v21, v19
	v_dual_mov_b32 v16, v19 :: v_dual_mov_b32 v17, v19
	s_delay_alu instid0(VALU_DEP_3)
	v_cmp_ne_u64_e32 vcc_lo, 48, v[18:19]
	v_dual_mov_b32 v14, v19 :: v_dual_mov_b32 v18, v19
	v_mov_b32_e32 v15, v19
	s_and_saveexec_b32 s7, vcc_lo
	s_cbranch_execz .LBB127_15
; %bb.12:
	v_dual_lshrrev_b32 v7, 4, v28 :: v_dual_mov_b32 v31, 0
	v_mov_b64_e32 v[26:27], v[8:9]
	v_mov_b64_e32 v[24:25], v[12:13]
	v_lshl_add_u64 v[32:33], v[8:9], 2, s[8:9]
	s_delay_alu instid0(VALU_DEP_4) | instskip(SKIP_2) | instid1(VALU_DEP_3)
	v_dual_mov_b32 v18, v31 :: v_dual_add_nc_u32 v7, 1, v7
	v_bfrev_b32_e32 v34, 1
	v_dual_mov_b32 v20, v31 :: v_dual_mov_b32 v21, v31
	v_dual_mov_b32 v19, v31 :: v_dual_bitop2_b32 v30, 3, v7 bitop3:0x40
	v_dual_mov_b32 v16, v31 :: v_dual_mov_b32 v17, v31
	v_dual_mov_b32 v14, v31 :: v_dual_mov_b32 v15, v31
	s_delay_alu instid0(VALU_DEP_3)
	v_sub_nc_u64_e32 v[36:37], 0, v[30:31]
	s_mov_b32 s10, 0
.LBB127_13:                             ; =>This Inner Loop Header: Depth=1
	global_load_b32 v7, v[32:33], off
	s_clause 0x1
	global_load_b128 v[38:41], v[24:25], off offset:16
	global_load_b128 v[42:45], v[24:25], off
	v_add_nc_u64_e32 v[36:37], 1, v[36:37]
	v_add_nc_u64_e32 v[26:27], 16, v[26:27]
	s_wait_xcnt 0x2
	v_add_nc_u64_e32 v[32:33], 64, v[32:33]
	s_delay_alu instid0(VALU_DEP_3)
	v_cmp_eq_u64_e32 vcc_lo, 0, v[36:37]
	s_or_b32 s10, vcc_lo, s10
	s_wait_loadcnt 0x2
	v_subrev_nc_u32_e32 v7, s12, v7
	s_wait_loadcnt 0x0
	v_dual_mov_b32 v30, v42 :: v_dual_mov_b32 v35, v42
	s_delay_alu instid0(VALU_DEP_2) | instskip(NEXT) | instid1(VALU_DEP_1)
	v_lshlrev_b32_e32 v46, 2, v7
	v_ashrrev_i32_e32 v47, 31, v46
	s_wait_kmcnt 0x0
	s_delay_alu instid0(VALU_DEP_1)
	v_lshl_add_u64 v[62:63], v[46:47], 3, s[4:5]
	s_clause 0x1
	global_load_b128 v[46:49], v[62:63], off
	global_load_b128 v[50:53], v[62:63], off offset:16
	s_clause 0x1
	global_load_b128 v[54:57], v[24:25], off offset:32
	global_load_b128 v[58:61], v[24:25], off offset:48
	s_wait_xcnt 0x0
	v_add_nc_u64_e32 v[24:25], 0x400, v[24:25]
	s_wait_loadcnt 0x3
	v_pk_fma_f32 v[14:15], v[46:47], v[30:31], v[14:15] op_sel_hi:[0,1,1]
	v_dual_mov_b32 v30, v43 :: v_dual_mov_b32 v42, v49
	s_wait_loadcnt 0x2
	v_mov_b32_e32 v62, v53
	s_delay_alu instid0(VALU_DEP_3) | instskip(SKIP_1) | instid1(VALU_DEP_2)
	v_pk_fma_f32 v[14:15], v[46:47], v[34:35], v[14:15] op_sel:[1,0,0]
	v_mov_b32_e32 v35, v43
	v_pk_fma_f32 v[14:15], v[48:49], v[30:31], v[14:15] op_sel_hi:[0,1,1]
	v_mov_b32_e32 v30, v44
	s_delay_alu instid0(VALU_DEP_2) | instskip(SKIP_1) | instid1(VALU_DEP_2)
	v_pk_fma_f32 v[14:15], v[42:43], v[34:35], v[14:15] op_sel_hi:[0,1,1]
	v_mov_b32_e32 v35, v44
	v_pk_fma_f32 v[14:15], v[50:51], v[30:31], v[14:15] op_sel_hi:[0,1,1]
	v_mov_b32_e32 v30, v45
	s_delay_alu instid0(VALU_DEP_2) | instskip(SKIP_1) | instid1(VALU_DEP_2)
	v_pk_fma_f32 v[14:15], v[50:51], v[34:35], v[14:15] op_sel:[1,0,0]
	v_mov_b32_e32 v35, v45
	v_pk_fma_f32 v[14:15], v[52:53], v[30:31], v[14:15] op_sel_hi:[0,1,1]
	v_mov_b32_e32 v30, v38
	s_delay_alu instid0(VALU_DEP_2) | instskip(SKIP_1) | instid1(VALU_DEP_3)
	v_pk_fma_f32 v[14:15], v[62:63], v[34:35], v[14:15] op_sel_hi:[0,1,1]
	v_mov_b32_e32 v35, v38
	v_pk_fma_f32 v[16:17], v[46:47], v[30:31], v[16:17] op_sel_hi:[0,1,1]
	v_mov_b32_e32 v30, v39
	s_delay_alu instid0(VALU_DEP_2) | instskip(SKIP_1) | instid1(VALU_DEP_2)
	v_pk_fma_f32 v[16:17], v[46:47], v[34:35], v[16:17] op_sel:[1,0,0]
	v_mov_b32_e32 v35, v39
	v_pk_fma_f32 v[16:17], v[48:49], v[30:31], v[16:17] op_sel_hi:[0,1,1]
	v_mov_b32_e32 v30, v40
	s_delay_alu instid0(VALU_DEP_2) | instskip(SKIP_1) | instid1(VALU_DEP_2)
	v_pk_fma_f32 v[16:17], v[42:43], v[34:35], v[16:17] op_sel_hi:[0,1,1]
	v_mov_b32_e32 v35, v40
	v_pk_fma_f32 v[16:17], v[50:51], v[30:31], v[16:17] op_sel_hi:[0,1,1]
	v_mov_b32_e32 v30, v41
	s_delay_alu instid0(VALU_DEP_2) | instskip(SKIP_1) | instid1(VALU_DEP_2)
	v_pk_fma_f32 v[16:17], v[50:51], v[34:35], v[16:17] op_sel:[1,0,0]
	v_mov_b32_e32 v35, v41
	v_pk_fma_f32 v[16:17], v[52:53], v[30:31], v[16:17] op_sel_hi:[0,1,1]
	s_wait_loadcnt 0x1
	v_mov_b32_e32 v30, v54
	s_delay_alu instid0(VALU_DEP_2) | instskip(SKIP_1) | instid1(VALU_DEP_3)
	v_pk_fma_f32 v[16:17], v[62:63], v[34:35], v[16:17] op_sel_hi:[0,1,1]
	v_mov_b32_e32 v35, v54
	v_pk_fma_f32 v[20:21], v[46:47], v[30:31], v[20:21] op_sel_hi:[0,1,1]
	v_mov_b32_e32 v30, v55
	s_delay_alu instid0(VALU_DEP_2) | instskip(SKIP_1) | instid1(VALU_DEP_2)
	v_pk_fma_f32 v[20:21], v[46:47], v[34:35], v[20:21] op_sel:[1,0,0]
	v_mov_b32_e32 v35, v55
	v_pk_fma_f32 v[20:21], v[48:49], v[30:31], v[20:21] op_sel_hi:[0,1,1]
	v_mov_b32_e32 v30, v56
	s_delay_alu instid0(VALU_DEP_2) | instskip(SKIP_1) | instid1(VALU_DEP_2)
	v_pk_fma_f32 v[20:21], v[42:43], v[34:35], v[20:21] op_sel_hi:[0,1,1]
	v_mov_b32_e32 v35, v56
	v_pk_fma_f32 v[20:21], v[50:51], v[30:31], v[20:21] op_sel_hi:[0,1,1]
	v_mov_b32_e32 v30, v57
	s_delay_alu instid0(VALU_DEP_2) | instskip(SKIP_1) | instid1(VALU_DEP_2)
	v_pk_fma_f32 v[20:21], v[50:51], v[34:35], v[20:21] op_sel:[1,0,0]
	v_mov_b32_e32 v35, v57
	v_pk_fma_f32 v[20:21], v[52:53], v[30:31], v[20:21] op_sel_hi:[0,1,1]
	s_wait_loadcnt 0x0
	v_mov_b32_e32 v30, v58
	s_delay_alu instid0(VALU_DEP_2) | instskip(SKIP_1) | instid1(VALU_DEP_3)
	v_pk_fma_f32 v[20:21], v[62:63], v[34:35], v[20:21] op_sel_hi:[0,1,1]
	v_mov_b32_e32 v35, v58
	v_pk_fma_f32 v[18:19], v[46:47], v[30:31], v[18:19] op_sel_hi:[0,1,1]
	v_mov_b32_e32 v30, v59
	s_delay_alu instid0(VALU_DEP_2) | instskip(SKIP_1) | instid1(VALU_DEP_2)
	v_pk_fma_f32 v[18:19], v[46:47], v[34:35], v[18:19] op_sel:[1,0,0]
	v_mov_b32_e32 v35, v59
	v_pk_fma_f32 v[18:19], v[48:49], v[30:31], v[18:19] op_sel_hi:[0,1,1]
	v_mov_b32_e32 v30, v60
	s_delay_alu instid0(VALU_DEP_2) | instskip(SKIP_1) | instid1(VALU_DEP_2)
	v_pk_fma_f32 v[18:19], v[42:43], v[34:35], v[18:19] op_sel_hi:[0,1,1]
	v_mov_b32_e32 v35, v60
	v_pk_fma_f32 v[18:19], v[50:51], v[30:31], v[18:19] op_sel_hi:[0,1,1]
	v_mov_b32_e32 v30, v61
	s_delay_alu instid0(VALU_DEP_2) | instskip(SKIP_1) | instid1(VALU_DEP_2)
	v_pk_fma_f32 v[18:19], v[50:51], v[34:35], v[18:19] op_sel:[1,0,0]
	v_mov_b32_e32 v35, v61
	v_pk_fma_f32 v[18:19], v[52:53], v[30:31], v[18:19] op_sel_hi:[0,1,1]
	s_delay_alu instid0(VALU_DEP_1)
	v_pk_fma_f32 v[18:19], v[62:63], v[34:35], v[18:19] op_sel_hi:[0,1,1]
	s_and_not1_b32 exec_lo, exec_lo, s10
	s_cbranch_execnz .LBB127_13
; %bb.14:
	s_or_b32 exec_lo, exec_lo, s10
.LBB127_15:
	s_delay_alu instid0(SALU_CYCLE_1) | instskip(NEXT) | instid1(SALU_CYCLE_1)
	s_or_b32 exec_lo, exec_lo, s7
	s_mov_b32 s7, exec_lo
	v_cmpx_lt_u64_e32 47, v[28:29]
	s_cbranch_execz .LBB127_19
; %bb.16:
	v_lshl_add_u64 v[28:29], v[26:27], 2, s[8:9]
	v_mov_b32_e32 v31, 0
	v_bfrev_b32_e32 v32, 1
	s_mov_b32 s10, 0
	s_delay_alu instid0(VALU_DEP_3)
	v_add_nc_u64_e32 v[28:29], 0x80, v[28:29]
.LBB127_17:                             ; =>This Inner Loop Header: Depth=1
	s_clause 0x1
	global_load_b32 v7, v[28:29], off offset:-128
	global_load_b32 v30, v[28:29], off offset:-64
	s_clause 0x7
	global_load_b128 v[34:37], v[24:25], off
	global_load_b128 v[38:41], v[24:25], off offset:16
	global_load_b128 v[42:45], v[24:25], off offset:1072
	;; [unrolled: 1-line block ×7, first 2 shown]
	s_clause 0x1
	global_load_b32 v94, v[28:29], off
	global_load_b32 v95, v[28:29], off offset:64
	global_load_b128 v[66:69], v[24:25], off offset:2048
	v_add_nc_u64_e32 v[26:27], 64, v[26:27]
	s_wait_xcnt 0x1
	v_add_nc_u64_e32 v[28:29], 0x100, v[28:29]
	s_delay_alu instid0(VALU_DEP_2)
	v_cmp_ge_i64_e32 vcc_lo, v[26:27], v[10:11]
	s_or_b32 s10, vcc_lo, s10
	s_wait_loadcnt 0xc
	v_subrev_nc_u32_e32 v7, s12, v7
	s_wait_loadcnt 0xb
	v_subrev_nc_u32_e32 v71, s12, v30
	s_wait_loadcnt 0xa
	v_dual_mov_b32 v30, v34 :: v_dual_mov_b32 v33, v34
	s_delay_alu instid0(VALU_DEP_2) | instskip(SKIP_3) | instid1(VALU_DEP_2)
	v_lshlrev_b32_e32 v72, 2, v71
	v_lshlrev_b32_e32 v70, 2, v7
	s_wait_loadcnt 0x2
	v_subrev_nc_u32_e32 v7, s12, v94
	v_dual_ashrrev_i32 v73, 31, v72 :: v_dual_ashrrev_i32 v71, 31, v70
	s_wait_kmcnt 0x0
	s_delay_alu instid0(VALU_DEP_1) | instskip(NEXT) | instid1(VALU_DEP_2)
	v_lshl_add_u64 v[88:89], v[72:73], 3, s[4:5]
	v_lshl_add_u64 v[86:87], v[70:71], 3, s[4:5]
	s_clause 0x3
	global_load_b128 v[70:73], v[86:87], off
	global_load_b128 v[74:77], v[86:87], off offset:16
	global_load_b128 v[78:81], v[88:89], off
	global_load_b128 v[82:85], v[88:89], off offset:16
	s_wait_loadcnt 0x3
	v_pk_fma_f32 v[14:15], v[70:71], v[30:31], v[14:15] op_sel_hi:[0,1,1]
	s_wait_xcnt 0x2
	v_dual_mov_b32 v30, v35 :: v_dual_mov_b32 v86, v73
	s_wait_loadcnt 0x2
	s_wait_xcnt 0x0
	v_mov_b32_e32 v88, v77
	v_pk_fma_f32 v[14:15], v[70:71], v[32:33], v[14:15] op_sel:[1,0,0]
	v_mov_b32_e32 v33, v35
	s_delay_alu instid0(VALU_DEP_2) | instskip(SKIP_1) | instid1(VALU_DEP_2)
	v_pk_fma_f32 v[14:15], v[72:73], v[30:31], v[14:15] op_sel_hi:[0,1,1]
	v_mov_b32_e32 v30, v36
	v_pk_fma_f32 v[14:15], v[86:87], v[32:33], v[14:15] op_sel_hi:[0,1,1]
	v_mov_b32_e32 v33, v36
	s_delay_alu instid0(VALU_DEP_2) | instskip(SKIP_1) | instid1(VALU_DEP_2)
	v_pk_fma_f32 v[14:15], v[74:75], v[30:31], v[14:15] op_sel_hi:[0,1,1]
	v_mov_b32_e32 v30, v37
	v_pk_fma_f32 v[14:15], v[74:75], v[32:33], v[14:15] op_sel:[1,0,0]
	v_mov_b32_e32 v33, v37
	s_delay_alu instid0(VALU_DEP_2) | instskip(SKIP_1) | instid1(VALU_DEP_2)
	v_pk_fma_f32 v[14:15], v[76:77], v[30:31], v[14:15] op_sel_hi:[0,1,1]
	v_mov_b32_e32 v30, v54
	v_pk_fma_f32 v[14:15], v[88:89], v[32:33], v[14:15] op_sel_hi:[0,1,1]
	v_mov_b32_e32 v33, v54
	s_wait_loadcnt 0x1
	s_delay_alu instid0(VALU_DEP_2) | instskip(SKIP_1) | instid1(VALU_DEP_2)
	v_pk_fma_f32 v[14:15], v[78:79], v[30:31], v[14:15] op_sel_hi:[0,1,1]
	v_mov_b32_e32 v30, v38
	v_pk_fma_f32 v[90:91], v[78:79], v[32:33], v[14:15] op_sel:[1,0,0]
	v_mov_b32_e32 v33, v38
	s_delay_alu instid0(VALU_DEP_3) | instskip(SKIP_1) | instid1(VALU_DEP_2)
	v_pk_fma_f32 v[14:15], v[70:71], v[30:31], v[16:17] op_sel_hi:[0,1,1]
	v_mov_b32_e32 v30, v39
	v_pk_fma_f32 v[14:15], v[70:71], v[32:33], v[14:15] op_sel:[1,0,0]
	v_mov_b32_e32 v33, v39
	v_subrev_nc_u32_e32 v39, s12, v95
	s_delay_alu instid0(VALU_DEP_3) | instskip(SKIP_1) | instid1(VALU_DEP_2)
	v_pk_fma_f32 v[14:15], v[72:73], v[30:31], v[14:15] op_sel_hi:[0,1,1]
	v_mov_b32_e32 v30, v40
	v_pk_fma_f32 v[14:15], v[86:87], v[32:33], v[14:15] op_sel_hi:[0,1,1]
	s_delay_alu instid0(VALU_DEP_4) | instskip(SKIP_1) | instid1(VALU_DEP_3)
	v_dual_mov_b32 v33, v40 :: v_dual_lshlrev_b32 v40, 2, v39
	v_lshlrev_b32_e32 v38, 2, v7
	v_pk_fma_f32 v[14:15], v[74:75], v[30:31], v[14:15] op_sel_hi:[0,1,1]
	v_mov_b32_e32 v30, v41
	s_delay_alu instid0(VALU_DEP_2)
	v_pk_fma_f32 v[34:35], v[74:75], v[32:33], v[14:15] op_sel:[1,0,0]
	v_dual_mov_b32 v33, v41 :: v_dual_ashrrev_i32 v41, 31, v40
	v_ashrrev_i32_e32 v39, 31, v38
	global_load_b128 v[14:17], v[24:25], off offset:3072
	v_pk_fma_f32 v[34:35], v[76:77], v[30:31], v[34:35] op_sel_hi:[0,1,1]
	v_mov_b32_e32 v30, v50
	v_lshl_add_u64 v[94:95], v[40:41], 3, s[4:5]
	s_delay_alu instid0(VALU_DEP_3) | instskip(SKIP_1) | instid1(VALU_DEP_2)
	v_pk_fma_f32 v[34:35], v[88:89], v[32:33], v[34:35] op_sel_hi:[0,1,1]
	v_mov_b32_e32 v33, v50
	v_pk_fma_f32 v[34:35], v[78:79], v[30:31], v[34:35] op_sel_hi:[0,1,1]
	v_mov_b32_e32 v30, v62
	s_delay_alu instid0(VALU_DEP_2) | instskip(SKIP_1) | instid1(VALU_DEP_3)
	v_pk_fma_f32 v[92:93], v[78:79], v[32:33], v[34:35] op_sel:[1,0,0]
	v_mov_b32_e32 v33, v62
	v_pk_fma_f32 v[20:21], v[70:71], v[30:31], v[20:21] op_sel_hi:[0,1,1]
	v_mov_b32_e32 v30, v63
	global_load_b128 v[34:37], v[24:25], off offset:2064
	v_pk_fma_f32 v[20:21], v[70:71], v[32:33], v[20:21] op_sel:[1,0,0]
	v_mov_b32_e32 v33, v63
	v_lshl_add_u64 v[62:63], v[38:39], 3, s[4:5]
	s_delay_alu instid0(VALU_DEP_3) | instskip(SKIP_4) | instid1(VALU_DEP_2)
	v_pk_fma_f32 v[20:21], v[72:73], v[30:31], v[20:21] op_sel_hi:[0,1,1]
	v_mov_b32_e32 v30, v64
	global_load_b128 v[38:41], v[62:63], off
	v_pk_fma_f32 v[20:21], v[86:87], v[32:33], v[20:21] op_sel_hi:[0,1,1]
	v_mov_b32_e32 v33, v64
	v_pk_fma_f32 v[20:21], v[74:75], v[30:31], v[20:21] op_sel_hi:[0,1,1]
	v_mov_b32_e32 v30, v65
	s_delay_alu instid0(VALU_DEP_2) | instskip(SKIP_1) | instid1(VALU_DEP_2)
	v_pk_fma_f32 v[20:21], v[74:75], v[32:33], v[20:21] op_sel:[1,0,0]
	v_mov_b32_e32 v33, v65
	v_pk_fma_f32 v[20:21], v[76:77], v[30:31], v[20:21] op_sel_hi:[0,1,1]
	v_mov_b32_e32 v30, v46
	s_delay_alu instid0(VALU_DEP_2) | instskip(SKIP_1) | instid1(VALU_DEP_2)
	v_pk_fma_f32 v[20:21], v[88:89], v[32:33], v[20:21] op_sel_hi:[0,1,1]
	v_mov_b32_e32 v33, v46
	v_pk_fma_f32 v[20:21], v[78:79], v[30:31], v[20:21] op_sel_hi:[0,1,1]
	v_mov_b32_e32 v30, v58
	s_delay_alu instid0(VALU_DEP_2) | instskip(SKIP_1) | instid1(VALU_DEP_3)
	v_pk_fma_f32 v[96:97], v[78:79], v[32:33], v[20:21] op_sel:[1,0,0]
	v_mov_b32_e32 v33, v58
	v_pk_fma_f32 v[18:19], v[70:71], v[30:31], v[18:19] op_sel_hi:[0,1,1]
	v_mov_b32_e32 v30, v59
	s_delay_alu instid0(VALU_DEP_2) | instskip(SKIP_1) | instid1(VALU_DEP_2)
	v_pk_fma_f32 v[18:19], v[70:71], v[32:33], v[18:19] op_sel:[1,0,0]
	v_mov_b32_e32 v33, v59
	v_pk_fma_f32 v[18:19], v[72:73], v[30:31], v[18:19] op_sel_hi:[0,1,1]
	v_mov_b32_e32 v30, v60
	global_load_b128 v[70:73], v[94:95], off offset:16
	v_pk_fma_f32 v[18:19], v[86:87], v[32:33], v[18:19] op_sel_hi:[0,1,1]
	v_mov_b32_e32 v33, v60
	s_delay_alu instid0(VALU_DEP_2) | instskip(SKIP_1) | instid1(VALU_DEP_2)
	v_pk_fma_f32 v[18:19], v[74:75], v[30:31], v[18:19] op_sel_hi:[0,1,1]
	v_mov_b32_e32 v30, v61
	v_pk_fma_f32 v[18:19], v[74:75], v[32:33], v[18:19] op_sel:[1,0,0]
	v_mov_b32_e32 v33, v61
	s_clause 0x1
	global_load_b128 v[58:61], v[94:95], off
	global_load_b128 v[62:65], v[62:63], off offset:16
	v_mov_b32_e32 v74, v81
	v_pk_fma_f32 v[18:19], v[76:77], v[30:31], v[18:19] op_sel_hi:[0,1,1]
	s_wait_loadcnt 0x6
	v_dual_mov_b32 v30, v42 :: v_dual_mov_b32 v76, v85
	s_delay_alu instid0(VALU_DEP_2) | instskip(SKIP_1) | instid1(VALU_DEP_2)
	v_pk_fma_f32 v[18:19], v[88:89], v[32:33], v[18:19] op_sel_hi:[0,1,1]
	v_mov_b32_e32 v33, v42
	v_pk_fma_f32 v[18:19], v[78:79], v[30:31], v[18:19] op_sel_hi:[0,1,1]
	v_mov_b32_e32 v30, v55
	s_delay_alu instid0(VALU_DEP_2) | instskip(SKIP_1) | instid1(VALU_DEP_3)
	v_pk_fma_f32 v[78:79], v[78:79], v[32:33], v[18:19] op_sel:[1,0,0]
	v_mov_b32_e32 v33, v55
	v_pk_fma_f32 v[18:19], v[80:81], v[30:31], v[90:91] op_sel_hi:[0,1,1]
	v_mov_b32_e32 v30, v56
	s_delay_alu instid0(VALU_DEP_2) | instskip(SKIP_1) | instid1(VALU_DEP_2)
	v_pk_fma_f32 v[18:19], v[74:75], v[32:33], v[18:19] op_sel_hi:[0,1,1]
	v_mov_b32_e32 v33, v56
	v_pk_fma_f32 v[18:19], v[82:83], v[30:31], v[18:19] op_sel_hi:[0,1,1]
	v_mov_b32_e32 v30, v57
	s_delay_alu instid0(VALU_DEP_2) | instskip(SKIP_1) | instid1(VALU_DEP_2)
	v_pk_fma_f32 v[18:19], v[82:83], v[32:33], v[18:19] op_sel:[1,0,0]
	v_mov_b32_e32 v33, v57
	v_pk_fma_f32 v[18:19], v[84:85], v[30:31], v[18:19] op_sel_hi:[0,1,1]
	v_mov_b32_e32 v30, v66
	s_delay_alu instid0(VALU_DEP_2) | instskip(SKIP_2) | instid1(VALU_DEP_2)
	v_pk_fma_f32 v[18:19], v[76:77], v[32:33], v[18:19] op_sel_hi:[0,1,1]
	s_wait_loadcnt 0x3
	v_dual_mov_b32 v33, v66 :: v_dual_mov_b32 v42, v41
	v_pk_fma_f32 v[18:19], v[38:39], v[30:31], v[18:19] op_sel_hi:[0,1,1]
	v_mov_b32_e32 v30, v67
	s_delay_alu instid0(VALU_DEP_2) | instskip(SKIP_1) | instid1(VALU_DEP_2)
	v_pk_fma_f32 v[18:19], v[38:39], v[32:33], v[18:19] op_sel:[1,0,0]
	v_mov_b32_e32 v33, v67
	v_pk_fma_f32 v[18:19], v[40:41], v[30:31], v[18:19] op_sel_hi:[0,1,1]
	v_mov_b32_e32 v30, v68
	s_delay_alu instid0(VALU_DEP_2)
	v_pk_fma_f32 v[18:19], v[42:43], v[32:33], v[18:19] op_sel_hi:[0,1,1]
	s_wait_loadcnt 0x2
	v_dual_mov_b32 v33, v68 :: v_dual_mov_b32 v86, v73
	s_wait_loadcnt 0x1
	v_mov_b32_e32 v68, v61
	s_wait_loadcnt 0x0
	v_pk_fma_f32 v[18:19], v[30:31], v[62:63], v[18:19] op_sel_hi:[1,0,1]
	v_dual_mov_b32 v30, v69 :: v_dual_mov_b32 v66, v65
	s_delay_alu instid0(VALU_DEP_2) | instskip(SKIP_4) | instid1(VALU_DEP_2)
	v_pk_fma_f32 v[54:55], v[62:63], v[32:33], v[18:19] op_sel:[1,0,0]
	global_load_b128 v[18:21], v[24:25], off offset:3088
	v_mov_b32_e32 v33, v69
	v_pk_fma_f32 v[54:55], v[64:65], v[30:31], v[54:55] op_sel_hi:[0,1,1]
	v_mov_b32_e32 v30, v14
	v_pk_fma_f32 v[54:55], v[66:67], v[32:33], v[54:55] op_sel_hi:[0,1,1]
	v_mov_b32_e32 v33, v14
	s_delay_alu instid0(VALU_DEP_2) | instskip(SKIP_1) | instid1(VALU_DEP_2)
	v_pk_fma_f32 v[54:55], v[58:59], v[30:31], v[54:55] op_sel_hi:[0,1,1]
	v_mov_b32_e32 v30, v15
	v_pk_fma_f32 v[54:55], v[58:59], v[32:33], v[54:55] op_sel:[1,0,0]
	v_mov_b32_e32 v33, v15
	s_delay_alu instid0(VALU_DEP_2) | instskip(SKIP_4) | instid1(VALU_DEP_2)
	v_pk_fma_f32 v[14:15], v[60:61], v[30:31], v[54:55] op_sel_hi:[0,1,1]
	v_mov_b32_e32 v30, v16
	global_load_b128 v[54:57], v[24:25], off offset:2096
	v_pk_fma_f32 v[14:15], v[68:69], v[32:33], v[14:15] op_sel_hi:[0,1,1]
	v_mov_b32_e32 v33, v16
	v_pk_fma_f32 v[14:15], v[70:71], v[30:31], v[14:15] op_sel_hi:[0,1,1]
	v_mov_b32_e32 v30, v17
	s_delay_alu instid0(VALU_DEP_2) | instskip(SKIP_1) | instid1(VALU_DEP_2)
	v_pk_fma_f32 v[14:15], v[70:71], v[32:33], v[14:15] op_sel:[1,0,0]
	v_mov_b32_e32 v33, v17
	v_pk_fma_f32 v[14:15], v[72:73], v[30:31], v[14:15] op_sel_hi:[0,1,1]
	v_mov_b32_e32 v30, v51
	s_delay_alu instid0(VALU_DEP_2) | instskip(SKIP_1) | instid1(VALU_DEP_3)
	v_pk_fma_f32 v[14:15], v[86:87], v[32:33], v[14:15] op_sel_hi:[0,1,1]
	v_mov_b32_e32 v33, v51
	v_pk_fma_f32 v[16:17], v[80:81], v[30:31], v[92:93] op_sel_hi:[0,1,1]
	v_mov_b32_e32 v30, v52
	s_delay_alu instid0(VALU_DEP_2) | instskip(SKIP_1) | instid1(VALU_DEP_2)
	v_pk_fma_f32 v[16:17], v[74:75], v[32:33], v[16:17] op_sel_hi:[0,1,1]
	v_mov_b32_e32 v33, v52
	v_pk_fma_f32 v[16:17], v[82:83], v[30:31], v[16:17] op_sel_hi:[0,1,1]
	v_mov_b32_e32 v30, v53
	s_delay_alu instid0(VALU_DEP_2) | instskip(SKIP_4) | instid1(VALU_DEP_2)
	v_pk_fma_f32 v[16:17], v[82:83], v[32:33], v[16:17] op_sel:[1,0,0]
	v_mov_b32_e32 v33, v53
	global_load_b128 v[50:53], v[24:25], off offset:2080
	v_pk_fma_f32 v[16:17], v[84:85], v[30:31], v[16:17] op_sel_hi:[0,1,1]
	v_mov_b32_e32 v30, v34
	v_pk_fma_f32 v[16:17], v[76:77], v[32:33], v[16:17] op_sel_hi:[0,1,1]
	v_mov_b32_e32 v33, v34
	s_delay_alu instid0(VALU_DEP_2) | instskip(SKIP_1) | instid1(VALU_DEP_2)
	v_pk_fma_f32 v[16:17], v[38:39], v[30:31], v[16:17] op_sel_hi:[0,1,1]
	v_mov_b32_e32 v30, v35
	v_pk_fma_f32 v[16:17], v[38:39], v[32:33], v[16:17] op_sel:[1,0,0]
	v_mov_b32_e32 v33, v35
	s_delay_alu instid0(VALU_DEP_2) | instskip(SKIP_1) | instid1(VALU_DEP_2)
	v_pk_fma_f32 v[16:17], v[40:41], v[30:31], v[16:17] op_sel_hi:[0,1,1]
	v_mov_b32_e32 v30, v36
	v_pk_fma_f32 v[16:17], v[42:43], v[32:33], v[16:17] op_sel_hi:[0,1,1]
	v_mov_b32_e32 v33, v36
	s_delay_alu instid0(VALU_DEP_2) | instskip(SKIP_1) | instid1(VALU_DEP_2)
	v_pk_fma_f32 v[16:17], v[30:31], v[62:63], v[16:17] op_sel_hi:[1,0,1]
	v_mov_b32_e32 v30, v37
	v_pk_fma_f32 v[16:17], v[62:63], v[32:33], v[16:17] op_sel:[1,0,0]
	v_mov_b32_e32 v33, v37
	global_load_b128 v[34:37], v[24:25], off offset:3104
	v_pk_fma_f32 v[16:17], v[64:65], v[30:31], v[16:17] op_sel_hi:[0,1,1]
	s_delay_alu instid0(VALU_DEP_1) | instskip(SKIP_2) | instid1(VALU_DEP_1)
	v_pk_fma_f32 v[16:17], v[66:67], v[32:33], v[16:17] op_sel_hi:[0,1,1]
	s_wait_loadcnt 0x3
	v_dual_mov_b32 v30, v18 :: v_dual_mov_b32 v33, v18
	v_pk_fma_f32 v[16:17], v[58:59], v[30:31], v[16:17] op_sel_hi:[0,1,1]
	v_mov_b32_e32 v30, v19
	s_delay_alu instid0(VALU_DEP_2) | instskip(SKIP_1) | instid1(VALU_DEP_2)
	v_pk_fma_f32 v[16:17], v[58:59], v[32:33], v[16:17] op_sel:[1,0,0]
	v_mov_b32_e32 v33, v19
	v_pk_fma_f32 v[16:17], v[60:61], v[30:31], v[16:17] op_sel_hi:[0,1,1]
	v_mov_b32_e32 v30, v20
	s_delay_alu instid0(VALU_DEP_2) | instskip(SKIP_1) | instid1(VALU_DEP_2)
	v_pk_fma_f32 v[16:17], v[68:69], v[32:33], v[16:17] op_sel_hi:[0,1,1]
	v_mov_b32_e32 v33, v20
	v_pk_fma_f32 v[16:17], v[70:71], v[30:31], v[16:17] op_sel_hi:[0,1,1]
	v_mov_b32_e32 v30, v21
	s_delay_alu instid0(VALU_DEP_2) | instskip(SKIP_1) | instid1(VALU_DEP_2)
	v_pk_fma_f32 v[16:17], v[70:71], v[32:33], v[16:17] op_sel:[1,0,0]
	v_mov_b32_e32 v33, v21
	v_pk_fma_f32 v[16:17], v[72:73], v[30:31], v[16:17] op_sel_hi:[0,1,1]
	v_mov_b32_e32 v30, v47
	s_delay_alu instid0(VALU_DEP_2) | instskip(SKIP_1) | instid1(VALU_DEP_3)
	v_pk_fma_f32 v[16:17], v[86:87], v[32:33], v[16:17] op_sel_hi:[0,1,1]
	v_mov_b32_e32 v33, v47
	v_pk_fma_f32 v[18:19], v[80:81], v[30:31], v[96:97] op_sel_hi:[0,1,1]
	v_mov_b32_e32 v30, v48
	s_delay_alu instid0(VALU_DEP_2) | instskip(SKIP_1) | instid1(VALU_DEP_2)
	v_pk_fma_f32 v[18:19], v[74:75], v[32:33], v[18:19] op_sel_hi:[0,1,1]
	v_mov_b32_e32 v33, v48
	v_pk_fma_f32 v[18:19], v[82:83], v[30:31], v[18:19] op_sel_hi:[0,1,1]
	v_mov_b32_e32 v30, v49
	s_delay_alu instid0(VALU_DEP_2)
	v_pk_fma_f32 v[18:19], v[82:83], v[32:33], v[18:19] op_sel:[1,0,0]
	v_mov_b32_e32 v33, v49
	global_load_b128 v[46:49], v[24:25], off offset:3120
	s_wait_xcnt 0x0
	v_add_nc_u64_e32 v[24:25], 0x1000, v[24:25]
	v_pk_fma_f32 v[18:19], v[84:85], v[30:31], v[18:19] op_sel_hi:[0,1,1]
	s_delay_alu instid0(VALU_DEP_1) | instskip(SKIP_2) | instid1(VALU_DEP_1)
	v_pk_fma_f32 v[18:19], v[76:77], v[32:33], v[18:19] op_sel_hi:[0,1,1]
	s_wait_loadcnt 0x2
	v_dual_mov_b32 v30, v50 :: v_dual_mov_b32 v33, v50
	v_pk_fma_f32 v[18:19], v[38:39], v[30:31], v[18:19] op_sel_hi:[0,1,1]
	v_mov_b32_e32 v30, v51
	s_delay_alu instid0(VALU_DEP_2) | instskip(SKIP_1) | instid1(VALU_DEP_2)
	v_pk_fma_f32 v[18:19], v[38:39], v[32:33], v[18:19] op_sel:[1,0,0]
	v_mov_b32_e32 v33, v51
	v_pk_fma_f32 v[18:19], v[40:41], v[30:31], v[18:19] op_sel_hi:[0,1,1]
	v_mov_b32_e32 v30, v52
	s_delay_alu instid0(VALU_DEP_2) | instskip(SKIP_1) | instid1(VALU_DEP_2)
	v_pk_fma_f32 v[18:19], v[42:43], v[32:33], v[18:19] op_sel_hi:[0,1,1]
	v_mov_b32_e32 v33, v52
	v_pk_fma_f32 v[18:19], v[30:31], v[62:63], v[18:19] op_sel_hi:[1,0,1]
	v_mov_b32_e32 v30, v53
	s_delay_alu instid0(VALU_DEP_2) | instskip(SKIP_1) | instid1(VALU_DEP_2)
	v_pk_fma_f32 v[18:19], v[62:63], v[32:33], v[18:19] op_sel:[1,0,0]
	v_mov_b32_e32 v33, v53
	v_pk_fma_f32 v[18:19], v[64:65], v[30:31], v[18:19] op_sel_hi:[0,1,1]
	s_wait_loadcnt 0x1
	v_mov_b32_e32 v30, v34
	s_delay_alu instid0(VALU_DEP_2) | instskip(SKIP_1) | instid1(VALU_DEP_2)
	v_pk_fma_f32 v[18:19], v[66:67], v[32:33], v[18:19] op_sel_hi:[0,1,1]
	v_mov_b32_e32 v33, v34
	v_pk_fma_f32 v[18:19], v[58:59], v[30:31], v[18:19] op_sel_hi:[0,1,1]
	v_mov_b32_e32 v30, v35
	s_delay_alu instid0(VALU_DEP_2) | instskip(SKIP_1) | instid1(VALU_DEP_2)
	v_pk_fma_f32 v[18:19], v[58:59], v[32:33], v[18:19] op_sel:[1,0,0]
	v_mov_b32_e32 v33, v35
	v_pk_fma_f32 v[18:19], v[60:61], v[30:31], v[18:19] op_sel_hi:[0,1,1]
	v_mov_b32_e32 v30, v36
	s_delay_alu instid0(VALU_DEP_2) | instskip(SKIP_1) | instid1(VALU_DEP_2)
	v_pk_fma_f32 v[18:19], v[68:69], v[32:33], v[18:19] op_sel_hi:[0,1,1]
	v_mov_b32_e32 v33, v36
	v_pk_fma_f32 v[18:19], v[70:71], v[30:31], v[18:19] op_sel_hi:[0,1,1]
	v_mov_b32_e32 v30, v37
	s_delay_alu instid0(VALU_DEP_2) | instskip(SKIP_1) | instid1(VALU_DEP_2)
	v_pk_fma_f32 v[18:19], v[70:71], v[32:33], v[18:19] op_sel:[1,0,0]
	v_mov_b32_e32 v33, v37
	v_pk_fma_f32 v[18:19], v[72:73], v[30:31], v[18:19] op_sel_hi:[0,1,1]
	v_mov_b32_e32 v30, v43
	s_delay_alu instid0(VALU_DEP_2) | instskip(SKIP_1) | instid1(VALU_DEP_3)
	v_pk_fma_f32 v[20:21], v[86:87], v[32:33], v[18:19] op_sel_hi:[0,1,1]
	v_mov_b32_e32 v33, v43
	v_pk_fma_f32 v[18:19], v[80:81], v[30:31], v[78:79] op_sel_hi:[0,1,1]
	v_mov_b32_e32 v30, v44
	s_delay_alu instid0(VALU_DEP_2) | instskip(SKIP_1) | instid1(VALU_DEP_2)
	v_pk_fma_f32 v[18:19], v[74:75], v[32:33], v[18:19] op_sel_hi:[0,1,1]
	v_mov_b32_e32 v33, v44
	v_pk_fma_f32 v[18:19], v[82:83], v[30:31], v[18:19] op_sel_hi:[0,1,1]
	v_mov_b32_e32 v30, v45
	s_delay_alu instid0(VALU_DEP_2) | instskip(SKIP_1) | instid1(VALU_DEP_2)
	v_pk_fma_f32 v[18:19], v[82:83], v[32:33], v[18:19] op_sel:[1,0,0]
	v_mov_b32_e32 v33, v45
	v_pk_fma_f32 v[18:19], v[84:85], v[30:31], v[18:19] op_sel_hi:[0,1,1]
	v_mov_b32_e32 v30, v54
	s_delay_alu instid0(VALU_DEP_2) | instskip(SKIP_1) | instid1(VALU_DEP_2)
	v_pk_fma_f32 v[18:19], v[76:77], v[32:33], v[18:19] op_sel_hi:[0,1,1]
	v_mov_b32_e32 v33, v54
	v_pk_fma_f32 v[18:19], v[38:39], v[30:31], v[18:19] op_sel_hi:[0,1,1]
	v_mov_b32_e32 v30, v55
	s_delay_alu instid0(VALU_DEP_2) | instskip(SKIP_1) | instid1(VALU_DEP_2)
	v_pk_fma_f32 v[18:19], v[38:39], v[32:33], v[18:19] op_sel:[1,0,0]
	;; [unrolled: 10-line block ×3, first 2 shown]
	v_mov_b32_e32 v33, v57
	v_pk_fma_f32 v[18:19], v[64:65], v[30:31], v[18:19] op_sel_hi:[0,1,1]
	s_delay_alu instid0(VALU_DEP_1) | instskip(SKIP_2) | instid1(VALU_DEP_1)
	v_pk_fma_f32 v[18:19], v[66:67], v[32:33], v[18:19] op_sel_hi:[0,1,1]
	s_wait_loadcnt 0x0
	v_dual_mov_b32 v30, v46 :: v_dual_mov_b32 v33, v46
	v_pk_fma_f32 v[18:19], v[58:59], v[30:31], v[18:19] op_sel_hi:[0,1,1]
	v_mov_b32_e32 v30, v47
	s_delay_alu instid0(VALU_DEP_2) | instskip(SKIP_1) | instid1(VALU_DEP_2)
	v_pk_fma_f32 v[18:19], v[58:59], v[32:33], v[18:19] op_sel:[1,0,0]
	v_mov_b32_e32 v33, v47
	v_pk_fma_f32 v[18:19], v[60:61], v[30:31], v[18:19] op_sel_hi:[0,1,1]
	v_mov_b32_e32 v30, v48
	s_delay_alu instid0(VALU_DEP_2) | instskip(SKIP_1) | instid1(VALU_DEP_2)
	v_pk_fma_f32 v[18:19], v[68:69], v[32:33], v[18:19] op_sel_hi:[0,1,1]
	v_mov_b32_e32 v33, v48
	v_pk_fma_f32 v[18:19], v[70:71], v[30:31], v[18:19] op_sel_hi:[0,1,1]
	v_mov_b32_e32 v30, v49
	s_delay_alu instid0(VALU_DEP_2) | instskip(SKIP_1) | instid1(VALU_DEP_2)
	v_pk_fma_f32 v[18:19], v[70:71], v[32:33], v[18:19] op_sel:[1,0,0]
	v_mov_b32_e32 v33, v49
	v_pk_fma_f32 v[18:19], v[72:73], v[30:31], v[18:19] op_sel_hi:[0,1,1]
	s_delay_alu instid0(VALU_DEP_1)
	v_pk_fma_f32 v[18:19], v[86:87], v[32:33], v[18:19] op_sel_hi:[0,1,1]
	s_and_not1_b32 exec_lo, exec_lo, s10
	s_cbranch_execnz .LBB127_17
; %bb.18:
	s_or_b32 exec_lo, exec_lo, s10
.LBB127_19:
	s_delay_alu instid0(SALU_CYCLE_1)
	s_or_b32 exec_lo, exec_lo, s7
.LBB127_20:
	s_delay_alu instid0(SALU_CYCLE_1)
	s_or_b32 exec_lo, exec_lo, s6
	s_cbranch_execz .LBB127_22
	s_branch .LBB127_33
.LBB127_21:
                                        ; implicit-def: $vgpr15
                                        ; implicit-def: $vgpr17
                                        ; implicit-def: $vgpr21
                                        ; implicit-def: $vgpr19
.LBB127_22:
	v_dual_mov_b32 v15, 0 :: v_dual_mov_b32 v14, 0
	v_dual_mov_b32 v17, 0 :: v_dual_mov_b32 v16, 0
	;; [unrolled: 1-line block ×4, first 2 shown]
	s_and_saveexec_b32 s6, s3
	s_cbranch_execz .LBB127_32
; %bb.23:
	v_dual_mov_b32 v15, v1 :: v_dual_bitop2_b32 v14, 16, v0 bitop3:0x54
	v_sub_nc_u64_e32 v[16:17], s[12:13], v[0:1]
	v_not_b32_e32 v19, v23
	v_not_b32_e32 v18, v22
	s_delay_alu instid0(VALU_DEP_4) | instskip(NEXT) | instid1(VALU_DEP_2)
	v_sub_nc_u64_e64 v[14:15], v[14:15], s[12:13]
	v_add_nc_u64_e32 v[16:17], v[16:17], v[18:19]
	s_delay_alu instid0(VALU_DEP_2) | instskip(NEXT) | instid1(VALU_DEP_1)
	v_add_nc_u64_e32 v[14:15], v[14:15], v[22:23]
	v_max_i64 v[14:15], v[14:15], v[10:11]
	s_delay_alu instid0(VALU_DEP_1) | instskip(NEXT) | instid1(VALU_DEP_1)
	v_add_nc_u64_e32 v[22:23], v[16:17], v[14:15]
	v_dual_mov_b32 v19, 0 :: v_dual_bitop2_b32 v18, 48, v22 bitop3:0x40
	s_delay_alu instid0(VALU_DEP_1) | instskip(SKIP_2) | instid1(VALU_DEP_4)
	v_dual_mov_b32 v20, v19 :: v_dual_mov_b32 v21, v19
	v_dual_mov_b32 v16, v19 :: v_dual_mov_b32 v17, v19
	v_mov_b32_e32 v14, v19
	v_cmp_ne_u64_e32 vcc_lo, 48, v[18:19]
	v_dual_mov_b32 v18, v19 :: v_dual_mov_b32 v15, v19
	s_and_saveexec_b32 s3, vcc_lo
	s_cbranch_execz .LBB127_27
; %bb.24:
	v_dual_lshrrev_b32 v1, 4, v22 :: v_dual_mov_b32 v25, 0
	v_lshl_add_u64 v[26:27], v[8:9], 2, s[8:9]
	v_bfrev_b32_e32 v28, 1
	s_mov_b32 s7, 0
	s_delay_alu instid0(VALU_DEP_3) | instskip(SKIP_2) | instid1(VALU_DEP_3)
	v_dual_mov_b32 v18, v25 :: v_dual_add_nc_u32 v1, 1, v1
	v_dual_mov_b32 v20, v25 :: v_dual_mov_b32 v21, v25
	v_dual_mov_b32 v16, v25 :: v_dual_mov_b32 v17, v25
	v_dual_mov_b32 v19, v25 :: v_dual_bitop2_b32 v24, 3, v1 bitop3:0x40
	v_dual_mov_b32 v14, v25 :: v_dual_mov_b32 v15, v25
	s_delay_alu instid0(VALU_DEP_2)
	v_sub_nc_u64_e32 v[30:31], 0, v[24:25]
.LBB127_25:                             ; =>This Inner Loop Header: Depth=1
	global_load_b32 v1, v[26:27], off
	s_clause 0x1
	global_load_b128 v[32:35], v[12:13], off offset:16
	global_load_b128 v[36:39], v[12:13], off
	v_add_nc_u64_e32 v[30:31], 1, v[30:31]
	v_add_nc_u64_e32 v[8:9], 16, v[8:9]
	s_wait_xcnt 0x2
	v_add_nc_u64_e32 v[26:27], 64, v[26:27]
	s_delay_alu instid0(VALU_DEP_3)
	v_cmp_eq_u64_e32 vcc_lo, 0, v[30:31]
	s_or_b32 s7, vcc_lo, s7
	s_wait_loadcnt 0x2
	v_subrev_nc_u32_e32 v1, s12, v1
	s_wait_loadcnt 0x0
	v_dual_mov_b32 v24, v36 :: v_dual_mov_b32 v29, v36
	s_delay_alu instid0(VALU_DEP_2) | instskip(NEXT) | instid1(VALU_DEP_1)
	v_lshlrev_b32_e32 v40, 2, v1
	v_ashrrev_i32_e32 v41, 31, v40
	s_wait_kmcnt 0x0
	s_delay_alu instid0(VALU_DEP_1)
	v_lshl_add_u64 v[56:57], v[40:41], 3, s[4:5]
	s_clause 0x1
	global_load_b128 v[40:43], v[56:57], off
	global_load_b128 v[44:47], v[56:57], off offset:16
	s_clause 0x1
	global_load_b128 v[48:51], v[12:13], off offset:32
	global_load_b128 v[52:55], v[12:13], off offset:48
	s_wait_xcnt 0x0
	v_add_nc_u64_e32 v[12:13], 0x400, v[12:13]
	s_wait_loadcnt 0x3
	v_pk_fma_f32 v[14:15], v[40:41], v[24:25], v[14:15] op_sel_hi:[0,1,1]
	v_dual_mov_b32 v24, v32 :: v_dual_mov_b32 v36, v43
	s_wait_loadcnt 0x2
	v_mov_b32_e32 v56, v47
	s_delay_alu instid0(VALU_DEP_3) | instskip(SKIP_1) | instid1(VALU_DEP_2)
	v_pk_fma_f32 v[14:15], v[40:41], v[28:29], v[14:15] op_sel:[1,0,0]
	v_mov_b32_e32 v29, v32
	v_pk_fma_f32 v[14:15], v[42:43], v[24:25], v[14:15] op_sel_hi:[0,1,1]
	s_wait_loadcnt 0x1
	v_mov_b32_e32 v24, v48
	s_delay_alu instid0(VALU_DEP_2) | instskip(SKIP_1) | instid1(VALU_DEP_2)
	v_pk_fma_f32 v[14:15], v[36:37], v[28:29], v[14:15] op_sel_hi:[0,1,1]
	v_mov_b32_e32 v29, v48
	v_pk_fma_f32 v[14:15], v[44:45], v[24:25], v[14:15] op_sel_hi:[0,1,1]
	s_wait_loadcnt 0x0
	v_mov_b32_e32 v24, v52
	s_delay_alu instid0(VALU_DEP_2) | instskip(SKIP_1) | instid1(VALU_DEP_2)
	v_pk_fma_f32 v[14:15], v[44:45], v[28:29], v[14:15] op_sel:[1,0,0]
	v_mov_b32_e32 v29, v52
	v_pk_fma_f32 v[14:15], v[46:47], v[24:25], v[14:15] op_sel_hi:[0,1,1]
	v_mov_b32_e32 v24, v37
	s_delay_alu instid0(VALU_DEP_2) | instskip(SKIP_1) | instid1(VALU_DEP_3)
	v_pk_fma_f32 v[14:15], v[56:57], v[28:29], v[14:15] op_sel_hi:[0,1,1]
	v_mov_b32_e32 v29, v37
	v_pk_fma_f32 v[16:17], v[40:41], v[24:25], v[16:17] op_sel_hi:[0,1,1]
	v_mov_b32_e32 v24, v33
	s_delay_alu instid0(VALU_DEP_2) | instskip(SKIP_1) | instid1(VALU_DEP_2)
	v_pk_fma_f32 v[16:17], v[40:41], v[28:29], v[16:17] op_sel:[1,0,0]
	v_mov_b32_e32 v29, v33
	v_pk_fma_f32 v[16:17], v[42:43], v[24:25], v[16:17] op_sel_hi:[0,1,1]
	v_mov_b32_e32 v24, v49
	s_delay_alu instid0(VALU_DEP_2) | instskip(SKIP_1) | instid1(VALU_DEP_2)
	v_pk_fma_f32 v[16:17], v[36:37], v[28:29], v[16:17] op_sel_hi:[0,1,1]
	v_mov_b32_e32 v29, v49
	v_pk_fma_f32 v[16:17], v[44:45], v[24:25], v[16:17] op_sel_hi:[0,1,1]
	v_mov_b32_e32 v24, v53
	s_delay_alu instid0(VALU_DEP_2) | instskip(SKIP_1) | instid1(VALU_DEP_2)
	v_pk_fma_f32 v[16:17], v[44:45], v[28:29], v[16:17] op_sel:[1,0,0]
	v_mov_b32_e32 v29, v53
	v_pk_fma_f32 v[16:17], v[46:47], v[24:25], v[16:17] op_sel_hi:[0,1,1]
	v_mov_b32_e32 v24, v38
	s_delay_alu instid0(VALU_DEP_2) | instskip(SKIP_1) | instid1(VALU_DEP_3)
	v_pk_fma_f32 v[16:17], v[56:57], v[28:29], v[16:17] op_sel_hi:[0,1,1]
	v_mov_b32_e32 v29, v38
	v_pk_fma_f32 v[20:21], v[40:41], v[24:25], v[20:21] op_sel_hi:[0,1,1]
	v_mov_b32_e32 v24, v34
	s_delay_alu instid0(VALU_DEP_2) | instskip(SKIP_1) | instid1(VALU_DEP_2)
	v_pk_fma_f32 v[20:21], v[40:41], v[28:29], v[20:21] op_sel:[1,0,0]
	v_mov_b32_e32 v29, v34
	v_pk_fma_f32 v[20:21], v[42:43], v[24:25], v[20:21] op_sel_hi:[0,1,1]
	v_mov_b32_e32 v24, v50
	s_delay_alu instid0(VALU_DEP_2) | instskip(SKIP_1) | instid1(VALU_DEP_2)
	v_pk_fma_f32 v[20:21], v[36:37], v[28:29], v[20:21] op_sel_hi:[0,1,1]
	v_mov_b32_e32 v29, v50
	v_pk_fma_f32 v[20:21], v[44:45], v[24:25], v[20:21] op_sel_hi:[0,1,1]
	;; [unrolled: 20-line block ×3, first 2 shown]
	v_mov_b32_e32 v24, v55
	s_delay_alu instid0(VALU_DEP_2) | instskip(SKIP_1) | instid1(VALU_DEP_2)
	v_pk_fma_f32 v[18:19], v[44:45], v[28:29], v[18:19] op_sel:[1,0,0]
	v_mov_b32_e32 v29, v55
	v_pk_fma_f32 v[18:19], v[46:47], v[24:25], v[18:19] op_sel_hi:[0,1,1]
	s_delay_alu instid0(VALU_DEP_1)
	v_pk_fma_f32 v[18:19], v[56:57], v[28:29], v[18:19] op_sel_hi:[0,1,1]
	s_and_not1_b32 exec_lo, exec_lo, s7
	s_cbranch_execnz .LBB127_25
; %bb.26:
	s_or_b32 exec_lo, exec_lo, s7
.LBB127_27:
	s_delay_alu instid0(SALU_CYCLE_1) | instskip(NEXT) | instid1(SALU_CYCLE_1)
	s_or_b32 exec_lo, exec_lo, s3
	s_mov_b32 s3, exec_lo
	v_cmpx_lt_u64_e32 47, v[22:23]
	s_cbranch_execz .LBB127_31
; %bb.28:
	v_lshl_add_u64 v[22:23], v[8:9], 2, s[8:9]
	v_mov_b32_e32 v25, 0
	v_bfrev_b32_e32 v26, 1
	s_mov_b32 s7, 0
	s_delay_alu instid0(VALU_DEP_3)
	v_add_nc_u64_e32 v[22:23], 0x80, v[22:23]
.LBB127_29:                             ; =>This Inner Loop Header: Depth=1
	s_clause 0x1
	global_load_b32 v1, v[22:23], off offset:-128
	global_load_b32 v7, v[22:23], off offset:-64
	s_clause 0x3
	global_load_b128 v[28:31], v[12:13], off
	global_load_b128 v[32:35], v[12:13], off offset:16
	global_load_b128 v[36:39], v[12:13], off offset:48
	global_load_b128 v[40:43], v[12:13], off offset:32
	s_clause 0x1
	global_load_b32 v84, v[22:23], off
	global_load_b32 v85, v[22:23], off offset:64
	s_clause 0x3
	global_load_b128 v[44:47], v[12:13], off offset:1024
	global_load_b128 v[48:51], v[12:13], off offset:1040
	;; [unrolled: 1-line block ×4, first 2 shown]
	v_add_nc_u64_e32 v[8:9], 64, v[8:9]
	s_wait_xcnt 0x4
	v_add_nc_u64_e32 v[22:23], 0x100, v[22:23]
	s_delay_alu instid0(VALU_DEP_2)
	v_cmp_ge_i64_e32 vcc_lo, v[8:9], v[10:11]
	s_or_b32 s7, vcc_lo, s7
	s_wait_loadcnt 0xb
	v_subrev_nc_u32_e32 v1, s12, v1
	s_wait_loadcnt 0xa
	v_subrev_nc_u32_e32 v7, s12, v7
	s_wait_loadcnt 0x9
	v_dual_mov_b32 v24, v28 :: v_dual_mov_b32 v27, v28
	s_delay_alu instid0(VALU_DEP_2) | instskip(SKIP_2) | instid1(VALU_DEP_2)
	v_dual_lshlrev_b32 v60, 2, v1 :: v_dual_lshlrev_b32 v62, 2, v7
	s_wait_loadcnt 0x5
	v_subrev_nc_u32_e32 v1, s12, v84
	v_dual_ashrrev_i32 v61, 31, v60 :: v_dual_ashrrev_i32 v63, 31, v62
	s_wait_kmcnt 0x0
	s_delay_alu instid0(VALU_DEP_1) | instskip(NEXT) | instid1(VALU_DEP_2)
	v_lshl_add_u64 v[76:77], v[60:61], 3, s[4:5]
	v_lshl_add_u64 v[78:79], v[62:63], 3, s[4:5]
	s_clause 0x3
	global_load_b128 v[60:63], v[76:77], off
	global_load_b128 v[64:67], v[76:77], off offset:16
	global_load_b128 v[68:71], v[78:79], off
	global_load_b128 v[72:75], v[78:79], off offset:16
	s_wait_loadcnt 0x3
	v_pk_fma_f32 v[14:15], v[60:61], v[24:25], v[14:15] op_sel_hi:[0,1,1]
	s_wait_xcnt 0x2
	v_dual_mov_b32 v24, v32 :: v_dual_mov_b32 v76, v63
	s_wait_loadcnt 0x2
	s_wait_xcnt 0x0
	v_mov_b32_e32 v78, v67
	v_pk_fma_f32 v[14:15], v[60:61], v[26:27], v[14:15] op_sel:[1,0,0]
	v_mov_b32_e32 v27, v32
	s_delay_alu instid0(VALU_DEP_2) | instskip(SKIP_1) | instid1(VALU_DEP_2)
	v_pk_fma_f32 v[14:15], v[62:63], v[24:25], v[14:15] op_sel_hi:[0,1,1]
	v_mov_b32_e32 v24, v40
	v_pk_fma_f32 v[14:15], v[76:77], v[26:27], v[14:15] op_sel_hi:[0,1,1]
	v_mov_b32_e32 v27, v40
	s_delay_alu instid0(VALU_DEP_2) | instskip(SKIP_1) | instid1(VALU_DEP_2)
	v_pk_fma_f32 v[14:15], v[64:65], v[24:25], v[14:15] op_sel_hi:[0,1,1]
	v_mov_b32_e32 v24, v36
	v_pk_fma_f32 v[14:15], v[64:65], v[26:27], v[14:15] op_sel:[1,0,0]
	v_mov_b32_e32 v27, v36
	s_delay_alu instid0(VALU_DEP_2) | instskip(SKIP_1) | instid1(VALU_DEP_2)
	v_pk_fma_f32 v[14:15], v[66:67], v[24:25], v[14:15] op_sel_hi:[0,1,1]
	v_mov_b32_e32 v24, v44
	v_pk_fma_f32 v[14:15], v[78:79], v[26:27], v[14:15] op_sel_hi:[0,1,1]
	v_mov_b32_e32 v27, v44
	s_wait_loadcnt 0x1
	s_delay_alu instid0(VALU_DEP_2) | instskip(SKIP_1) | instid1(VALU_DEP_2)
	v_pk_fma_f32 v[14:15], v[68:69], v[24:25], v[14:15] op_sel_hi:[0,1,1]
	v_mov_b32_e32 v24, v29
	v_pk_fma_f32 v[80:81], v[68:69], v[26:27], v[14:15] op_sel:[1,0,0]
	v_mov_b32_e32 v27, v29
	s_delay_alu instid0(VALU_DEP_3) | instskip(SKIP_1) | instid1(VALU_DEP_2)
	v_pk_fma_f32 v[14:15], v[60:61], v[24:25], v[16:17] op_sel_hi:[0,1,1]
	v_mov_b32_e32 v24, v33
	v_pk_fma_f32 v[14:15], v[60:61], v[26:27], v[14:15] op_sel:[1,0,0]
	v_mov_b32_e32 v27, v33
	s_delay_alu instid0(VALU_DEP_2) | instskip(SKIP_1) | instid1(VALU_DEP_2)
	v_pk_fma_f32 v[14:15], v[62:63], v[24:25], v[14:15] op_sel_hi:[0,1,1]
	v_mov_b32_e32 v24, v41
	v_pk_fma_f32 v[14:15], v[76:77], v[26:27], v[14:15] op_sel_hi:[0,1,1]
	v_mov_b32_e32 v27, v41
	s_delay_alu instid0(VALU_DEP_2) | instskip(SKIP_1) | instid1(VALU_DEP_2)
	v_pk_fma_f32 v[14:15], v[64:65], v[24:25], v[14:15] op_sel_hi:[0,1,1]
	v_mov_b32_e32 v24, v37
	v_pk_fma_f32 v[14:15], v[64:65], v[26:27], v[14:15] op_sel:[1,0,0]
	v_mov_b32_e32 v27, v37
	s_delay_alu instid0(VALU_DEP_2) | instskip(SKIP_1) | instid1(VALU_DEP_2)
	v_pk_fma_f32 v[14:15], v[66:67], v[24:25], v[14:15] op_sel_hi:[0,1,1]
	v_mov_b32_e32 v24, v45
	v_pk_fma_f32 v[14:15], v[78:79], v[26:27], v[14:15] op_sel_hi:[0,1,1]
	v_mov_b32_e32 v27, v45
	s_delay_alu instid0(VALU_DEP_2) | instskip(SKIP_1) | instid1(VALU_DEP_2)
	v_pk_fma_f32 v[14:15], v[68:69], v[24:25], v[14:15] op_sel_hi:[0,1,1]
	v_mov_b32_e32 v24, v30
	v_pk_fma_f32 v[44:45], v[68:69], v[26:27], v[14:15] op_sel:[1,0,0]
	v_mov_b32_e32 v27, v30
	s_delay_alu instid0(VALU_DEP_3) | instskip(SKIP_1) | instid1(VALU_DEP_2)
	v_pk_fma_f32 v[14:15], v[60:61], v[24:25], v[20:21] op_sel_hi:[0,1,1]
	v_mov_b32_e32 v24, v34
	v_pk_fma_f32 v[14:15], v[60:61], v[26:27], v[14:15] op_sel:[1,0,0]
	v_mov_b32_e32 v27, v34
	s_delay_alu instid0(VALU_DEP_2) | instskip(SKIP_1) | instid1(VALU_DEP_2)
	v_pk_fma_f32 v[14:15], v[62:63], v[24:25], v[14:15] op_sel_hi:[0,1,1]
	v_mov_b32_e32 v24, v42
	v_pk_fma_f32 v[14:15], v[76:77], v[26:27], v[14:15] op_sel_hi:[0,1,1]
	v_mov_b32_e32 v27, v42
	s_delay_alu instid0(VALU_DEP_2) | instskip(SKIP_1) | instid1(VALU_DEP_2)
	v_pk_fma_f32 v[14:15], v[64:65], v[24:25], v[14:15] op_sel_hi:[0,1,1]
	v_mov_b32_e32 v24, v38
	v_pk_fma_f32 v[14:15], v[64:65], v[26:27], v[14:15] op_sel:[1,0,0]
	v_dual_mov_b32 v27, v38 :: v_dual_lshlrev_b32 v38, 2, v1
	v_subrev_nc_u32_e32 v1, s12, v85
	s_delay_alu instid0(VALU_DEP_3) | instskip(SKIP_1) | instid1(VALU_DEP_2)
	v_pk_fma_f32 v[14:15], v[66:67], v[24:25], v[14:15] op_sel_hi:[0,1,1]
	v_mov_b32_e32 v24, v46
	v_pk_fma_f32 v[14:15], v[78:79], v[26:27], v[14:15] op_sel_hi:[0,1,1]
	v_mov_b32_e32 v27, v46
	s_delay_alu instid0(VALU_DEP_2) | instskip(SKIP_1) | instid1(VALU_DEP_2)
	v_pk_fma_f32 v[14:15], v[68:69], v[24:25], v[14:15] op_sel_hi:[0,1,1]
	v_mov_b32_e32 v24, v31
	v_pk_fma_f32 v[82:83], v[68:69], v[26:27], v[14:15] op_sel:[1,0,0]
	v_mov_b32_e32 v27, v31
	s_delay_alu instid0(VALU_DEP_3)
	v_pk_fma_f32 v[18:19], v[60:61], v[24:25], v[18:19] op_sel_hi:[0,1,1]
	v_mov_b32_e32 v24, v35
	global_load_b128 v[14:17], v[12:13], off offset:2064
	v_pk_fma_f32 v[28:29], v[60:61], v[26:27], v[18:19] op_sel:[1,0,0]
	v_mov_b32_e32 v27, v35
	global_load_b128 v[18:21], v[12:13], off offset:2048
	v_pk_fma_f32 v[32:33], v[62:63], v[24:25], v[28:29] op_sel_hi:[0,1,1]
	v_mov_b32_e32 v24, v43
	global_load_b128 v[28:31], v[12:13], off offset:2080
	v_pk_fma_f32 v[36:37], v[76:77], v[26:27], v[32:33] op_sel_hi:[0,1,1]
	v_mov_b32_e32 v27, v43
	s_clause 0x1
	global_load_b128 v[32:35], v[12:13], off offset:2096
	global_load_b128 v[40:43], v[12:13], off offset:3088
	s_wait_loadcnt 0x5
	v_mov_b32_e32 v76, v75
	v_pk_fma_f32 v[36:37], v[64:65], v[24:25], v[36:37] op_sel_hi:[0,1,1]
	v_mov_b32_e32 v24, v39
	s_delay_alu instid0(VALU_DEP_2) | instskip(SKIP_1) | instid1(VALU_DEP_2)
	v_pk_fma_f32 v[36:37], v[64:65], v[26:27], v[36:37] op_sel:[1,0,0]
	v_dual_mov_b32 v27, v39 :: v_dual_ashrrev_i32 v39, 31, v38
	v_pk_fma_f32 v[66:67], v[66:67], v[24:25], v[36:37] op_sel_hi:[0,1,1]
	v_mov_b32_e32 v24, v47
	s_delay_alu instid0(VALU_DEP_3)
	v_lshl_add_u64 v[64:65], v[38:39], 3, s[4:5]
	s_clause 0x1
	global_load_b128 v[36:39], v[64:65], off
	global_load_b128 v[60:63], v[64:65], off offset:16
	s_wait_xcnt 0x0
	v_pk_fma_f32 v[64:65], v[78:79], v[26:27], v[66:67] op_sel_hi:[0,1,1]
	v_dual_mov_b32 v27, v47 :: v_dual_mov_b32 v66, v71
	s_delay_alu instid0(VALU_DEP_2) | instskip(SKIP_1) | instid1(VALU_DEP_2)
	v_pk_fma_f32 v[46:47], v[68:69], v[24:25], v[64:65] op_sel_hi:[0,1,1]
	v_mov_b32_e32 v24, v48
	v_pk_fma_f32 v[64:65], v[68:69], v[26:27], v[46:47] op_sel:[1,0,0]
	v_mov_b32_e32 v27, v48
	s_delay_alu instid0(VALU_DEP_3) | instskip(SKIP_1) | instid1(VALU_DEP_2)
	v_pk_fma_f32 v[46:47], v[70:71], v[24:25], v[80:81] op_sel_hi:[0,1,1]
	v_mov_b32_e32 v24, v56
	v_pk_fma_f32 v[46:47], v[66:67], v[26:27], v[46:47] op_sel_hi:[0,1,1]
	v_mov_b32_e32 v27, v56
	s_delay_alu instid0(VALU_DEP_2) | instskip(SKIP_1) | instid1(VALU_DEP_2)
	v_pk_fma_f32 v[46:47], v[72:73], v[24:25], v[46:47] op_sel_hi:[0,1,1]
	v_mov_b32_e32 v24, v52
	v_pk_fma_f32 v[46:47], v[72:73], v[26:27], v[46:47] op_sel:[1,0,0]
	v_dual_mov_b32 v27, v52 :: v_dual_lshlrev_b32 v52, 2, v1
	s_delay_alu instid0(VALU_DEP_2) | instskip(SKIP_2) | instid1(VALU_DEP_2)
	v_pk_fma_f32 v[46:47], v[74:75], v[24:25], v[46:47] op_sel_hi:[0,1,1]
	s_wait_loadcnt 0x5
	v_mov_b32_e32 v24, v18
	v_pk_fma_f32 v[46:47], v[76:77], v[26:27], v[46:47] op_sel_hi:[0,1,1]
	s_wait_loadcnt 0x1
	v_dual_mov_b32 v27, v18 :: v_dual_mov_b32 v78, v39
	s_delay_alu instid0(VALU_DEP_2) | instskip(SKIP_1) | instid1(VALU_DEP_2)
	v_pk_fma_f32 v[46:47], v[36:37], v[24:25], v[46:47] op_sel_hi:[0,1,1]
	v_mov_b32_e32 v24, v14
	v_pk_fma_f32 v[46:47], v[36:37], v[26:27], v[46:47] op_sel:[1,0,0]
	v_mov_b32_e32 v27, v14
	s_delay_alu instid0(VALU_DEP_2) | instskip(SKIP_1) | instid1(VALU_DEP_2)
	v_pk_fma_f32 v[46:47], v[38:39], v[24:25], v[46:47] op_sel_hi:[0,1,1]
	v_mov_b32_e32 v24, v28
	v_pk_fma_f32 v[46:47], v[78:79], v[26:27], v[46:47] op_sel_hi:[0,1,1]
	v_mov_b32_e32 v27, v49
	s_wait_loadcnt 0x0
	s_delay_alu instid0(VALU_DEP_2) | instskip(SKIP_1) | instid1(VALU_DEP_1)
	v_pk_fma_f32 v[68:69], v[60:61], v[24:25], v[46:47] op_sel_hi:[0,1,1]
	v_mov_b32_e32 v24, v49
	v_pk_fma_f32 v[44:45], v[70:71], v[24:25], v[44:45] op_sel_hi:[0,1,1]
	v_mov_b32_e32 v24, v57
	s_delay_alu instid0(VALU_DEP_2) | instskip(SKIP_1) | instid1(VALU_DEP_2)
	v_pk_fma_f32 v[44:45], v[66:67], v[26:27], v[44:45] op_sel_hi:[0,1,1]
	v_mov_b32_e32 v27, v57
	v_pk_fma_f32 v[44:45], v[72:73], v[24:25], v[44:45] op_sel_hi:[0,1,1]
	v_mov_b32_e32 v24, v53
	s_delay_alu instid0(VALU_DEP_2) | instskip(SKIP_1) | instid1(VALU_DEP_2)
	v_pk_fma_f32 v[44:45], v[72:73], v[26:27], v[44:45] op_sel:[1,0,0]
	v_dual_mov_b32 v27, v53 :: v_dual_ashrrev_i32 v53, 31, v52
	v_pk_fma_f32 v[44:45], v[74:75], v[24:25], v[44:45] op_sel_hi:[0,1,1]
	v_mov_b32_e32 v24, v19
	s_delay_alu instid0(VALU_DEP_3) | instskip(NEXT) | instid1(VALU_DEP_3)
	v_lshl_add_u64 v[52:53], v[52:53], 3, s[4:5]
	v_pk_fma_f32 v[44:45], v[76:77], v[26:27], v[44:45] op_sel_hi:[0,1,1]
	v_mov_b32_e32 v27, v19
	s_delay_alu instid0(VALU_DEP_2) | instskip(SKIP_4) | instid1(VALU_DEP_2)
	v_pk_fma_f32 v[18:19], v[36:37], v[24:25], v[44:45] op_sel_hi:[0,1,1]
	v_mov_b32_e32 v24, v15
	global_load_b128 v[44:47], v[12:13], off offset:3072
	v_pk_fma_f32 v[18:19], v[36:37], v[26:27], v[18:19] op_sel:[1,0,0]
	v_mov_b32_e32 v27, v15
	v_pk_fma_f32 v[14:15], v[38:39], v[24:25], v[18:19] op_sel_hi:[0,1,1]
	v_mov_b32_e32 v24, v29
	s_delay_alu instid0(VALU_DEP_2) | instskip(SKIP_1) | instid1(VALU_DEP_2)
	v_pk_fma_f32 v[14:15], v[78:79], v[26:27], v[14:15] op_sel_hi:[0,1,1]
	v_mov_b32_e32 v27, v50
	v_pk_fma_f32 v[18:19], v[60:61], v[24:25], v[14:15] op_sel_hi:[0,1,1]
	v_mov_b32_e32 v24, v50
	s_delay_alu instid0(VALU_DEP_1) | instskip(SKIP_1) | instid1(VALU_DEP_2)
	v_pk_fma_f32 v[14:15], v[70:71], v[24:25], v[82:83] op_sel_hi:[0,1,1]
	v_mov_b32_e32 v24, v58
	v_pk_fma_f32 v[14:15], v[66:67], v[26:27], v[14:15] op_sel_hi:[0,1,1]
	v_mov_b32_e32 v27, v58
	s_delay_alu instid0(VALU_DEP_2) | instskip(SKIP_1) | instid1(VALU_DEP_2)
	v_pk_fma_f32 v[14:15], v[72:73], v[24:25], v[14:15] op_sel_hi:[0,1,1]
	v_mov_b32_e32 v24, v54
	v_pk_fma_f32 v[14:15], v[72:73], v[26:27], v[14:15] op_sel:[1,0,0]
	v_mov_b32_e32 v27, v54
	s_delay_alu instid0(VALU_DEP_2) | instskip(SKIP_1) | instid1(VALU_DEP_2)
	v_pk_fma_f32 v[14:15], v[74:75], v[24:25], v[14:15] op_sel_hi:[0,1,1]
	v_mov_b32_e32 v24, v20
	v_pk_fma_f32 v[14:15], v[76:77], v[26:27], v[14:15] op_sel_hi:[0,1,1]
	v_mov_b32_e32 v27, v20
	s_delay_alu instid0(VALU_DEP_2) | instskip(SKIP_1) | instid1(VALU_DEP_2)
	v_pk_fma_f32 v[14:15], v[36:37], v[24:25], v[14:15] op_sel_hi:[0,1,1]
	v_mov_b32_e32 v24, v16
	v_pk_fma_f32 v[14:15], v[36:37], v[26:27], v[14:15] op_sel:[1,0,0]
	v_mov_b32_e32 v27, v16
	s_delay_alu instid0(VALU_DEP_2) | instskip(SKIP_1) | instid1(VALU_DEP_2)
	v_pk_fma_f32 v[14:15], v[38:39], v[24:25], v[14:15] op_sel_hi:[0,1,1]
	v_mov_b32_e32 v24, v30
	v_pk_fma_f32 v[14:15], v[78:79], v[26:27], v[14:15] op_sel_hi:[0,1,1]
	v_mov_b32_e32 v27, v51
	s_delay_alu instid0(VALU_DEP_2) | instskip(SKIP_4) | instid1(VALU_DEP_2)
	v_pk_fma_f32 v[80:81], v[60:61], v[24:25], v[14:15] op_sel_hi:[0,1,1]
	v_mov_b32_e32 v24, v51
	global_load_b128 v[48:51], v[12:13], off offset:3104
	v_pk_fma_f32 v[14:15], v[70:71], v[24:25], v[64:65] op_sel_hi:[0,1,1]
	v_mov_b32_e32 v24, v59
	v_pk_fma_f32 v[14:15], v[66:67], v[26:27], v[14:15] op_sel_hi:[0,1,1]
	v_mov_b32_e32 v27, v59
	s_clause 0x1
	global_load_b128 v[56:59], v[52:53], off
	global_load_b128 v[64:67], v[52:53], off offset:16
	v_mov_b32_e32 v70, v63
	v_pk_fma_f32 v[14:15], v[72:73], v[24:25], v[14:15] op_sel_hi:[0,1,1]
	v_mov_b32_e32 v24, v55
	s_delay_alu instid0(VALU_DEP_2)
	v_pk_fma_f32 v[14:15], v[72:73], v[26:27], v[14:15] op_sel:[1,0,0]
	v_mov_b32_e32 v27, v55
	global_load_b128 v[52:55], v[12:13], off offset:3120
	s_wait_xcnt 0x0
	v_add_nc_u64_e32 v[12:13], 0x1000, v[12:13]
	v_pk_fma_f32 v[14:15], v[74:75], v[24:25], v[14:15] op_sel_hi:[0,1,1]
	v_mov_b32_e32 v24, v21
	s_delay_alu instid0(VALU_DEP_2) | instskip(SKIP_1) | instid1(VALU_DEP_2)
	v_pk_fma_f32 v[14:15], v[76:77], v[26:27], v[14:15] op_sel_hi:[0,1,1]
	v_mov_b32_e32 v27, v21
	v_pk_fma_f32 v[14:15], v[36:37], v[24:25], v[14:15] op_sel_hi:[0,1,1]
	v_mov_b32_e32 v24, v17
	s_delay_alu instid0(VALU_DEP_2) | instskip(SKIP_1) | instid1(VALU_DEP_2)
	v_pk_fma_f32 v[14:15], v[36:37], v[26:27], v[14:15] op_sel:[1,0,0]
	v_mov_b32_e32 v27, v17
	v_pk_fma_f32 v[14:15], v[38:39], v[24:25], v[14:15] op_sel_hi:[0,1,1]
	v_mov_b32_e32 v24, v31
	s_delay_alu instid0(VALU_DEP_2) | instskip(SKIP_1) | instid1(VALU_DEP_2)
	v_pk_fma_f32 v[14:15], v[78:79], v[26:27], v[14:15] op_sel_hi:[0,1,1]
	v_mov_b32_e32 v27, v28
	v_pk_fma_f32 v[36:37], v[60:61], v[24:25], v[14:15] op_sel_hi:[0,1,1]
	v_mov_b32_e32 v24, v32
	s_delay_alu instid0(VALU_DEP_3) | instskip(SKIP_1) | instid1(VALU_DEP_2)
	v_pk_fma_f32 v[14:15], v[60:61], v[26:27], v[68:69] op_sel:[1,0,0]
	v_mov_b32_e32 v27, v32
	v_pk_fma_f32 v[14:15], v[62:63], v[24:25], v[14:15] op_sel_hi:[0,1,1]
	s_wait_loadcnt 0x2
	v_dual_mov_b32 v24, v44 :: v_dual_mov_b32 v72, v59
	s_wait_loadcnt 0x1
	v_mov_b32_e32 v74, v67
	v_pk_fma_f32 v[14:15], v[70:71], v[26:27], v[14:15] op_sel_hi:[0,1,1]
	v_mov_b32_e32 v27, v44
	s_delay_alu instid0(VALU_DEP_2) | instskip(SKIP_1) | instid1(VALU_DEP_2)
	v_pk_fma_f32 v[14:15], v[56:57], v[24:25], v[14:15] op_sel_hi:[0,1,1]
	v_mov_b32_e32 v24, v40
	v_pk_fma_f32 v[14:15], v[56:57], v[26:27], v[14:15] op_sel:[1,0,0]
	v_mov_b32_e32 v27, v40
	s_delay_alu instid0(VALU_DEP_2) | instskip(SKIP_1) | instid1(VALU_DEP_2)
	v_pk_fma_f32 v[14:15], v[58:59], v[24:25], v[14:15] op_sel_hi:[0,1,1]
	v_mov_b32_e32 v24, v48
	v_pk_fma_f32 v[14:15], v[72:73], v[26:27], v[14:15] op_sel_hi:[0,1,1]
	v_mov_b32_e32 v27, v48
	s_delay_alu instid0(VALU_DEP_2) | instskip(SKIP_2) | instid1(VALU_DEP_2)
	v_pk_fma_f32 v[14:15], v[64:65], v[24:25], v[14:15] op_sel_hi:[0,1,1]
	s_wait_loadcnt 0x0
	v_mov_b32_e32 v24, v52
	v_pk_fma_f32 v[14:15], v[64:65], v[26:27], v[14:15] op_sel:[1,0,0]
	v_mov_b32_e32 v27, v52
	s_delay_alu instid0(VALU_DEP_2) | instskip(SKIP_1) | instid1(VALU_DEP_2)
	v_pk_fma_f32 v[14:15], v[66:67], v[24:25], v[14:15] op_sel_hi:[0,1,1]
	v_mov_b32_e32 v24, v33
	v_pk_fma_f32 v[14:15], v[74:75], v[26:27], v[14:15] op_sel_hi:[0,1,1]
	v_mov_b32_e32 v27, v29
	s_delay_alu instid0(VALU_DEP_1) | instskip(SKIP_1) | instid1(VALU_DEP_2)
	v_pk_fma_f32 v[16:17], v[60:61], v[26:27], v[18:19] op_sel:[1,0,0]
	v_mov_b32_e32 v27, v33
	v_pk_fma_f32 v[16:17], v[62:63], v[24:25], v[16:17] op_sel_hi:[0,1,1]
	v_mov_b32_e32 v24, v45
	s_delay_alu instid0(VALU_DEP_2) | instskip(SKIP_1) | instid1(VALU_DEP_2)
	v_pk_fma_f32 v[16:17], v[70:71], v[26:27], v[16:17] op_sel_hi:[0,1,1]
	v_mov_b32_e32 v27, v45
	v_pk_fma_f32 v[16:17], v[56:57], v[24:25], v[16:17] op_sel_hi:[0,1,1]
	v_mov_b32_e32 v24, v41
	s_delay_alu instid0(VALU_DEP_2) | instskip(SKIP_1) | instid1(VALU_DEP_2)
	v_pk_fma_f32 v[16:17], v[56:57], v[26:27], v[16:17] op_sel:[1,0,0]
	v_mov_b32_e32 v27, v41
	v_pk_fma_f32 v[16:17], v[58:59], v[24:25], v[16:17] op_sel_hi:[0,1,1]
	v_mov_b32_e32 v24, v49
	s_delay_alu instid0(VALU_DEP_2) | instskip(SKIP_1) | instid1(VALU_DEP_2)
	v_pk_fma_f32 v[16:17], v[72:73], v[26:27], v[16:17] op_sel_hi:[0,1,1]
	v_mov_b32_e32 v27, v49
	v_pk_fma_f32 v[16:17], v[64:65], v[24:25], v[16:17] op_sel_hi:[0,1,1]
	v_mov_b32_e32 v24, v53
	s_delay_alu instid0(VALU_DEP_2) | instskip(SKIP_1) | instid1(VALU_DEP_2)
	v_pk_fma_f32 v[16:17], v[64:65], v[26:27], v[16:17] op_sel:[1,0,0]
	v_mov_b32_e32 v27, v53
	v_pk_fma_f32 v[16:17], v[66:67], v[24:25], v[16:17] op_sel_hi:[0,1,1]
	v_mov_b32_e32 v24, v34
	s_delay_alu instid0(VALU_DEP_2) | instskip(SKIP_1) | instid1(VALU_DEP_1)
	v_pk_fma_f32 v[16:17], v[74:75], v[26:27], v[16:17] op_sel_hi:[0,1,1]
	v_mov_b32_e32 v27, v30
	v_pk_fma_f32 v[18:19], v[60:61], v[26:27], v[80:81] op_sel:[1,0,0]
	v_mov_b32_e32 v27, v34
	s_delay_alu instid0(VALU_DEP_2) | instskip(SKIP_1) | instid1(VALU_DEP_2)
	v_pk_fma_f32 v[18:19], v[62:63], v[24:25], v[18:19] op_sel_hi:[0,1,1]
	v_mov_b32_e32 v24, v46
	v_pk_fma_f32 v[18:19], v[70:71], v[26:27], v[18:19] op_sel_hi:[0,1,1]
	v_mov_b32_e32 v27, v46
	s_delay_alu instid0(VALU_DEP_2) | instskip(SKIP_1) | instid1(VALU_DEP_2)
	v_pk_fma_f32 v[18:19], v[56:57], v[24:25], v[18:19] op_sel_hi:[0,1,1]
	v_mov_b32_e32 v24, v42
	v_pk_fma_f32 v[18:19], v[56:57], v[26:27], v[18:19] op_sel:[1,0,0]
	v_mov_b32_e32 v27, v42
	s_delay_alu instid0(VALU_DEP_2) | instskip(SKIP_1) | instid1(VALU_DEP_2)
	v_pk_fma_f32 v[18:19], v[58:59], v[24:25], v[18:19] op_sel_hi:[0,1,1]
	v_mov_b32_e32 v24, v50
	v_pk_fma_f32 v[18:19], v[72:73], v[26:27], v[18:19] op_sel_hi:[0,1,1]
	v_mov_b32_e32 v27, v50
	s_delay_alu instid0(VALU_DEP_2) | instskip(SKIP_1) | instid1(VALU_DEP_2)
	v_pk_fma_f32 v[18:19], v[64:65], v[24:25], v[18:19] op_sel_hi:[0,1,1]
	v_mov_b32_e32 v24, v54
	v_pk_fma_f32 v[18:19], v[64:65], v[26:27], v[18:19] op_sel:[1,0,0]
	v_mov_b32_e32 v27, v54
	s_delay_alu instid0(VALU_DEP_2) | instskip(SKIP_1) | instid1(VALU_DEP_2)
	v_pk_fma_f32 v[18:19], v[66:67], v[24:25], v[18:19] op_sel_hi:[0,1,1]
	v_mov_b32_e32 v24, v35
	v_pk_fma_f32 v[20:21], v[74:75], v[26:27], v[18:19] op_sel_hi:[0,1,1]
	v_mov_b32_e32 v27, v31
	s_delay_alu instid0(VALU_DEP_1) | instskip(SKIP_1) | instid1(VALU_DEP_2)
	v_pk_fma_f32 v[18:19], v[60:61], v[26:27], v[36:37] op_sel:[1,0,0]
	v_mov_b32_e32 v27, v35
	v_pk_fma_f32 v[18:19], v[62:63], v[24:25], v[18:19] op_sel_hi:[0,1,1]
	v_mov_b32_e32 v24, v47
	s_delay_alu instid0(VALU_DEP_2) | instskip(SKIP_1) | instid1(VALU_DEP_2)
	v_pk_fma_f32 v[18:19], v[70:71], v[26:27], v[18:19] op_sel_hi:[0,1,1]
	v_mov_b32_e32 v27, v47
	v_pk_fma_f32 v[18:19], v[56:57], v[24:25], v[18:19] op_sel_hi:[0,1,1]
	v_mov_b32_e32 v24, v43
	s_delay_alu instid0(VALU_DEP_2) | instskip(SKIP_1) | instid1(VALU_DEP_2)
	v_pk_fma_f32 v[18:19], v[56:57], v[26:27], v[18:19] op_sel:[1,0,0]
	v_mov_b32_e32 v27, v43
	v_pk_fma_f32 v[18:19], v[58:59], v[24:25], v[18:19] op_sel_hi:[0,1,1]
	v_mov_b32_e32 v24, v51
	s_delay_alu instid0(VALU_DEP_2) | instskip(SKIP_1) | instid1(VALU_DEP_2)
	v_pk_fma_f32 v[18:19], v[72:73], v[26:27], v[18:19] op_sel_hi:[0,1,1]
	v_mov_b32_e32 v27, v51
	v_pk_fma_f32 v[18:19], v[64:65], v[24:25], v[18:19] op_sel_hi:[0,1,1]
	v_mov_b32_e32 v24, v55
	s_delay_alu instid0(VALU_DEP_2) | instskip(SKIP_1) | instid1(VALU_DEP_2)
	v_pk_fma_f32 v[18:19], v[64:65], v[26:27], v[18:19] op_sel:[1,0,0]
	v_mov_b32_e32 v27, v55
	v_pk_fma_f32 v[18:19], v[66:67], v[24:25], v[18:19] op_sel_hi:[0,1,1]
	s_delay_alu instid0(VALU_DEP_1)
	v_pk_fma_f32 v[18:19], v[74:75], v[26:27], v[18:19] op_sel_hi:[0,1,1]
	s_and_not1_b32 exec_lo, exec_lo, s7
	s_cbranch_execnz .LBB127_29
; %bb.30:
	s_or_b32 exec_lo, exec_lo, s7
.LBB127_31:
	s_delay_alu instid0(SALU_CYCLE_1)
	s_or_b32 exec_lo, exec_lo, s3
.LBB127_32:
	s_delay_alu instid0(SALU_CYCLE_1)
	s_or_b32 exec_lo, exec_lo, s6
.LBB127_33:
	v_mbcnt_lo_u32_b32 v1, -1, 0
	s_delay_alu instid0(VALU_DEP_1) | instskip(SKIP_1) | instid1(VALU_DEP_1)
	v_xor_b32_e32 v23, 4, v1
	v_xor_b32_e32 v7, 8, v1
	v_cmp_gt_i32_e32 vcc_lo, 32, v7
	v_cndmask_b32_e32 v7, v1, v7, vcc_lo
	s_delay_alu instid0(VALU_DEP_1)
	v_lshlrev_b32_e32 v7, 2, v7
	ds_bpermute_b32 v9, v7, v15
	s_wait_dscnt 0x0
	v_add_f32_e32 v9, v15, v9
	ds_bpermute_b32 v10, v7, v16
	ds_bpermute_b32 v8, v7, v14
	ds_bpermute_b32 v12, v7, v20
	ds_bpermute_b32 v11, v7, v17
	ds_bpermute_b32 v13, v7, v21
	ds_bpermute_b32 v22, v7, v18
	ds_bpermute_b32 v7, v7, v19
	s_wait_dscnt 0x6
	v_add_f32_e32 v10, v16, v10
	v_cmp_gt_i32_e32 vcc_lo, 32, v23
	s_wait_dscnt 0x3
	v_dual_add_f32 v8, v14, v8 :: v_dual_add_f32 v11, v17, v11
	s_wait_dscnt 0x1
	v_dual_add_f32 v13, v21, v13 :: v_dual_add_f32 v14, v18, v22
	v_cndmask_b32_e32 v23, v1, v23, vcc_lo
	s_wait_dscnt 0x0
	v_dual_add_f32 v7, v19, v7 :: v_dual_add_f32 v12, v20, v12
	s_delay_alu instid0(VALU_DEP_2)
	v_lshlrev_b32_e32 v23, 2, v23
	ds_bpermute_b32 v15, v23, v8
	ds_bpermute_b32 v16, v23, v9
	;; [unrolled: 1-line block ×8, first 2 shown]
	s_wait_dscnt 0x7
	v_dual_add_f32 v8, v8, v15 :: v_dual_bitop2_b32 v23, 2, v1 bitop3:0x14
	s_delay_alu instid0(VALU_DEP_1)
	v_cmp_gt_i32_e32 vcc_lo, 32, v23
	s_wait_dscnt 0x4
	v_dual_add_f32 v10, v10, v17 :: v_dual_add_f32 v11, v11, v18
	s_wait_dscnt 0x2
	v_dual_add_f32 v12, v12, v19 :: v_dual_add_f32 v13, v13, v20
	s_wait_dscnt 0x1
	v_dual_add_f32 v14, v14, v21 :: v_dual_cndmask_b32 v23, v1, v23
	s_wait_dscnt 0x0
	v_dual_add_f32 v9, v9, v16 :: v_dual_add_f32 v15, v7, v22
	s_delay_alu instid0(VALU_DEP_2)
	v_lshlrev_b32_e32 v23, 2, v23
	ds_bpermute_b32 v7, v23, v8
	ds_bpermute_b32 v16, v23, v9
	ds_bpermute_b32 v17, v23, v10
	ds_bpermute_b32 v18, v23, v11
	ds_bpermute_b32 v19, v23, v12
	ds_bpermute_b32 v20, v23, v13
	ds_bpermute_b32 v21, v23, v14
	ds_bpermute_b32 v22, v23, v15
	v_xor_b32_e32 v23, 1, v1
	s_delay_alu instid0(VALU_DEP_1) | instskip(SKIP_3) | instid1(VALU_DEP_2)
	v_cmp_gt_i32_e32 vcc_lo, 32, v23
	v_cndmask_b32_e32 v1, v1, v23, vcc_lo
	v_cmp_eq_u32_e32 vcc_lo, 15, v0
	s_wait_dscnt 0x7
	v_dual_lshlrev_b32 v23, 2, v1 :: v_dual_add_f32 v1, v8, v7
	s_wait_dscnt 0x4
	v_dual_add_f32 v7, v9, v16 :: v_dual_add_f32 v9, v11, v18
	s_wait_dscnt 0x3
	v_dual_add_f32 v8, v10, v17 :: v_dual_add_f32 v10, v12, v19
	;; [unrolled: 2-line block ×3, first 2 shown]
	s_wait_dscnt 0x0
	v_add_f32_e32 v13, v15, v22
	ds_bpermute_b32 v14, v23, v1
	ds_bpermute_b32 v15, v23, v7
	;; [unrolled: 1-line block ×8, first 2 shown]
	s_and_b32 exec_lo, exec_lo, vcc_lo
	s_cbranch_execz .LBB127_6
; %bb.34:
	s_load_b64 s[0:1], s[0:1], 0x50
	v_cmp_eq_f32_e32 vcc_lo, 0, v4
	s_wait_dscnt 0x6
	v_dual_add_f32 v0, v1, v14 :: v_dual_add_f32 v22, v7, v15
	s_wait_dscnt 0x4
	v_dual_add_f32 v8, v8, v16 :: v_dual_add_f32 v20, v9, v17
	;; [unrolled: 2-line block ×4, first 2 shown]
	v_xor_b32_e32 v18, 0x80000000, v3
	v_lshlrev_b32_e32 v6, 2, v6
	s_xor_b32 s2, s2, -1
	s_delay_alu instid0(SALU_CYCLE_1) | instskip(NEXT) | instid1(SALU_CYCLE_1)
	s_and_b32 s2, vcc_lo, s2
	s_and_saveexec_b32 s3, s2
	s_delay_alu instid0(SALU_CYCLE_1)
	s_xor_b32 s2, exec_lo, s3
	s_cbranch_execz .LBB127_36
; %bb.35:
	v_dual_mov_b32 v19, v2 :: v_dual_ashrrev_i32 v7, 31, v6
	s_delay_alu instid0(VALU_DEP_1)
	v_pk_mul_f32 v[4:5], v[22:23], v[18:19] op_sel_hi:[0,1]
	v_pk_mul_f32 v[20:21], v[20:21], v[18:19] op_sel_hi:[0,1]
	;; [unrolled: 1-line block ×4, first 2 shown]
	s_wait_kmcnt 0x0
	v_lshl_add_u64 v[18:19], v[6:7], 3, s[0:1]
	v_pk_fma_f32 v[4:5], v[2:3], v[0:1], v[4:5] op_sel_hi:[1,0,1]
	v_pk_fma_f32 v[6:7], v[2:3], v[8:9], v[20:21] op_sel_hi:[1,0,1]
	;; [unrolled: 1-line block ×4, first 2 shown]
                                        ; implicit-def: $vgpr22
                                        ; implicit-def: $vgpr8
                                        ; implicit-def: $vgpr20
                                        ; implicit-def: $vgpr10
                                        ; implicit-def: $vgpr16
                                        ; implicit-def: $vgpr12
                                        ; implicit-def: $vgpr14
	s_clause 0x1
	global_store_b128 v[18:19], v[4:7], off
	global_store_b128 v[18:19], v[0:3], off offset:16
                                        ; implicit-def: $vgpr0
                                        ; implicit-def: $vgpr2_vgpr3
                                        ; implicit-def: $vgpr4_vgpr5
                                        ; implicit-def: $vgpr18
                                        ; implicit-def: $vgpr6
.LBB127_36:
	s_wait_xcnt 0x0
	s_and_not1_saveexec_b32 s2, s2
	s_cbranch_execz .LBB127_6
; %bb.37:
	v_dual_ashrrev_i32 v7, 31, v6 :: v_dual_mov_b32 v19, v2
	s_wait_kmcnt 0x0
	s_delay_alu instid0(VALU_DEP_1) | instskip(NEXT) | instid1(VALU_DEP_2)
	v_lshl_add_u64 v[32:33], v[6:7], 3, s[0:1]
	v_pk_mul_f32 v[6:7], v[22:23], v[18:19] op_sel_hi:[0,1]
	v_pk_mul_f32 v[20:21], v[20:21], v[18:19] op_sel_hi:[0,1]
	;; [unrolled: 1-line block ×4, first 2 shown]
	s_clause 0x1
	global_load_b128 v[24:27], v[32:33], off
	global_load_b128 v[28:31], v[32:33], off offset:16
	v_pk_fma_f32 v[0:1], v[2:3], v[0:1], v[6:7] op_sel_hi:[1,0,1]
	v_pk_fma_f32 v[6:7], v[2:3], v[8:9], v[20:21] op_sel_hi:[1,0,1]
	;; [unrolled: 1-line block ×4, first 2 shown]
	v_xor_b32_e32 v22, 0x80000000, v5
	s_wait_loadcnt 0x1
	v_dual_mov_b32 v23, v4 :: v_dual_mov_b32 v10, v27
	v_pk_fma_f32 v[0:1], v[4:5], v[24:25], v[0:1] op_sel_hi:[1,0,1]
	v_pk_fma_f32 v[6:7], v[4:5], v[26:27], v[6:7] op_sel_hi:[1,0,1]
	s_wait_loadcnt 0x0
	v_pk_fma_f32 v[8:9], v[4:5], v[28:29], v[8:9] op_sel_hi:[1,0,1]
	v_pk_fma_f32 v[12:13], v[4:5], v[30:31], v[2:3] op_sel_hi:[1,0,1]
	v_mov_b32_e32 v14, v31
	v_pk_fma_f32 v[0:1], v[22:23], v[24:25], v[0:1] op_sel:[0,1,0]
	v_pk_fma_f32 v[2:3], v[22:23], v[10:11], v[6:7] op_sel_hi:[1,0,1]
	v_pk_fma_f32 v[4:5], v[22:23], v[28:29], v[8:9] op_sel:[0,1,0]
	s_delay_alu instid0(VALU_DEP_4)
	v_pk_fma_f32 v[6:7], v[22:23], v[14:15], v[12:13] op_sel_hi:[1,0,1]
	s_clause 0x1
	global_store_b128 v[32:33], v[0:3], off
	global_store_b128 v[32:33], v[4:7], off offset:16
	s_sendmsg sendmsg(MSG_DEALLOC_VGPRS)
	s_endpgm
	.section	.rodata,"a",@progbits
	.p2align	6, 0x0
	.amdhsa_kernel _ZN9rocsparseL18bsrxmvn_4x4_kernelILj128ELj16E21rocsparse_complex_numIfElifS2_S2_EEvT3_20rocsparse_direction_NS_24const_host_device_scalarIT1_EES3_PKS3_PKT2_SC_S9_PKT4_PKT5_S7_PT6_21rocsparse_index_base_b
		.amdhsa_group_segment_fixed_size 0
		.amdhsa_private_segment_fixed_size 0
		.amdhsa_kernarg_size 96
		.amdhsa_user_sgpr_count 2
		.amdhsa_user_sgpr_dispatch_ptr 0
		.amdhsa_user_sgpr_queue_ptr 0
		.amdhsa_user_sgpr_kernarg_segment_ptr 1
		.amdhsa_user_sgpr_dispatch_id 0
		.amdhsa_user_sgpr_kernarg_preload_length 0
		.amdhsa_user_sgpr_kernarg_preload_offset 0
		.amdhsa_user_sgpr_private_segment_size 0
		.amdhsa_wavefront_size32 1
		.amdhsa_uses_dynamic_stack 0
		.amdhsa_enable_private_segment 0
		.amdhsa_system_sgpr_workgroup_id_x 1
		.amdhsa_system_sgpr_workgroup_id_y 0
		.amdhsa_system_sgpr_workgroup_id_z 0
		.amdhsa_system_sgpr_workgroup_info 0
		.amdhsa_system_vgpr_workitem_id 0
		.amdhsa_next_free_vgpr 98
		.amdhsa_next_free_sgpr 16
		.amdhsa_named_barrier_count 0
		.amdhsa_reserve_vcc 1
		.amdhsa_float_round_mode_32 0
		.amdhsa_float_round_mode_16_64 0
		.amdhsa_float_denorm_mode_32 3
		.amdhsa_float_denorm_mode_16_64 3
		.amdhsa_fp16_overflow 0
		.amdhsa_memory_ordered 1
		.amdhsa_forward_progress 1
		.amdhsa_inst_pref_size 66
		.amdhsa_round_robin_scheduling 0
		.amdhsa_exception_fp_ieee_invalid_op 0
		.amdhsa_exception_fp_denorm_src 0
		.amdhsa_exception_fp_ieee_div_zero 0
		.amdhsa_exception_fp_ieee_overflow 0
		.amdhsa_exception_fp_ieee_underflow 0
		.amdhsa_exception_fp_ieee_inexact 0
		.amdhsa_exception_int_div_zero 0
	.end_amdhsa_kernel
	.section	.text._ZN9rocsparseL18bsrxmvn_4x4_kernelILj128ELj16E21rocsparse_complex_numIfElifS2_S2_EEvT3_20rocsparse_direction_NS_24const_host_device_scalarIT1_EES3_PKS3_PKT2_SC_S9_PKT4_PKT5_S7_PT6_21rocsparse_index_base_b,"axG",@progbits,_ZN9rocsparseL18bsrxmvn_4x4_kernelILj128ELj16E21rocsparse_complex_numIfElifS2_S2_EEvT3_20rocsparse_direction_NS_24const_host_device_scalarIT1_EES3_PKS3_PKT2_SC_S9_PKT4_PKT5_S7_PT6_21rocsparse_index_base_b,comdat
.Lfunc_end127:
	.size	_ZN9rocsparseL18bsrxmvn_4x4_kernelILj128ELj16E21rocsparse_complex_numIfElifS2_S2_EEvT3_20rocsparse_direction_NS_24const_host_device_scalarIT1_EES3_PKS3_PKT2_SC_S9_PKT4_PKT5_S7_PT6_21rocsparse_index_base_b, .Lfunc_end127-_ZN9rocsparseL18bsrxmvn_4x4_kernelILj128ELj16E21rocsparse_complex_numIfElifS2_S2_EEvT3_20rocsparse_direction_NS_24const_host_device_scalarIT1_EES3_PKS3_PKT2_SC_S9_PKT4_PKT5_S7_PT6_21rocsparse_index_base_b
                                        ; -- End function
	.set _ZN9rocsparseL18bsrxmvn_4x4_kernelILj128ELj16E21rocsparse_complex_numIfElifS2_S2_EEvT3_20rocsparse_direction_NS_24const_host_device_scalarIT1_EES3_PKS3_PKT2_SC_S9_PKT4_PKT5_S7_PT6_21rocsparse_index_base_b.num_vgpr, 98
	.set _ZN9rocsparseL18bsrxmvn_4x4_kernelILj128ELj16E21rocsparse_complex_numIfElifS2_S2_EEvT3_20rocsparse_direction_NS_24const_host_device_scalarIT1_EES3_PKS3_PKT2_SC_S9_PKT4_PKT5_S7_PT6_21rocsparse_index_base_b.num_agpr, 0
	.set _ZN9rocsparseL18bsrxmvn_4x4_kernelILj128ELj16E21rocsparse_complex_numIfElifS2_S2_EEvT3_20rocsparse_direction_NS_24const_host_device_scalarIT1_EES3_PKS3_PKT2_SC_S9_PKT4_PKT5_S7_PT6_21rocsparse_index_base_b.numbered_sgpr, 16
	.set _ZN9rocsparseL18bsrxmvn_4x4_kernelILj128ELj16E21rocsparse_complex_numIfElifS2_S2_EEvT3_20rocsparse_direction_NS_24const_host_device_scalarIT1_EES3_PKS3_PKT2_SC_S9_PKT4_PKT5_S7_PT6_21rocsparse_index_base_b.num_named_barrier, 0
	.set _ZN9rocsparseL18bsrxmvn_4x4_kernelILj128ELj16E21rocsparse_complex_numIfElifS2_S2_EEvT3_20rocsparse_direction_NS_24const_host_device_scalarIT1_EES3_PKS3_PKT2_SC_S9_PKT4_PKT5_S7_PT6_21rocsparse_index_base_b.private_seg_size, 0
	.set _ZN9rocsparseL18bsrxmvn_4x4_kernelILj128ELj16E21rocsparse_complex_numIfElifS2_S2_EEvT3_20rocsparse_direction_NS_24const_host_device_scalarIT1_EES3_PKS3_PKT2_SC_S9_PKT4_PKT5_S7_PT6_21rocsparse_index_base_b.uses_vcc, 1
	.set _ZN9rocsparseL18bsrxmvn_4x4_kernelILj128ELj16E21rocsparse_complex_numIfElifS2_S2_EEvT3_20rocsparse_direction_NS_24const_host_device_scalarIT1_EES3_PKS3_PKT2_SC_S9_PKT4_PKT5_S7_PT6_21rocsparse_index_base_b.uses_flat_scratch, 1
	.set _ZN9rocsparseL18bsrxmvn_4x4_kernelILj128ELj16E21rocsparse_complex_numIfElifS2_S2_EEvT3_20rocsparse_direction_NS_24const_host_device_scalarIT1_EES3_PKS3_PKT2_SC_S9_PKT4_PKT5_S7_PT6_21rocsparse_index_base_b.has_dyn_sized_stack, 0
	.set _ZN9rocsparseL18bsrxmvn_4x4_kernelILj128ELj16E21rocsparse_complex_numIfElifS2_S2_EEvT3_20rocsparse_direction_NS_24const_host_device_scalarIT1_EES3_PKS3_PKT2_SC_S9_PKT4_PKT5_S7_PT6_21rocsparse_index_base_b.has_recursion, 0
	.set _ZN9rocsparseL18bsrxmvn_4x4_kernelILj128ELj16E21rocsparse_complex_numIfElifS2_S2_EEvT3_20rocsparse_direction_NS_24const_host_device_scalarIT1_EES3_PKS3_PKT2_SC_S9_PKT4_PKT5_S7_PT6_21rocsparse_index_base_b.has_indirect_call, 0
	.section	.AMDGPU.csdata,"",@progbits
; Kernel info:
; codeLenInByte = 8388
; TotalNumSgprs: 18
; NumVgprs: 98
; ScratchSize: 0
; MemoryBound: 0
; FloatMode: 240
; IeeeMode: 1
; LDSByteSize: 0 bytes/workgroup (compile time only)
; SGPRBlocks: 0
; VGPRBlocks: 6
; NumSGPRsForWavesPerEU: 18
; NumVGPRsForWavesPerEU: 98
; NamedBarCnt: 0
; Occupancy: 9
; WaveLimiterHint : 1
; COMPUTE_PGM_RSRC2:SCRATCH_EN: 0
; COMPUTE_PGM_RSRC2:USER_SGPR: 2
; COMPUTE_PGM_RSRC2:TRAP_HANDLER: 0
; COMPUTE_PGM_RSRC2:TGID_X_EN: 1
; COMPUTE_PGM_RSRC2:TGID_Y_EN: 0
; COMPUTE_PGM_RSRC2:TGID_Z_EN: 0
; COMPUTE_PGM_RSRC2:TIDIG_COMP_CNT: 0
	.section	.text._ZN9rocsparseL18bsrxmvn_4x4_kernelILj128ELj32E21rocsparse_complex_numIfElifS2_S2_EEvT3_20rocsparse_direction_NS_24const_host_device_scalarIT1_EES3_PKS3_PKT2_SC_S9_PKT4_PKT5_S7_PT6_21rocsparse_index_base_b,"axG",@progbits,_ZN9rocsparseL18bsrxmvn_4x4_kernelILj128ELj32E21rocsparse_complex_numIfElifS2_S2_EEvT3_20rocsparse_direction_NS_24const_host_device_scalarIT1_EES3_PKS3_PKT2_SC_S9_PKT4_PKT5_S7_PT6_21rocsparse_index_base_b,comdat
	.globl	_ZN9rocsparseL18bsrxmvn_4x4_kernelILj128ELj32E21rocsparse_complex_numIfElifS2_S2_EEvT3_20rocsparse_direction_NS_24const_host_device_scalarIT1_EES3_PKS3_PKT2_SC_S9_PKT4_PKT5_S7_PT6_21rocsparse_index_base_b ; -- Begin function _ZN9rocsparseL18bsrxmvn_4x4_kernelILj128ELj32E21rocsparse_complex_numIfElifS2_S2_EEvT3_20rocsparse_direction_NS_24const_host_device_scalarIT1_EES3_PKS3_PKT2_SC_S9_PKT4_PKT5_S7_PT6_21rocsparse_index_base_b
	.p2align	8
	.type	_ZN9rocsparseL18bsrxmvn_4x4_kernelILj128ELj32E21rocsparse_complex_numIfElifS2_S2_EEvT3_20rocsparse_direction_NS_24const_host_device_scalarIT1_EES3_PKS3_PKT2_SC_S9_PKT4_PKT5_S7_PT6_21rocsparse_index_base_b,@function
_ZN9rocsparseL18bsrxmvn_4x4_kernelILj128ELj32E21rocsparse_complex_numIfElifS2_S2_EEvT3_20rocsparse_direction_NS_24const_host_device_scalarIT1_EES3_PKS3_PKT2_SC_S9_PKT4_PKT5_S7_PT6_21rocsparse_index_base_b: ; @_ZN9rocsparseL18bsrxmvn_4x4_kernelILj128ELj32E21rocsparse_complex_numIfElifS2_S2_EEvT3_20rocsparse_direction_NS_24const_host_device_scalarIT1_EES3_PKS3_PKT2_SC_S9_PKT4_PKT5_S7_PT6_21rocsparse_index_base_b
; %bb.0:
	s_clause 0x2
	s_load_b64 s[12:13], s[0:1], 0x58
	s_load_b64 s[2:3], s[0:1], 0x8
	;; [unrolled: 1-line block ×3, first 2 shown]
	v_mov_b32_e32 v1, 0
	s_add_nc_u64 s[6:7], s[0:1], 8
	s_add_nc_u64 s[8:9], s[0:1], 0x48
	s_wait_kmcnt 0x0
	s_bitcmp1_b32 s13, 0
	s_cselect_b32 s3, s7, s3
	s_cselect_b32 s2, s6, s2
	;; [unrolled: 1-line block ×4, first 2 shown]
	s_clause 0x1
	flat_load_b64 v[2:3], v1, s[2:3]
	flat_load_b64 v[4:5], v1, s[4:5]
	s_wait_loadcnt_dscnt 0x101
	v_cmp_neq_f32_e32 vcc_lo, 0, v2
	v_cmp_neq_f32_e64 s3, 0, v3
	s_wait_loadcnt_dscnt 0x0
	v_cmp_neq_f32_e64 s4, 1.0, v4
	v_cmp_neq_f32_e64 s2, 0, v5
	s_or_b32 s5, vcc_lo, s3
	s_mov_b32 s3, 0
	s_or_b32 s4, s4, s2
	s_delay_alu instid0(SALU_CYCLE_1) | instskip(NEXT) | instid1(SALU_CYCLE_1)
	s_or_b32 s4, s5, s4
	s_and_saveexec_b32 s5, s4
	s_cbranch_execz .LBB128_6
; %bb.1:
	s_clause 0x1
	s_load_b64 s[4:5], s[0:1], 0x18
	s_load_b64 s[14:15], s[0:1], 0x0
	s_bfe_u32 s6, ttmp6, 0x4000c
	s_and_b32 s7, ttmp6, 15
	s_add_co_i32 s6, s6, 1
	s_getreg_b32 s8, hwreg(HW_REG_IB_STS2, 6, 4)
	s_mul_i32 s6, ttmp9, s6
	v_lshrrev_b32_e32 v1, 5, v0
	s_add_co_i32 s7, s7, s6
	s_cmp_eq_u32 s8, 0
	s_cselect_b32 s6, ttmp9, s7
	s_delay_alu instid0(VALU_DEP_1) | instid1(SALU_CYCLE_1)
	v_lshl_or_b32 v6, s6, 2, v1
	s_wait_kmcnt 0x0
	s_cmp_lg_u64 s[4:5], 0
	s_cbranch_scc0 .LBB128_7
; %bb.2:
	s_load_b32 s3, s[0:1], 0x10
	s_mov_b32 s6, 0
                                        ; implicit-def: $vgpr1
	s_wait_kmcnt 0x0
	v_cmp_gt_i32_e32 vcc_lo, s3, v6
	s_mov_b32 s3, 0
	s_and_saveexec_b32 s7, vcc_lo
	s_delay_alu instid0(SALU_CYCLE_1)
	s_xor_b32 s7, exec_lo, s7
	s_cbranch_execz .LBB128_4
; %bb.3:
	global_load_b32 v1, v6, s[4:5] scale_offset
	s_mov_b32 s3, exec_lo
	s_wait_loadcnt 0x0
	v_subrev_nc_u32_e32 v1, s12, v1
.LBB128_4:
	s_or_b32 exec_lo, exec_lo, s7
	s_delay_alu instid0(SALU_CYCLE_1)
	s_and_b32 vcc_lo, exec_lo, s6
	s_cbranch_vccz .LBB128_8
.LBB128_5:
	v_cmp_gt_i32_e32 vcc_lo, s14, v6
	s_and_not1_b32 s3, s3, exec_lo
	s_and_b32 s4, vcc_lo, exec_lo
	s_delay_alu instid0(SALU_CYCLE_1) | instskip(NEXT) | instid1(SALU_CYCLE_1)
	s_or_b32 s3, s3, s4
	s_and_b32 exec_lo, exec_lo, s3
	s_cbranch_execnz .LBB128_9
.LBB128_6:
	s_sendmsg sendmsg(MSG_DEALLOC_VGPRS)
	s_endpgm
.LBB128_7:
                                        ; implicit-def: $vgpr1
	s_cbranch_execnz .LBB128_5
.LBB128_8:
	s_delay_alu instid0(VALU_DEP_1)
	v_mov_b32_e32 v6, v1
	s_and_b32 exec_lo, exec_lo, s3
	s_cbranch_execz .LBB128_6
.LBB128_9:
	s_load_b256 s[4:11], s[0:1], 0x20
	s_mov_b32 s13, 0
	v_dual_mov_b32 v1, 0 :: v_dual_bitop2_b32 v0, 31, v0 bitop3:0x40
	s_wait_kmcnt 0x0
	s_cmp_eq_u64 s[6:7], 0
	global_load_b64 v[22:23], v6, s[4:5] scale_offset
	s_cselect_b32 vcc_lo, -1, 0
	v_ashrrev_i32_e32 v7, 31, v6
	s_cmp_eq_u32 s15, 1
	s_delay_alu instid0(VALU_DEP_1) | instskip(NEXT) | instid1(VALU_DEP_1)
	v_lshlrev_b64_e32 v[8:9], 3, v[6:7]
	v_add_nc_u64_e32 v[10:11], s[4:5], v[8:9]
	v_add_nc_u64_e32 v[8:9], s[6:7], v[8:9]
	s_wait_xcnt 0x0
	s_load_b64 s[4:5], s[0:1], 0x40
	s_delay_alu instid0(VALU_DEP_2) | instskip(NEXT) | instid1(VALU_DEP_1)
	v_add_nc_u64_e32 v[10:11], 8, v[10:11]
	v_dual_cndmask_b32 v9, v9, v11 :: v_dual_cndmask_b32 v8, v8, v10
	global_load_b64 v[10:11], v[8:9], off
	s_wait_loadcnt 0x1
	s_wait_xcnt 0x0
	v_sub_nc_u64_e64 v[8:9], v[22:23], s[12:13]
	s_delay_alu instid0(VALU_DEP_1) | instskip(NEXT) | instid1(VALU_DEP_1)
	v_add_nc_u64_e32 v[8:9], v[8:9], v[0:1]
	v_lshlrev_b64_e32 v[12:13], 6, v[8:9]
	s_delay_alu instid0(VALU_DEP_1) | instskip(SKIP_2) | instid1(VALU_DEP_1)
	v_add_nc_u64_e32 v[12:13], s[10:11], v[12:13]
	s_wait_loadcnt 0x0
	v_sub_nc_u64_e64 v[10:11], v[10:11], s[12:13]
	v_cmp_lt_i64_e64 s3, v[8:9], v[10:11]
	s_cbranch_scc1 .LBB128_21
; %bb.10:
	v_dual_mov_b32 v15, v1 :: v_dual_mov_b32 v14, v1
	v_dual_mov_b32 v17, v1 :: v_dual_mov_b32 v16, v1
	;; [unrolled: 1-line block ×4, first 2 shown]
	s_and_saveexec_b32 s6, s3
	s_cbranch_execz .LBB128_20
; %bb.11:
	v_dual_mov_b32 v15, v1 :: v_dual_bitop2_b32 v14, 32, v0 bitop3:0x54
	v_sub_nc_u64_e32 v[16:17], s[12:13], v[0:1]
	v_not_b32_e32 v19, v23
	v_not_b32_e32 v18, v22
	v_mov_b64_e32 v[24:25], v[12:13]
	v_sub_nc_u64_e64 v[14:15], v[14:15], s[12:13]
	v_mov_b64_e32 v[26:27], v[8:9]
	s_delay_alu instid0(VALU_DEP_4) | instskip(SKIP_1) | instid1(VALU_DEP_4)
	v_add_nc_u64_e32 v[16:17], v[16:17], v[18:19]
	v_mov_b32_e32 v19, 0
	v_add_nc_u64_e32 v[14:15], v[14:15], v[22:23]
	s_delay_alu instid0(VALU_DEP_2) | instskip(NEXT) | instid1(VALU_DEP_2)
	v_dual_mov_b32 v20, v19 :: v_dual_mov_b32 v21, v19
	v_max_i64 v[14:15], v[14:15], v[10:11]
	s_delay_alu instid0(VALU_DEP_1) | instskip(SKIP_2) | instid1(VALU_DEP_3)
	v_add_nc_u64_e32 v[28:29], v[16:17], v[14:15]
	v_dual_mov_b32 v16, v19 :: v_dual_mov_b32 v17, v19
	v_dual_mov_b32 v14, v19 :: v_dual_mov_b32 v15, v19
	v_and_b32_e32 v18, 0x60, v28
	s_delay_alu instid0(VALU_DEP_1)
	v_cmp_ne_u64_e32 vcc_lo, 0x60, v[18:19]
	v_mov_b32_e32 v18, v19
	s_and_saveexec_b32 s7, vcc_lo
	s_cbranch_execz .LBB128_15
; %bb.12:
	v_dual_lshrrev_b32 v7, 5, v28 :: v_dual_mov_b32 v31, 0
	v_mov_b64_e32 v[26:27], v[8:9]
	v_mov_b64_e32 v[24:25], v[12:13]
	v_lshl_add_u64 v[32:33], v[8:9], 2, s[8:9]
	s_delay_alu instid0(VALU_DEP_4) | instskip(SKIP_2) | instid1(VALU_DEP_3)
	v_dual_mov_b32 v18, v31 :: v_dual_add_nc_u32 v7, 1, v7
	v_bfrev_b32_e32 v34, 1
	v_dual_mov_b32 v20, v31 :: v_dual_mov_b32 v21, v31
	v_dual_mov_b32 v19, v31 :: v_dual_bitop2_b32 v30, 3, v7 bitop3:0x40
	v_dual_mov_b32 v16, v31 :: v_dual_mov_b32 v17, v31
	v_dual_mov_b32 v14, v31 :: v_dual_mov_b32 v15, v31
	s_delay_alu instid0(VALU_DEP_3)
	v_sub_nc_u64_e32 v[36:37], 0, v[30:31]
	s_mov_b32 s10, 0
.LBB128_13:                             ; =>This Inner Loop Header: Depth=1
	global_load_b32 v7, v[32:33], off
	s_clause 0x1
	global_load_b128 v[38:41], v[24:25], off offset:16
	global_load_b128 v[42:45], v[24:25], off
	v_add_nc_u64_e32 v[36:37], 1, v[36:37]
	v_add_nc_u64_e32 v[26:27], 32, v[26:27]
	s_wait_xcnt 0x2
	v_add_nc_u64_e32 v[32:33], 0x80, v[32:33]
	s_delay_alu instid0(VALU_DEP_3)
	v_cmp_eq_u64_e32 vcc_lo, 0, v[36:37]
	s_or_b32 s10, vcc_lo, s10
	s_wait_loadcnt 0x2
	v_subrev_nc_u32_e32 v7, s12, v7
	s_wait_loadcnt 0x0
	v_dual_mov_b32 v30, v42 :: v_dual_mov_b32 v35, v42
	s_delay_alu instid0(VALU_DEP_2) | instskip(NEXT) | instid1(VALU_DEP_1)
	v_lshlrev_b32_e32 v46, 2, v7
	v_ashrrev_i32_e32 v47, 31, v46
	s_wait_kmcnt 0x0
	s_delay_alu instid0(VALU_DEP_1)
	v_lshl_add_u64 v[62:63], v[46:47], 3, s[4:5]
	s_clause 0x1
	global_load_b128 v[46:49], v[62:63], off
	global_load_b128 v[50:53], v[62:63], off offset:16
	s_clause 0x1
	global_load_b128 v[54:57], v[24:25], off offset:32
	global_load_b128 v[58:61], v[24:25], off offset:48
	s_wait_xcnt 0x0
	v_add_nc_u64_e32 v[24:25], 0x800, v[24:25]
	s_wait_loadcnt 0x3
	v_pk_fma_f32 v[14:15], v[46:47], v[30:31], v[14:15] op_sel_hi:[0,1,1]
	v_dual_mov_b32 v30, v43 :: v_dual_mov_b32 v42, v49
	s_wait_loadcnt 0x2
	v_mov_b32_e32 v62, v53
	s_delay_alu instid0(VALU_DEP_3) | instskip(SKIP_1) | instid1(VALU_DEP_2)
	v_pk_fma_f32 v[14:15], v[46:47], v[34:35], v[14:15] op_sel:[1,0,0]
	v_mov_b32_e32 v35, v43
	v_pk_fma_f32 v[14:15], v[48:49], v[30:31], v[14:15] op_sel_hi:[0,1,1]
	v_mov_b32_e32 v30, v44
	s_delay_alu instid0(VALU_DEP_2) | instskip(SKIP_1) | instid1(VALU_DEP_2)
	v_pk_fma_f32 v[14:15], v[42:43], v[34:35], v[14:15] op_sel_hi:[0,1,1]
	v_mov_b32_e32 v35, v44
	v_pk_fma_f32 v[14:15], v[50:51], v[30:31], v[14:15] op_sel_hi:[0,1,1]
	v_mov_b32_e32 v30, v45
	s_delay_alu instid0(VALU_DEP_2) | instskip(SKIP_1) | instid1(VALU_DEP_2)
	v_pk_fma_f32 v[14:15], v[50:51], v[34:35], v[14:15] op_sel:[1,0,0]
	v_mov_b32_e32 v35, v45
	v_pk_fma_f32 v[14:15], v[52:53], v[30:31], v[14:15] op_sel_hi:[0,1,1]
	v_mov_b32_e32 v30, v38
	s_delay_alu instid0(VALU_DEP_2) | instskip(SKIP_1) | instid1(VALU_DEP_3)
	v_pk_fma_f32 v[14:15], v[62:63], v[34:35], v[14:15] op_sel_hi:[0,1,1]
	v_mov_b32_e32 v35, v38
	v_pk_fma_f32 v[16:17], v[46:47], v[30:31], v[16:17] op_sel_hi:[0,1,1]
	v_mov_b32_e32 v30, v39
	s_delay_alu instid0(VALU_DEP_2) | instskip(SKIP_1) | instid1(VALU_DEP_2)
	v_pk_fma_f32 v[16:17], v[46:47], v[34:35], v[16:17] op_sel:[1,0,0]
	v_mov_b32_e32 v35, v39
	v_pk_fma_f32 v[16:17], v[48:49], v[30:31], v[16:17] op_sel_hi:[0,1,1]
	v_mov_b32_e32 v30, v40
	s_delay_alu instid0(VALU_DEP_2) | instskip(SKIP_1) | instid1(VALU_DEP_2)
	v_pk_fma_f32 v[16:17], v[42:43], v[34:35], v[16:17] op_sel_hi:[0,1,1]
	v_mov_b32_e32 v35, v40
	v_pk_fma_f32 v[16:17], v[50:51], v[30:31], v[16:17] op_sel_hi:[0,1,1]
	v_mov_b32_e32 v30, v41
	s_delay_alu instid0(VALU_DEP_2) | instskip(SKIP_1) | instid1(VALU_DEP_2)
	v_pk_fma_f32 v[16:17], v[50:51], v[34:35], v[16:17] op_sel:[1,0,0]
	v_mov_b32_e32 v35, v41
	v_pk_fma_f32 v[16:17], v[52:53], v[30:31], v[16:17] op_sel_hi:[0,1,1]
	s_wait_loadcnt 0x1
	v_mov_b32_e32 v30, v54
	s_delay_alu instid0(VALU_DEP_2) | instskip(SKIP_1) | instid1(VALU_DEP_3)
	v_pk_fma_f32 v[16:17], v[62:63], v[34:35], v[16:17] op_sel_hi:[0,1,1]
	v_mov_b32_e32 v35, v54
	v_pk_fma_f32 v[20:21], v[46:47], v[30:31], v[20:21] op_sel_hi:[0,1,1]
	v_mov_b32_e32 v30, v55
	s_delay_alu instid0(VALU_DEP_2) | instskip(SKIP_1) | instid1(VALU_DEP_2)
	v_pk_fma_f32 v[20:21], v[46:47], v[34:35], v[20:21] op_sel:[1,0,0]
	v_mov_b32_e32 v35, v55
	v_pk_fma_f32 v[20:21], v[48:49], v[30:31], v[20:21] op_sel_hi:[0,1,1]
	v_mov_b32_e32 v30, v56
	s_delay_alu instid0(VALU_DEP_2) | instskip(SKIP_1) | instid1(VALU_DEP_2)
	v_pk_fma_f32 v[20:21], v[42:43], v[34:35], v[20:21] op_sel_hi:[0,1,1]
	v_mov_b32_e32 v35, v56
	v_pk_fma_f32 v[20:21], v[50:51], v[30:31], v[20:21] op_sel_hi:[0,1,1]
	v_mov_b32_e32 v30, v57
	s_delay_alu instid0(VALU_DEP_2) | instskip(SKIP_1) | instid1(VALU_DEP_2)
	v_pk_fma_f32 v[20:21], v[50:51], v[34:35], v[20:21] op_sel:[1,0,0]
	v_mov_b32_e32 v35, v57
	v_pk_fma_f32 v[20:21], v[52:53], v[30:31], v[20:21] op_sel_hi:[0,1,1]
	s_wait_loadcnt 0x0
	v_mov_b32_e32 v30, v58
	s_delay_alu instid0(VALU_DEP_2) | instskip(SKIP_1) | instid1(VALU_DEP_3)
	v_pk_fma_f32 v[20:21], v[62:63], v[34:35], v[20:21] op_sel_hi:[0,1,1]
	v_mov_b32_e32 v35, v58
	v_pk_fma_f32 v[18:19], v[46:47], v[30:31], v[18:19] op_sel_hi:[0,1,1]
	v_mov_b32_e32 v30, v59
	s_delay_alu instid0(VALU_DEP_2) | instskip(SKIP_1) | instid1(VALU_DEP_2)
	v_pk_fma_f32 v[18:19], v[46:47], v[34:35], v[18:19] op_sel:[1,0,0]
	v_mov_b32_e32 v35, v59
	v_pk_fma_f32 v[18:19], v[48:49], v[30:31], v[18:19] op_sel_hi:[0,1,1]
	v_mov_b32_e32 v30, v60
	s_delay_alu instid0(VALU_DEP_2) | instskip(SKIP_1) | instid1(VALU_DEP_2)
	v_pk_fma_f32 v[18:19], v[42:43], v[34:35], v[18:19] op_sel_hi:[0,1,1]
	v_mov_b32_e32 v35, v60
	v_pk_fma_f32 v[18:19], v[50:51], v[30:31], v[18:19] op_sel_hi:[0,1,1]
	v_mov_b32_e32 v30, v61
	s_delay_alu instid0(VALU_DEP_2) | instskip(SKIP_1) | instid1(VALU_DEP_2)
	v_pk_fma_f32 v[18:19], v[50:51], v[34:35], v[18:19] op_sel:[1,0,0]
	v_mov_b32_e32 v35, v61
	v_pk_fma_f32 v[18:19], v[52:53], v[30:31], v[18:19] op_sel_hi:[0,1,1]
	s_delay_alu instid0(VALU_DEP_1)
	v_pk_fma_f32 v[18:19], v[62:63], v[34:35], v[18:19] op_sel_hi:[0,1,1]
	s_and_not1_b32 exec_lo, exec_lo, s10
	s_cbranch_execnz .LBB128_13
; %bb.14:
	s_or_b32 exec_lo, exec_lo, s10
.LBB128_15:
	s_delay_alu instid0(SALU_CYCLE_1) | instskip(NEXT) | instid1(SALU_CYCLE_1)
	s_or_b32 exec_lo, exec_lo, s7
	s_mov_b32 s7, exec_lo
	v_cmpx_lt_u64_e32 0x5f, v[28:29]
	s_cbranch_execz .LBB128_19
; %bb.16:
	v_lshl_add_u64 v[28:29], v[26:27], 2, s[8:9]
	v_mov_b32_e32 v31, 0
	v_bfrev_b32_e32 v32, 1
	s_mov_b32 s10, 0
	s_delay_alu instid0(VALU_DEP_3)
	v_add_nc_u64_e32 v[28:29], 0x100, v[28:29]
.LBB128_17:                             ; =>This Inner Loop Header: Depth=1
	s_clause 0x1
	global_load_b32 v7, v[28:29], off offset:-256
	global_load_b32 v30, v[28:29], off offset:-128
	s_clause 0x7
	global_load_b128 v[34:37], v[24:25], off
	global_load_b128 v[38:41], v[24:25], off offset:16
	global_load_b128 v[42:45], v[24:25], off offset:2096
	;; [unrolled: 1-line block ×7, first 2 shown]
	s_clause 0x1
	global_load_b32 v94, v[28:29], off
	global_load_b32 v95, v[28:29], off offset:128
	global_load_b128 v[66:69], v[24:25], off offset:4096
	v_add_nc_u64_e32 v[26:27], 0x80, v[26:27]
	s_wait_xcnt 0x1
	v_add_nc_u64_e32 v[28:29], 0x200, v[28:29]
	s_delay_alu instid0(VALU_DEP_2)
	v_cmp_ge_i64_e32 vcc_lo, v[26:27], v[10:11]
	s_or_b32 s10, vcc_lo, s10
	s_wait_loadcnt 0xc
	v_subrev_nc_u32_e32 v7, s12, v7
	s_wait_loadcnt 0xb
	v_subrev_nc_u32_e32 v71, s12, v30
	s_wait_loadcnt 0xa
	v_dual_mov_b32 v30, v34 :: v_dual_mov_b32 v33, v34
	s_delay_alu instid0(VALU_DEP_2) | instskip(SKIP_3) | instid1(VALU_DEP_2)
	v_lshlrev_b32_e32 v72, 2, v71
	v_lshlrev_b32_e32 v70, 2, v7
	s_wait_loadcnt 0x2
	v_subrev_nc_u32_e32 v7, s12, v94
	v_dual_ashrrev_i32 v73, 31, v72 :: v_dual_ashrrev_i32 v71, 31, v70
	s_wait_kmcnt 0x0
	s_delay_alu instid0(VALU_DEP_1) | instskip(NEXT) | instid1(VALU_DEP_2)
	v_lshl_add_u64 v[88:89], v[72:73], 3, s[4:5]
	v_lshl_add_u64 v[86:87], v[70:71], 3, s[4:5]
	s_clause 0x3
	global_load_b128 v[70:73], v[86:87], off
	global_load_b128 v[74:77], v[86:87], off offset:16
	global_load_b128 v[78:81], v[88:89], off
	global_load_b128 v[82:85], v[88:89], off offset:16
	s_wait_loadcnt 0x3
	v_pk_fma_f32 v[14:15], v[70:71], v[30:31], v[14:15] op_sel_hi:[0,1,1]
	s_wait_xcnt 0x2
	v_dual_mov_b32 v30, v35 :: v_dual_mov_b32 v86, v73
	s_wait_loadcnt 0x2
	s_wait_xcnt 0x0
	v_mov_b32_e32 v88, v77
	v_pk_fma_f32 v[14:15], v[70:71], v[32:33], v[14:15] op_sel:[1,0,0]
	v_mov_b32_e32 v33, v35
	s_delay_alu instid0(VALU_DEP_2) | instskip(SKIP_1) | instid1(VALU_DEP_2)
	v_pk_fma_f32 v[14:15], v[72:73], v[30:31], v[14:15] op_sel_hi:[0,1,1]
	v_mov_b32_e32 v30, v36
	v_pk_fma_f32 v[14:15], v[86:87], v[32:33], v[14:15] op_sel_hi:[0,1,1]
	v_mov_b32_e32 v33, v36
	s_delay_alu instid0(VALU_DEP_2) | instskip(SKIP_1) | instid1(VALU_DEP_2)
	v_pk_fma_f32 v[14:15], v[74:75], v[30:31], v[14:15] op_sel_hi:[0,1,1]
	v_mov_b32_e32 v30, v37
	v_pk_fma_f32 v[14:15], v[74:75], v[32:33], v[14:15] op_sel:[1,0,0]
	v_mov_b32_e32 v33, v37
	s_delay_alu instid0(VALU_DEP_2) | instskip(SKIP_1) | instid1(VALU_DEP_2)
	v_pk_fma_f32 v[14:15], v[76:77], v[30:31], v[14:15] op_sel_hi:[0,1,1]
	v_mov_b32_e32 v30, v54
	v_pk_fma_f32 v[14:15], v[88:89], v[32:33], v[14:15] op_sel_hi:[0,1,1]
	v_mov_b32_e32 v33, v54
	s_wait_loadcnt 0x1
	s_delay_alu instid0(VALU_DEP_2) | instskip(SKIP_1) | instid1(VALU_DEP_2)
	v_pk_fma_f32 v[14:15], v[78:79], v[30:31], v[14:15] op_sel_hi:[0,1,1]
	v_mov_b32_e32 v30, v38
	v_pk_fma_f32 v[90:91], v[78:79], v[32:33], v[14:15] op_sel:[1,0,0]
	v_mov_b32_e32 v33, v38
	s_delay_alu instid0(VALU_DEP_3) | instskip(SKIP_1) | instid1(VALU_DEP_2)
	v_pk_fma_f32 v[14:15], v[70:71], v[30:31], v[16:17] op_sel_hi:[0,1,1]
	v_mov_b32_e32 v30, v39
	v_pk_fma_f32 v[14:15], v[70:71], v[32:33], v[14:15] op_sel:[1,0,0]
	v_mov_b32_e32 v33, v39
	v_subrev_nc_u32_e32 v39, s12, v95
	s_delay_alu instid0(VALU_DEP_3) | instskip(SKIP_1) | instid1(VALU_DEP_2)
	v_pk_fma_f32 v[14:15], v[72:73], v[30:31], v[14:15] op_sel_hi:[0,1,1]
	v_mov_b32_e32 v30, v40
	v_pk_fma_f32 v[14:15], v[86:87], v[32:33], v[14:15] op_sel_hi:[0,1,1]
	s_delay_alu instid0(VALU_DEP_4) | instskip(SKIP_1) | instid1(VALU_DEP_3)
	v_dual_mov_b32 v33, v40 :: v_dual_lshlrev_b32 v40, 2, v39
	v_lshlrev_b32_e32 v38, 2, v7
	v_pk_fma_f32 v[14:15], v[74:75], v[30:31], v[14:15] op_sel_hi:[0,1,1]
	v_mov_b32_e32 v30, v41
	s_delay_alu instid0(VALU_DEP_2)
	v_pk_fma_f32 v[34:35], v[74:75], v[32:33], v[14:15] op_sel:[1,0,0]
	v_dual_mov_b32 v33, v41 :: v_dual_ashrrev_i32 v41, 31, v40
	v_ashrrev_i32_e32 v39, 31, v38
	global_load_b128 v[14:17], v[24:25], off offset:6144
	v_pk_fma_f32 v[34:35], v[76:77], v[30:31], v[34:35] op_sel_hi:[0,1,1]
	v_mov_b32_e32 v30, v50
	v_lshl_add_u64 v[94:95], v[40:41], 3, s[4:5]
	s_delay_alu instid0(VALU_DEP_3) | instskip(SKIP_1) | instid1(VALU_DEP_2)
	v_pk_fma_f32 v[34:35], v[88:89], v[32:33], v[34:35] op_sel_hi:[0,1,1]
	v_mov_b32_e32 v33, v50
	v_pk_fma_f32 v[34:35], v[78:79], v[30:31], v[34:35] op_sel_hi:[0,1,1]
	v_mov_b32_e32 v30, v62
	s_delay_alu instid0(VALU_DEP_2) | instskip(SKIP_1) | instid1(VALU_DEP_3)
	v_pk_fma_f32 v[92:93], v[78:79], v[32:33], v[34:35] op_sel:[1,0,0]
	v_mov_b32_e32 v33, v62
	v_pk_fma_f32 v[20:21], v[70:71], v[30:31], v[20:21] op_sel_hi:[0,1,1]
	v_mov_b32_e32 v30, v63
	global_load_b128 v[34:37], v[24:25], off offset:4112
	v_pk_fma_f32 v[20:21], v[70:71], v[32:33], v[20:21] op_sel:[1,0,0]
	v_mov_b32_e32 v33, v63
	v_lshl_add_u64 v[62:63], v[38:39], 3, s[4:5]
	s_delay_alu instid0(VALU_DEP_3) | instskip(SKIP_4) | instid1(VALU_DEP_2)
	v_pk_fma_f32 v[20:21], v[72:73], v[30:31], v[20:21] op_sel_hi:[0,1,1]
	v_mov_b32_e32 v30, v64
	global_load_b128 v[38:41], v[62:63], off
	v_pk_fma_f32 v[20:21], v[86:87], v[32:33], v[20:21] op_sel_hi:[0,1,1]
	v_mov_b32_e32 v33, v64
	v_pk_fma_f32 v[20:21], v[74:75], v[30:31], v[20:21] op_sel_hi:[0,1,1]
	v_mov_b32_e32 v30, v65
	s_delay_alu instid0(VALU_DEP_2) | instskip(SKIP_1) | instid1(VALU_DEP_2)
	v_pk_fma_f32 v[20:21], v[74:75], v[32:33], v[20:21] op_sel:[1,0,0]
	v_mov_b32_e32 v33, v65
	v_pk_fma_f32 v[20:21], v[76:77], v[30:31], v[20:21] op_sel_hi:[0,1,1]
	v_mov_b32_e32 v30, v46
	s_delay_alu instid0(VALU_DEP_2) | instskip(SKIP_1) | instid1(VALU_DEP_2)
	v_pk_fma_f32 v[20:21], v[88:89], v[32:33], v[20:21] op_sel_hi:[0,1,1]
	v_mov_b32_e32 v33, v46
	v_pk_fma_f32 v[20:21], v[78:79], v[30:31], v[20:21] op_sel_hi:[0,1,1]
	v_mov_b32_e32 v30, v58
	s_delay_alu instid0(VALU_DEP_2) | instskip(SKIP_1) | instid1(VALU_DEP_3)
	v_pk_fma_f32 v[96:97], v[78:79], v[32:33], v[20:21] op_sel:[1,0,0]
	v_mov_b32_e32 v33, v58
	v_pk_fma_f32 v[18:19], v[70:71], v[30:31], v[18:19] op_sel_hi:[0,1,1]
	v_mov_b32_e32 v30, v59
	s_delay_alu instid0(VALU_DEP_2) | instskip(SKIP_1) | instid1(VALU_DEP_2)
	v_pk_fma_f32 v[18:19], v[70:71], v[32:33], v[18:19] op_sel:[1,0,0]
	v_mov_b32_e32 v33, v59
	v_pk_fma_f32 v[18:19], v[72:73], v[30:31], v[18:19] op_sel_hi:[0,1,1]
	v_mov_b32_e32 v30, v60
	global_load_b128 v[70:73], v[94:95], off offset:16
	v_pk_fma_f32 v[18:19], v[86:87], v[32:33], v[18:19] op_sel_hi:[0,1,1]
	v_mov_b32_e32 v33, v60
	s_delay_alu instid0(VALU_DEP_2) | instskip(SKIP_1) | instid1(VALU_DEP_2)
	v_pk_fma_f32 v[18:19], v[74:75], v[30:31], v[18:19] op_sel_hi:[0,1,1]
	v_mov_b32_e32 v30, v61
	v_pk_fma_f32 v[18:19], v[74:75], v[32:33], v[18:19] op_sel:[1,0,0]
	v_mov_b32_e32 v33, v61
	s_clause 0x1
	global_load_b128 v[58:61], v[94:95], off
	global_load_b128 v[62:65], v[62:63], off offset:16
	v_mov_b32_e32 v74, v81
	v_pk_fma_f32 v[18:19], v[76:77], v[30:31], v[18:19] op_sel_hi:[0,1,1]
	s_wait_loadcnt 0x6
	v_dual_mov_b32 v30, v42 :: v_dual_mov_b32 v76, v85
	s_delay_alu instid0(VALU_DEP_2) | instskip(SKIP_1) | instid1(VALU_DEP_2)
	v_pk_fma_f32 v[18:19], v[88:89], v[32:33], v[18:19] op_sel_hi:[0,1,1]
	v_mov_b32_e32 v33, v42
	v_pk_fma_f32 v[18:19], v[78:79], v[30:31], v[18:19] op_sel_hi:[0,1,1]
	v_mov_b32_e32 v30, v55
	s_delay_alu instid0(VALU_DEP_2) | instskip(SKIP_1) | instid1(VALU_DEP_3)
	v_pk_fma_f32 v[78:79], v[78:79], v[32:33], v[18:19] op_sel:[1,0,0]
	v_mov_b32_e32 v33, v55
	v_pk_fma_f32 v[18:19], v[80:81], v[30:31], v[90:91] op_sel_hi:[0,1,1]
	v_mov_b32_e32 v30, v56
	s_delay_alu instid0(VALU_DEP_2) | instskip(SKIP_1) | instid1(VALU_DEP_2)
	v_pk_fma_f32 v[18:19], v[74:75], v[32:33], v[18:19] op_sel_hi:[0,1,1]
	v_mov_b32_e32 v33, v56
	v_pk_fma_f32 v[18:19], v[82:83], v[30:31], v[18:19] op_sel_hi:[0,1,1]
	v_mov_b32_e32 v30, v57
	s_delay_alu instid0(VALU_DEP_2) | instskip(SKIP_1) | instid1(VALU_DEP_2)
	v_pk_fma_f32 v[18:19], v[82:83], v[32:33], v[18:19] op_sel:[1,0,0]
	v_mov_b32_e32 v33, v57
	v_pk_fma_f32 v[18:19], v[84:85], v[30:31], v[18:19] op_sel_hi:[0,1,1]
	v_mov_b32_e32 v30, v66
	s_delay_alu instid0(VALU_DEP_2) | instskip(SKIP_2) | instid1(VALU_DEP_2)
	v_pk_fma_f32 v[18:19], v[76:77], v[32:33], v[18:19] op_sel_hi:[0,1,1]
	s_wait_loadcnt 0x3
	v_dual_mov_b32 v33, v66 :: v_dual_mov_b32 v42, v41
	v_pk_fma_f32 v[18:19], v[38:39], v[30:31], v[18:19] op_sel_hi:[0,1,1]
	v_mov_b32_e32 v30, v67
	s_delay_alu instid0(VALU_DEP_2) | instskip(SKIP_1) | instid1(VALU_DEP_2)
	v_pk_fma_f32 v[18:19], v[38:39], v[32:33], v[18:19] op_sel:[1,0,0]
	v_mov_b32_e32 v33, v67
	v_pk_fma_f32 v[18:19], v[40:41], v[30:31], v[18:19] op_sel_hi:[0,1,1]
	v_mov_b32_e32 v30, v68
	s_delay_alu instid0(VALU_DEP_2)
	v_pk_fma_f32 v[18:19], v[42:43], v[32:33], v[18:19] op_sel_hi:[0,1,1]
	s_wait_loadcnt 0x2
	v_dual_mov_b32 v33, v68 :: v_dual_mov_b32 v86, v73
	s_wait_loadcnt 0x1
	v_mov_b32_e32 v68, v61
	s_wait_loadcnt 0x0
	v_pk_fma_f32 v[18:19], v[30:31], v[62:63], v[18:19] op_sel_hi:[1,0,1]
	v_dual_mov_b32 v30, v69 :: v_dual_mov_b32 v66, v65
	s_delay_alu instid0(VALU_DEP_2) | instskip(SKIP_4) | instid1(VALU_DEP_2)
	v_pk_fma_f32 v[54:55], v[62:63], v[32:33], v[18:19] op_sel:[1,0,0]
	global_load_b128 v[18:21], v[24:25], off offset:6160
	v_mov_b32_e32 v33, v69
	v_pk_fma_f32 v[54:55], v[64:65], v[30:31], v[54:55] op_sel_hi:[0,1,1]
	v_mov_b32_e32 v30, v14
	v_pk_fma_f32 v[54:55], v[66:67], v[32:33], v[54:55] op_sel_hi:[0,1,1]
	v_mov_b32_e32 v33, v14
	s_delay_alu instid0(VALU_DEP_2) | instskip(SKIP_1) | instid1(VALU_DEP_2)
	v_pk_fma_f32 v[54:55], v[58:59], v[30:31], v[54:55] op_sel_hi:[0,1,1]
	v_mov_b32_e32 v30, v15
	v_pk_fma_f32 v[54:55], v[58:59], v[32:33], v[54:55] op_sel:[1,0,0]
	v_mov_b32_e32 v33, v15
	s_delay_alu instid0(VALU_DEP_2) | instskip(SKIP_4) | instid1(VALU_DEP_2)
	v_pk_fma_f32 v[14:15], v[60:61], v[30:31], v[54:55] op_sel_hi:[0,1,1]
	v_mov_b32_e32 v30, v16
	global_load_b128 v[54:57], v[24:25], off offset:4144
	v_pk_fma_f32 v[14:15], v[68:69], v[32:33], v[14:15] op_sel_hi:[0,1,1]
	v_mov_b32_e32 v33, v16
	v_pk_fma_f32 v[14:15], v[70:71], v[30:31], v[14:15] op_sel_hi:[0,1,1]
	v_mov_b32_e32 v30, v17
	s_delay_alu instid0(VALU_DEP_2) | instskip(SKIP_1) | instid1(VALU_DEP_2)
	v_pk_fma_f32 v[14:15], v[70:71], v[32:33], v[14:15] op_sel:[1,0,0]
	v_mov_b32_e32 v33, v17
	v_pk_fma_f32 v[14:15], v[72:73], v[30:31], v[14:15] op_sel_hi:[0,1,1]
	v_mov_b32_e32 v30, v51
	s_delay_alu instid0(VALU_DEP_2) | instskip(SKIP_1) | instid1(VALU_DEP_3)
	v_pk_fma_f32 v[14:15], v[86:87], v[32:33], v[14:15] op_sel_hi:[0,1,1]
	v_mov_b32_e32 v33, v51
	v_pk_fma_f32 v[16:17], v[80:81], v[30:31], v[92:93] op_sel_hi:[0,1,1]
	v_mov_b32_e32 v30, v52
	s_delay_alu instid0(VALU_DEP_2) | instskip(SKIP_1) | instid1(VALU_DEP_2)
	v_pk_fma_f32 v[16:17], v[74:75], v[32:33], v[16:17] op_sel_hi:[0,1,1]
	v_mov_b32_e32 v33, v52
	v_pk_fma_f32 v[16:17], v[82:83], v[30:31], v[16:17] op_sel_hi:[0,1,1]
	v_mov_b32_e32 v30, v53
	s_delay_alu instid0(VALU_DEP_2) | instskip(SKIP_4) | instid1(VALU_DEP_2)
	v_pk_fma_f32 v[16:17], v[82:83], v[32:33], v[16:17] op_sel:[1,0,0]
	v_mov_b32_e32 v33, v53
	global_load_b128 v[50:53], v[24:25], off offset:4128
	v_pk_fma_f32 v[16:17], v[84:85], v[30:31], v[16:17] op_sel_hi:[0,1,1]
	v_mov_b32_e32 v30, v34
	v_pk_fma_f32 v[16:17], v[76:77], v[32:33], v[16:17] op_sel_hi:[0,1,1]
	v_mov_b32_e32 v33, v34
	s_delay_alu instid0(VALU_DEP_2) | instskip(SKIP_1) | instid1(VALU_DEP_2)
	v_pk_fma_f32 v[16:17], v[38:39], v[30:31], v[16:17] op_sel_hi:[0,1,1]
	v_mov_b32_e32 v30, v35
	v_pk_fma_f32 v[16:17], v[38:39], v[32:33], v[16:17] op_sel:[1,0,0]
	v_mov_b32_e32 v33, v35
	s_delay_alu instid0(VALU_DEP_2) | instskip(SKIP_1) | instid1(VALU_DEP_2)
	v_pk_fma_f32 v[16:17], v[40:41], v[30:31], v[16:17] op_sel_hi:[0,1,1]
	v_mov_b32_e32 v30, v36
	v_pk_fma_f32 v[16:17], v[42:43], v[32:33], v[16:17] op_sel_hi:[0,1,1]
	v_mov_b32_e32 v33, v36
	s_delay_alu instid0(VALU_DEP_2) | instskip(SKIP_1) | instid1(VALU_DEP_2)
	v_pk_fma_f32 v[16:17], v[30:31], v[62:63], v[16:17] op_sel_hi:[1,0,1]
	v_mov_b32_e32 v30, v37
	v_pk_fma_f32 v[16:17], v[62:63], v[32:33], v[16:17] op_sel:[1,0,0]
	v_mov_b32_e32 v33, v37
	global_load_b128 v[34:37], v[24:25], off offset:6176
	v_pk_fma_f32 v[16:17], v[64:65], v[30:31], v[16:17] op_sel_hi:[0,1,1]
	s_delay_alu instid0(VALU_DEP_1) | instskip(SKIP_2) | instid1(VALU_DEP_1)
	v_pk_fma_f32 v[16:17], v[66:67], v[32:33], v[16:17] op_sel_hi:[0,1,1]
	s_wait_loadcnt 0x3
	v_dual_mov_b32 v30, v18 :: v_dual_mov_b32 v33, v18
	v_pk_fma_f32 v[16:17], v[58:59], v[30:31], v[16:17] op_sel_hi:[0,1,1]
	v_mov_b32_e32 v30, v19
	s_delay_alu instid0(VALU_DEP_2) | instskip(SKIP_1) | instid1(VALU_DEP_2)
	v_pk_fma_f32 v[16:17], v[58:59], v[32:33], v[16:17] op_sel:[1,0,0]
	v_mov_b32_e32 v33, v19
	v_pk_fma_f32 v[16:17], v[60:61], v[30:31], v[16:17] op_sel_hi:[0,1,1]
	v_mov_b32_e32 v30, v20
	s_delay_alu instid0(VALU_DEP_2) | instskip(SKIP_1) | instid1(VALU_DEP_2)
	v_pk_fma_f32 v[16:17], v[68:69], v[32:33], v[16:17] op_sel_hi:[0,1,1]
	v_mov_b32_e32 v33, v20
	v_pk_fma_f32 v[16:17], v[70:71], v[30:31], v[16:17] op_sel_hi:[0,1,1]
	v_mov_b32_e32 v30, v21
	s_delay_alu instid0(VALU_DEP_2) | instskip(SKIP_1) | instid1(VALU_DEP_2)
	v_pk_fma_f32 v[16:17], v[70:71], v[32:33], v[16:17] op_sel:[1,0,0]
	v_mov_b32_e32 v33, v21
	v_pk_fma_f32 v[16:17], v[72:73], v[30:31], v[16:17] op_sel_hi:[0,1,1]
	v_mov_b32_e32 v30, v47
	s_delay_alu instid0(VALU_DEP_2) | instskip(SKIP_1) | instid1(VALU_DEP_3)
	v_pk_fma_f32 v[16:17], v[86:87], v[32:33], v[16:17] op_sel_hi:[0,1,1]
	v_mov_b32_e32 v33, v47
	v_pk_fma_f32 v[18:19], v[80:81], v[30:31], v[96:97] op_sel_hi:[0,1,1]
	v_mov_b32_e32 v30, v48
	s_delay_alu instid0(VALU_DEP_2) | instskip(SKIP_1) | instid1(VALU_DEP_2)
	v_pk_fma_f32 v[18:19], v[74:75], v[32:33], v[18:19] op_sel_hi:[0,1,1]
	v_mov_b32_e32 v33, v48
	v_pk_fma_f32 v[18:19], v[82:83], v[30:31], v[18:19] op_sel_hi:[0,1,1]
	v_mov_b32_e32 v30, v49
	s_delay_alu instid0(VALU_DEP_2)
	v_pk_fma_f32 v[18:19], v[82:83], v[32:33], v[18:19] op_sel:[1,0,0]
	v_mov_b32_e32 v33, v49
	global_load_b128 v[46:49], v[24:25], off offset:6192
	s_wait_xcnt 0x0
	v_add_nc_u64_e32 v[24:25], 0x2000, v[24:25]
	v_pk_fma_f32 v[18:19], v[84:85], v[30:31], v[18:19] op_sel_hi:[0,1,1]
	s_delay_alu instid0(VALU_DEP_1) | instskip(SKIP_2) | instid1(VALU_DEP_1)
	v_pk_fma_f32 v[18:19], v[76:77], v[32:33], v[18:19] op_sel_hi:[0,1,1]
	s_wait_loadcnt 0x2
	v_dual_mov_b32 v30, v50 :: v_dual_mov_b32 v33, v50
	v_pk_fma_f32 v[18:19], v[38:39], v[30:31], v[18:19] op_sel_hi:[0,1,1]
	v_mov_b32_e32 v30, v51
	s_delay_alu instid0(VALU_DEP_2) | instskip(SKIP_1) | instid1(VALU_DEP_2)
	v_pk_fma_f32 v[18:19], v[38:39], v[32:33], v[18:19] op_sel:[1,0,0]
	v_mov_b32_e32 v33, v51
	v_pk_fma_f32 v[18:19], v[40:41], v[30:31], v[18:19] op_sel_hi:[0,1,1]
	v_mov_b32_e32 v30, v52
	s_delay_alu instid0(VALU_DEP_2) | instskip(SKIP_1) | instid1(VALU_DEP_2)
	v_pk_fma_f32 v[18:19], v[42:43], v[32:33], v[18:19] op_sel_hi:[0,1,1]
	v_mov_b32_e32 v33, v52
	v_pk_fma_f32 v[18:19], v[30:31], v[62:63], v[18:19] op_sel_hi:[1,0,1]
	v_mov_b32_e32 v30, v53
	s_delay_alu instid0(VALU_DEP_2) | instskip(SKIP_1) | instid1(VALU_DEP_2)
	v_pk_fma_f32 v[18:19], v[62:63], v[32:33], v[18:19] op_sel:[1,0,0]
	v_mov_b32_e32 v33, v53
	v_pk_fma_f32 v[18:19], v[64:65], v[30:31], v[18:19] op_sel_hi:[0,1,1]
	s_wait_loadcnt 0x1
	v_mov_b32_e32 v30, v34
	s_delay_alu instid0(VALU_DEP_2) | instskip(SKIP_1) | instid1(VALU_DEP_2)
	v_pk_fma_f32 v[18:19], v[66:67], v[32:33], v[18:19] op_sel_hi:[0,1,1]
	v_mov_b32_e32 v33, v34
	v_pk_fma_f32 v[18:19], v[58:59], v[30:31], v[18:19] op_sel_hi:[0,1,1]
	v_mov_b32_e32 v30, v35
	s_delay_alu instid0(VALU_DEP_2) | instskip(SKIP_1) | instid1(VALU_DEP_2)
	v_pk_fma_f32 v[18:19], v[58:59], v[32:33], v[18:19] op_sel:[1,0,0]
	v_mov_b32_e32 v33, v35
	v_pk_fma_f32 v[18:19], v[60:61], v[30:31], v[18:19] op_sel_hi:[0,1,1]
	v_mov_b32_e32 v30, v36
	s_delay_alu instid0(VALU_DEP_2) | instskip(SKIP_1) | instid1(VALU_DEP_2)
	v_pk_fma_f32 v[18:19], v[68:69], v[32:33], v[18:19] op_sel_hi:[0,1,1]
	v_mov_b32_e32 v33, v36
	v_pk_fma_f32 v[18:19], v[70:71], v[30:31], v[18:19] op_sel_hi:[0,1,1]
	v_mov_b32_e32 v30, v37
	s_delay_alu instid0(VALU_DEP_2) | instskip(SKIP_1) | instid1(VALU_DEP_2)
	v_pk_fma_f32 v[18:19], v[70:71], v[32:33], v[18:19] op_sel:[1,0,0]
	v_mov_b32_e32 v33, v37
	v_pk_fma_f32 v[18:19], v[72:73], v[30:31], v[18:19] op_sel_hi:[0,1,1]
	v_mov_b32_e32 v30, v43
	s_delay_alu instid0(VALU_DEP_2) | instskip(SKIP_1) | instid1(VALU_DEP_3)
	v_pk_fma_f32 v[20:21], v[86:87], v[32:33], v[18:19] op_sel_hi:[0,1,1]
	v_mov_b32_e32 v33, v43
	v_pk_fma_f32 v[18:19], v[80:81], v[30:31], v[78:79] op_sel_hi:[0,1,1]
	v_mov_b32_e32 v30, v44
	s_delay_alu instid0(VALU_DEP_2) | instskip(SKIP_1) | instid1(VALU_DEP_2)
	v_pk_fma_f32 v[18:19], v[74:75], v[32:33], v[18:19] op_sel_hi:[0,1,1]
	v_mov_b32_e32 v33, v44
	v_pk_fma_f32 v[18:19], v[82:83], v[30:31], v[18:19] op_sel_hi:[0,1,1]
	v_mov_b32_e32 v30, v45
	s_delay_alu instid0(VALU_DEP_2) | instskip(SKIP_1) | instid1(VALU_DEP_2)
	v_pk_fma_f32 v[18:19], v[82:83], v[32:33], v[18:19] op_sel:[1,0,0]
	v_mov_b32_e32 v33, v45
	v_pk_fma_f32 v[18:19], v[84:85], v[30:31], v[18:19] op_sel_hi:[0,1,1]
	v_mov_b32_e32 v30, v54
	s_delay_alu instid0(VALU_DEP_2) | instskip(SKIP_1) | instid1(VALU_DEP_2)
	v_pk_fma_f32 v[18:19], v[76:77], v[32:33], v[18:19] op_sel_hi:[0,1,1]
	v_mov_b32_e32 v33, v54
	v_pk_fma_f32 v[18:19], v[38:39], v[30:31], v[18:19] op_sel_hi:[0,1,1]
	v_mov_b32_e32 v30, v55
	s_delay_alu instid0(VALU_DEP_2) | instskip(SKIP_1) | instid1(VALU_DEP_2)
	v_pk_fma_f32 v[18:19], v[38:39], v[32:33], v[18:19] op_sel:[1,0,0]
	;; [unrolled: 10-line block ×3, first 2 shown]
	v_mov_b32_e32 v33, v57
	v_pk_fma_f32 v[18:19], v[64:65], v[30:31], v[18:19] op_sel_hi:[0,1,1]
	s_delay_alu instid0(VALU_DEP_1) | instskip(SKIP_2) | instid1(VALU_DEP_1)
	v_pk_fma_f32 v[18:19], v[66:67], v[32:33], v[18:19] op_sel_hi:[0,1,1]
	s_wait_loadcnt 0x0
	v_dual_mov_b32 v30, v46 :: v_dual_mov_b32 v33, v46
	v_pk_fma_f32 v[18:19], v[58:59], v[30:31], v[18:19] op_sel_hi:[0,1,1]
	v_mov_b32_e32 v30, v47
	s_delay_alu instid0(VALU_DEP_2) | instskip(SKIP_1) | instid1(VALU_DEP_2)
	v_pk_fma_f32 v[18:19], v[58:59], v[32:33], v[18:19] op_sel:[1,0,0]
	v_mov_b32_e32 v33, v47
	v_pk_fma_f32 v[18:19], v[60:61], v[30:31], v[18:19] op_sel_hi:[0,1,1]
	v_mov_b32_e32 v30, v48
	s_delay_alu instid0(VALU_DEP_2) | instskip(SKIP_1) | instid1(VALU_DEP_2)
	v_pk_fma_f32 v[18:19], v[68:69], v[32:33], v[18:19] op_sel_hi:[0,1,1]
	v_mov_b32_e32 v33, v48
	v_pk_fma_f32 v[18:19], v[70:71], v[30:31], v[18:19] op_sel_hi:[0,1,1]
	v_mov_b32_e32 v30, v49
	s_delay_alu instid0(VALU_DEP_2) | instskip(SKIP_1) | instid1(VALU_DEP_2)
	v_pk_fma_f32 v[18:19], v[70:71], v[32:33], v[18:19] op_sel:[1,0,0]
	v_mov_b32_e32 v33, v49
	v_pk_fma_f32 v[18:19], v[72:73], v[30:31], v[18:19] op_sel_hi:[0,1,1]
	s_delay_alu instid0(VALU_DEP_1)
	v_pk_fma_f32 v[18:19], v[86:87], v[32:33], v[18:19] op_sel_hi:[0,1,1]
	s_and_not1_b32 exec_lo, exec_lo, s10
	s_cbranch_execnz .LBB128_17
; %bb.18:
	s_or_b32 exec_lo, exec_lo, s10
.LBB128_19:
	s_delay_alu instid0(SALU_CYCLE_1)
	s_or_b32 exec_lo, exec_lo, s7
.LBB128_20:
	s_delay_alu instid0(SALU_CYCLE_1)
	s_or_b32 exec_lo, exec_lo, s6
	s_cbranch_execz .LBB128_22
	s_branch .LBB128_33
.LBB128_21:
                                        ; implicit-def: $vgpr15
                                        ; implicit-def: $vgpr17
                                        ; implicit-def: $vgpr21
                                        ; implicit-def: $vgpr19
.LBB128_22:
	v_dual_mov_b32 v15, 0 :: v_dual_mov_b32 v14, 0
	v_dual_mov_b32 v17, 0 :: v_dual_mov_b32 v16, 0
	;; [unrolled: 1-line block ×4, first 2 shown]
	s_and_saveexec_b32 s6, s3
	s_cbranch_execz .LBB128_32
; %bb.23:
	v_dual_mov_b32 v15, v1 :: v_dual_bitop2_b32 v14, 32, v0 bitop3:0x54
	v_sub_nc_u64_e32 v[16:17], s[12:13], v[0:1]
	v_not_b32_e32 v19, v23
	v_not_b32_e32 v18, v22
	s_delay_alu instid0(VALU_DEP_4) | instskip(NEXT) | instid1(VALU_DEP_2)
	v_sub_nc_u64_e64 v[14:15], v[14:15], s[12:13]
	v_add_nc_u64_e32 v[16:17], v[16:17], v[18:19]
	v_mov_b32_e32 v19, 0
	s_delay_alu instid0(VALU_DEP_3) | instskip(NEXT) | instid1(VALU_DEP_2)
	v_add_nc_u64_e32 v[14:15], v[14:15], v[22:23]
	v_dual_mov_b32 v20, v19 :: v_dual_mov_b32 v21, v19
	s_delay_alu instid0(VALU_DEP_2) | instskip(NEXT) | instid1(VALU_DEP_1)
	v_max_i64 v[14:15], v[14:15], v[10:11]
	v_add_nc_u64_e32 v[22:23], v[16:17], v[14:15]
	v_dual_mov_b32 v16, v19 :: v_dual_mov_b32 v17, v19
	v_dual_mov_b32 v14, v19 :: v_dual_mov_b32 v15, v19
	s_delay_alu instid0(VALU_DEP_3) | instskip(NEXT) | instid1(VALU_DEP_1)
	v_and_b32_e32 v18, 0x60, v22
	v_cmp_ne_u64_e32 vcc_lo, 0x60, v[18:19]
	v_mov_b32_e32 v18, v19
	s_and_saveexec_b32 s3, vcc_lo
	s_cbranch_execz .LBB128_27
; %bb.24:
	v_dual_lshrrev_b32 v1, 5, v22 :: v_dual_mov_b32 v25, 0
	v_lshl_add_u64 v[26:27], v[8:9], 2, s[8:9]
	v_bfrev_b32_e32 v28, 1
	s_mov_b32 s7, 0
	s_delay_alu instid0(VALU_DEP_3) | instskip(SKIP_2) | instid1(VALU_DEP_3)
	v_dual_mov_b32 v18, v25 :: v_dual_add_nc_u32 v1, 1, v1
	v_dual_mov_b32 v20, v25 :: v_dual_mov_b32 v21, v25
	v_dual_mov_b32 v16, v25 :: v_dual_mov_b32 v17, v25
	v_dual_mov_b32 v19, v25 :: v_dual_bitop2_b32 v24, 3, v1 bitop3:0x40
	v_dual_mov_b32 v14, v25 :: v_dual_mov_b32 v15, v25
	s_delay_alu instid0(VALU_DEP_2)
	v_sub_nc_u64_e32 v[30:31], 0, v[24:25]
.LBB128_25:                             ; =>This Inner Loop Header: Depth=1
	global_load_b32 v1, v[26:27], off
	s_clause 0x1
	global_load_b128 v[32:35], v[12:13], off offset:16
	global_load_b128 v[36:39], v[12:13], off
	v_add_nc_u64_e32 v[30:31], 1, v[30:31]
	v_add_nc_u64_e32 v[8:9], 32, v[8:9]
	s_wait_xcnt 0x2
	v_add_nc_u64_e32 v[26:27], 0x80, v[26:27]
	s_delay_alu instid0(VALU_DEP_3)
	v_cmp_eq_u64_e32 vcc_lo, 0, v[30:31]
	s_or_b32 s7, vcc_lo, s7
	s_wait_loadcnt 0x2
	v_subrev_nc_u32_e32 v1, s12, v1
	s_wait_loadcnt 0x0
	v_dual_mov_b32 v24, v36 :: v_dual_mov_b32 v29, v36
	s_delay_alu instid0(VALU_DEP_2) | instskip(NEXT) | instid1(VALU_DEP_1)
	v_lshlrev_b32_e32 v40, 2, v1
	v_ashrrev_i32_e32 v41, 31, v40
	s_wait_kmcnt 0x0
	s_delay_alu instid0(VALU_DEP_1)
	v_lshl_add_u64 v[56:57], v[40:41], 3, s[4:5]
	s_clause 0x1
	global_load_b128 v[40:43], v[56:57], off
	global_load_b128 v[44:47], v[56:57], off offset:16
	s_clause 0x1
	global_load_b128 v[48:51], v[12:13], off offset:32
	global_load_b128 v[52:55], v[12:13], off offset:48
	s_wait_xcnt 0x0
	v_add_nc_u64_e32 v[12:13], 0x800, v[12:13]
	s_wait_loadcnt 0x3
	v_pk_fma_f32 v[14:15], v[40:41], v[24:25], v[14:15] op_sel_hi:[0,1,1]
	v_dual_mov_b32 v24, v32 :: v_dual_mov_b32 v36, v43
	s_wait_loadcnt 0x2
	v_mov_b32_e32 v56, v47
	s_delay_alu instid0(VALU_DEP_3) | instskip(SKIP_1) | instid1(VALU_DEP_2)
	v_pk_fma_f32 v[14:15], v[40:41], v[28:29], v[14:15] op_sel:[1,0,0]
	v_mov_b32_e32 v29, v32
	v_pk_fma_f32 v[14:15], v[42:43], v[24:25], v[14:15] op_sel_hi:[0,1,1]
	s_wait_loadcnt 0x1
	v_mov_b32_e32 v24, v48
	s_delay_alu instid0(VALU_DEP_2) | instskip(SKIP_1) | instid1(VALU_DEP_2)
	v_pk_fma_f32 v[14:15], v[36:37], v[28:29], v[14:15] op_sel_hi:[0,1,1]
	v_mov_b32_e32 v29, v48
	v_pk_fma_f32 v[14:15], v[44:45], v[24:25], v[14:15] op_sel_hi:[0,1,1]
	s_wait_loadcnt 0x0
	v_mov_b32_e32 v24, v52
	s_delay_alu instid0(VALU_DEP_2) | instskip(SKIP_1) | instid1(VALU_DEP_2)
	v_pk_fma_f32 v[14:15], v[44:45], v[28:29], v[14:15] op_sel:[1,0,0]
	v_mov_b32_e32 v29, v52
	v_pk_fma_f32 v[14:15], v[46:47], v[24:25], v[14:15] op_sel_hi:[0,1,1]
	v_mov_b32_e32 v24, v37
	s_delay_alu instid0(VALU_DEP_2) | instskip(SKIP_1) | instid1(VALU_DEP_3)
	v_pk_fma_f32 v[14:15], v[56:57], v[28:29], v[14:15] op_sel_hi:[0,1,1]
	v_mov_b32_e32 v29, v37
	v_pk_fma_f32 v[16:17], v[40:41], v[24:25], v[16:17] op_sel_hi:[0,1,1]
	v_mov_b32_e32 v24, v33
	s_delay_alu instid0(VALU_DEP_2) | instskip(SKIP_1) | instid1(VALU_DEP_2)
	v_pk_fma_f32 v[16:17], v[40:41], v[28:29], v[16:17] op_sel:[1,0,0]
	v_mov_b32_e32 v29, v33
	v_pk_fma_f32 v[16:17], v[42:43], v[24:25], v[16:17] op_sel_hi:[0,1,1]
	v_mov_b32_e32 v24, v49
	s_delay_alu instid0(VALU_DEP_2) | instskip(SKIP_1) | instid1(VALU_DEP_2)
	v_pk_fma_f32 v[16:17], v[36:37], v[28:29], v[16:17] op_sel_hi:[0,1,1]
	v_mov_b32_e32 v29, v49
	v_pk_fma_f32 v[16:17], v[44:45], v[24:25], v[16:17] op_sel_hi:[0,1,1]
	v_mov_b32_e32 v24, v53
	s_delay_alu instid0(VALU_DEP_2) | instskip(SKIP_1) | instid1(VALU_DEP_2)
	v_pk_fma_f32 v[16:17], v[44:45], v[28:29], v[16:17] op_sel:[1,0,0]
	v_mov_b32_e32 v29, v53
	v_pk_fma_f32 v[16:17], v[46:47], v[24:25], v[16:17] op_sel_hi:[0,1,1]
	v_mov_b32_e32 v24, v38
	s_delay_alu instid0(VALU_DEP_2) | instskip(SKIP_1) | instid1(VALU_DEP_3)
	v_pk_fma_f32 v[16:17], v[56:57], v[28:29], v[16:17] op_sel_hi:[0,1,1]
	v_mov_b32_e32 v29, v38
	v_pk_fma_f32 v[20:21], v[40:41], v[24:25], v[20:21] op_sel_hi:[0,1,1]
	v_mov_b32_e32 v24, v34
	s_delay_alu instid0(VALU_DEP_2) | instskip(SKIP_1) | instid1(VALU_DEP_2)
	v_pk_fma_f32 v[20:21], v[40:41], v[28:29], v[20:21] op_sel:[1,0,0]
	v_mov_b32_e32 v29, v34
	v_pk_fma_f32 v[20:21], v[42:43], v[24:25], v[20:21] op_sel_hi:[0,1,1]
	v_mov_b32_e32 v24, v50
	s_delay_alu instid0(VALU_DEP_2) | instskip(SKIP_1) | instid1(VALU_DEP_2)
	v_pk_fma_f32 v[20:21], v[36:37], v[28:29], v[20:21] op_sel_hi:[0,1,1]
	v_mov_b32_e32 v29, v50
	v_pk_fma_f32 v[20:21], v[44:45], v[24:25], v[20:21] op_sel_hi:[0,1,1]
	;; [unrolled: 20-line block ×3, first 2 shown]
	v_mov_b32_e32 v24, v55
	s_delay_alu instid0(VALU_DEP_2) | instskip(SKIP_1) | instid1(VALU_DEP_2)
	v_pk_fma_f32 v[18:19], v[44:45], v[28:29], v[18:19] op_sel:[1,0,0]
	v_mov_b32_e32 v29, v55
	v_pk_fma_f32 v[18:19], v[46:47], v[24:25], v[18:19] op_sel_hi:[0,1,1]
	s_delay_alu instid0(VALU_DEP_1)
	v_pk_fma_f32 v[18:19], v[56:57], v[28:29], v[18:19] op_sel_hi:[0,1,1]
	s_and_not1_b32 exec_lo, exec_lo, s7
	s_cbranch_execnz .LBB128_25
; %bb.26:
	s_or_b32 exec_lo, exec_lo, s7
.LBB128_27:
	s_delay_alu instid0(SALU_CYCLE_1) | instskip(NEXT) | instid1(SALU_CYCLE_1)
	s_or_b32 exec_lo, exec_lo, s3
	s_mov_b32 s3, exec_lo
	v_cmpx_lt_u64_e32 0x5f, v[22:23]
	s_cbranch_execz .LBB128_31
; %bb.28:
	v_lshl_add_u64 v[22:23], v[8:9], 2, s[8:9]
	v_mov_b32_e32 v25, 0
	v_bfrev_b32_e32 v26, 1
	s_mov_b32 s7, 0
	s_delay_alu instid0(VALU_DEP_3)
	v_add_nc_u64_e32 v[22:23], 0x100, v[22:23]
.LBB128_29:                             ; =>This Inner Loop Header: Depth=1
	s_clause 0x1
	global_load_b32 v1, v[22:23], off offset:-256
	global_load_b32 v7, v[22:23], off offset:-128
	s_clause 0x3
	global_load_b128 v[28:31], v[12:13], off
	global_load_b128 v[32:35], v[12:13], off offset:16
	global_load_b128 v[36:39], v[12:13], off offset:48
	;; [unrolled: 1-line block ×3, first 2 shown]
	s_clause 0x1
	global_load_b32 v84, v[22:23], off
	global_load_b32 v85, v[22:23], off offset:128
	s_clause 0x3
	global_load_b128 v[44:47], v[12:13], off offset:2048
	global_load_b128 v[48:51], v[12:13], off offset:2064
	;; [unrolled: 1-line block ×4, first 2 shown]
	v_add_nc_u64_e32 v[8:9], 0x80, v[8:9]
	s_wait_xcnt 0x4
	v_add_nc_u64_e32 v[22:23], 0x200, v[22:23]
	s_delay_alu instid0(VALU_DEP_2)
	v_cmp_ge_i64_e32 vcc_lo, v[8:9], v[10:11]
	s_or_b32 s7, vcc_lo, s7
	s_wait_loadcnt 0xb
	v_subrev_nc_u32_e32 v1, s12, v1
	s_wait_loadcnt 0xa
	v_subrev_nc_u32_e32 v7, s12, v7
	s_wait_loadcnt 0x9
	v_dual_mov_b32 v24, v28 :: v_dual_mov_b32 v27, v28
	s_delay_alu instid0(VALU_DEP_2) | instskip(SKIP_2) | instid1(VALU_DEP_2)
	v_dual_lshlrev_b32 v60, 2, v1 :: v_dual_lshlrev_b32 v62, 2, v7
	s_wait_loadcnt 0x5
	v_subrev_nc_u32_e32 v1, s12, v84
	v_dual_ashrrev_i32 v61, 31, v60 :: v_dual_ashrrev_i32 v63, 31, v62
	s_wait_kmcnt 0x0
	s_delay_alu instid0(VALU_DEP_1) | instskip(NEXT) | instid1(VALU_DEP_2)
	v_lshl_add_u64 v[76:77], v[60:61], 3, s[4:5]
	v_lshl_add_u64 v[78:79], v[62:63], 3, s[4:5]
	s_clause 0x3
	global_load_b128 v[60:63], v[76:77], off
	global_load_b128 v[64:67], v[76:77], off offset:16
	global_load_b128 v[68:71], v[78:79], off
	global_load_b128 v[72:75], v[78:79], off offset:16
	s_wait_loadcnt 0x3
	v_pk_fma_f32 v[14:15], v[60:61], v[24:25], v[14:15] op_sel_hi:[0,1,1]
	s_wait_xcnt 0x2
	v_dual_mov_b32 v24, v32 :: v_dual_mov_b32 v76, v63
	s_wait_loadcnt 0x2
	s_wait_xcnt 0x0
	v_mov_b32_e32 v78, v67
	v_pk_fma_f32 v[14:15], v[60:61], v[26:27], v[14:15] op_sel:[1,0,0]
	v_mov_b32_e32 v27, v32
	s_delay_alu instid0(VALU_DEP_2) | instskip(SKIP_1) | instid1(VALU_DEP_2)
	v_pk_fma_f32 v[14:15], v[62:63], v[24:25], v[14:15] op_sel_hi:[0,1,1]
	v_mov_b32_e32 v24, v40
	v_pk_fma_f32 v[14:15], v[76:77], v[26:27], v[14:15] op_sel_hi:[0,1,1]
	v_mov_b32_e32 v27, v40
	s_delay_alu instid0(VALU_DEP_2) | instskip(SKIP_1) | instid1(VALU_DEP_2)
	v_pk_fma_f32 v[14:15], v[64:65], v[24:25], v[14:15] op_sel_hi:[0,1,1]
	v_mov_b32_e32 v24, v36
	v_pk_fma_f32 v[14:15], v[64:65], v[26:27], v[14:15] op_sel:[1,0,0]
	v_mov_b32_e32 v27, v36
	s_delay_alu instid0(VALU_DEP_2) | instskip(SKIP_1) | instid1(VALU_DEP_2)
	v_pk_fma_f32 v[14:15], v[66:67], v[24:25], v[14:15] op_sel_hi:[0,1,1]
	v_mov_b32_e32 v24, v44
	v_pk_fma_f32 v[14:15], v[78:79], v[26:27], v[14:15] op_sel_hi:[0,1,1]
	v_mov_b32_e32 v27, v44
	s_wait_loadcnt 0x1
	s_delay_alu instid0(VALU_DEP_2) | instskip(SKIP_1) | instid1(VALU_DEP_2)
	v_pk_fma_f32 v[14:15], v[68:69], v[24:25], v[14:15] op_sel_hi:[0,1,1]
	v_mov_b32_e32 v24, v29
	v_pk_fma_f32 v[80:81], v[68:69], v[26:27], v[14:15] op_sel:[1,0,0]
	v_mov_b32_e32 v27, v29
	s_delay_alu instid0(VALU_DEP_3) | instskip(SKIP_1) | instid1(VALU_DEP_2)
	v_pk_fma_f32 v[14:15], v[60:61], v[24:25], v[16:17] op_sel_hi:[0,1,1]
	v_mov_b32_e32 v24, v33
	v_pk_fma_f32 v[14:15], v[60:61], v[26:27], v[14:15] op_sel:[1,0,0]
	v_mov_b32_e32 v27, v33
	s_delay_alu instid0(VALU_DEP_2) | instskip(SKIP_1) | instid1(VALU_DEP_2)
	v_pk_fma_f32 v[14:15], v[62:63], v[24:25], v[14:15] op_sel_hi:[0,1,1]
	v_mov_b32_e32 v24, v41
	v_pk_fma_f32 v[14:15], v[76:77], v[26:27], v[14:15] op_sel_hi:[0,1,1]
	v_mov_b32_e32 v27, v41
	s_delay_alu instid0(VALU_DEP_2) | instskip(SKIP_1) | instid1(VALU_DEP_2)
	v_pk_fma_f32 v[14:15], v[64:65], v[24:25], v[14:15] op_sel_hi:[0,1,1]
	v_mov_b32_e32 v24, v37
	v_pk_fma_f32 v[14:15], v[64:65], v[26:27], v[14:15] op_sel:[1,0,0]
	v_mov_b32_e32 v27, v37
	s_delay_alu instid0(VALU_DEP_2) | instskip(SKIP_1) | instid1(VALU_DEP_2)
	v_pk_fma_f32 v[14:15], v[66:67], v[24:25], v[14:15] op_sel_hi:[0,1,1]
	v_mov_b32_e32 v24, v45
	v_pk_fma_f32 v[14:15], v[78:79], v[26:27], v[14:15] op_sel_hi:[0,1,1]
	v_mov_b32_e32 v27, v45
	s_delay_alu instid0(VALU_DEP_2) | instskip(SKIP_1) | instid1(VALU_DEP_2)
	v_pk_fma_f32 v[14:15], v[68:69], v[24:25], v[14:15] op_sel_hi:[0,1,1]
	v_mov_b32_e32 v24, v30
	v_pk_fma_f32 v[44:45], v[68:69], v[26:27], v[14:15] op_sel:[1,0,0]
	v_mov_b32_e32 v27, v30
	s_delay_alu instid0(VALU_DEP_3) | instskip(SKIP_1) | instid1(VALU_DEP_2)
	v_pk_fma_f32 v[14:15], v[60:61], v[24:25], v[20:21] op_sel_hi:[0,1,1]
	v_mov_b32_e32 v24, v34
	v_pk_fma_f32 v[14:15], v[60:61], v[26:27], v[14:15] op_sel:[1,0,0]
	v_mov_b32_e32 v27, v34
	s_delay_alu instid0(VALU_DEP_2) | instskip(SKIP_1) | instid1(VALU_DEP_2)
	v_pk_fma_f32 v[14:15], v[62:63], v[24:25], v[14:15] op_sel_hi:[0,1,1]
	v_mov_b32_e32 v24, v42
	v_pk_fma_f32 v[14:15], v[76:77], v[26:27], v[14:15] op_sel_hi:[0,1,1]
	v_mov_b32_e32 v27, v42
	s_delay_alu instid0(VALU_DEP_2) | instskip(SKIP_1) | instid1(VALU_DEP_2)
	v_pk_fma_f32 v[14:15], v[64:65], v[24:25], v[14:15] op_sel_hi:[0,1,1]
	v_mov_b32_e32 v24, v38
	v_pk_fma_f32 v[14:15], v[64:65], v[26:27], v[14:15] op_sel:[1,0,0]
	v_dual_mov_b32 v27, v38 :: v_dual_lshlrev_b32 v38, 2, v1
	v_subrev_nc_u32_e32 v1, s12, v85
	s_delay_alu instid0(VALU_DEP_3) | instskip(SKIP_1) | instid1(VALU_DEP_2)
	v_pk_fma_f32 v[14:15], v[66:67], v[24:25], v[14:15] op_sel_hi:[0,1,1]
	v_mov_b32_e32 v24, v46
	v_pk_fma_f32 v[14:15], v[78:79], v[26:27], v[14:15] op_sel_hi:[0,1,1]
	v_mov_b32_e32 v27, v46
	s_delay_alu instid0(VALU_DEP_2) | instskip(SKIP_1) | instid1(VALU_DEP_2)
	v_pk_fma_f32 v[14:15], v[68:69], v[24:25], v[14:15] op_sel_hi:[0,1,1]
	v_mov_b32_e32 v24, v31
	v_pk_fma_f32 v[82:83], v[68:69], v[26:27], v[14:15] op_sel:[1,0,0]
	v_mov_b32_e32 v27, v31
	s_delay_alu instid0(VALU_DEP_3)
	v_pk_fma_f32 v[18:19], v[60:61], v[24:25], v[18:19] op_sel_hi:[0,1,1]
	v_mov_b32_e32 v24, v35
	global_load_b128 v[14:17], v[12:13], off offset:4112
	v_pk_fma_f32 v[28:29], v[60:61], v[26:27], v[18:19] op_sel:[1,0,0]
	v_mov_b32_e32 v27, v35
	global_load_b128 v[18:21], v[12:13], off offset:4096
	v_pk_fma_f32 v[32:33], v[62:63], v[24:25], v[28:29] op_sel_hi:[0,1,1]
	v_mov_b32_e32 v24, v43
	global_load_b128 v[28:31], v[12:13], off offset:4128
	v_pk_fma_f32 v[36:37], v[76:77], v[26:27], v[32:33] op_sel_hi:[0,1,1]
	v_mov_b32_e32 v27, v43
	s_clause 0x1
	global_load_b128 v[32:35], v[12:13], off offset:4144
	global_load_b128 v[40:43], v[12:13], off offset:6160
	s_wait_loadcnt 0x5
	v_mov_b32_e32 v76, v75
	v_pk_fma_f32 v[36:37], v[64:65], v[24:25], v[36:37] op_sel_hi:[0,1,1]
	v_mov_b32_e32 v24, v39
	s_delay_alu instid0(VALU_DEP_2) | instskip(SKIP_1) | instid1(VALU_DEP_2)
	v_pk_fma_f32 v[36:37], v[64:65], v[26:27], v[36:37] op_sel:[1,0,0]
	v_dual_mov_b32 v27, v39 :: v_dual_ashrrev_i32 v39, 31, v38
	v_pk_fma_f32 v[66:67], v[66:67], v[24:25], v[36:37] op_sel_hi:[0,1,1]
	v_mov_b32_e32 v24, v47
	s_delay_alu instid0(VALU_DEP_3)
	v_lshl_add_u64 v[64:65], v[38:39], 3, s[4:5]
	s_clause 0x1
	global_load_b128 v[36:39], v[64:65], off
	global_load_b128 v[60:63], v[64:65], off offset:16
	s_wait_xcnt 0x0
	v_pk_fma_f32 v[64:65], v[78:79], v[26:27], v[66:67] op_sel_hi:[0,1,1]
	v_dual_mov_b32 v27, v47 :: v_dual_mov_b32 v66, v71
	s_delay_alu instid0(VALU_DEP_2) | instskip(SKIP_1) | instid1(VALU_DEP_2)
	v_pk_fma_f32 v[46:47], v[68:69], v[24:25], v[64:65] op_sel_hi:[0,1,1]
	v_mov_b32_e32 v24, v48
	v_pk_fma_f32 v[64:65], v[68:69], v[26:27], v[46:47] op_sel:[1,0,0]
	v_mov_b32_e32 v27, v48
	s_delay_alu instid0(VALU_DEP_3) | instskip(SKIP_1) | instid1(VALU_DEP_2)
	v_pk_fma_f32 v[46:47], v[70:71], v[24:25], v[80:81] op_sel_hi:[0,1,1]
	v_mov_b32_e32 v24, v56
	v_pk_fma_f32 v[46:47], v[66:67], v[26:27], v[46:47] op_sel_hi:[0,1,1]
	v_mov_b32_e32 v27, v56
	s_delay_alu instid0(VALU_DEP_2) | instskip(SKIP_1) | instid1(VALU_DEP_2)
	v_pk_fma_f32 v[46:47], v[72:73], v[24:25], v[46:47] op_sel_hi:[0,1,1]
	v_mov_b32_e32 v24, v52
	v_pk_fma_f32 v[46:47], v[72:73], v[26:27], v[46:47] op_sel:[1,0,0]
	v_dual_mov_b32 v27, v52 :: v_dual_lshlrev_b32 v52, 2, v1
	s_delay_alu instid0(VALU_DEP_2) | instskip(SKIP_2) | instid1(VALU_DEP_2)
	v_pk_fma_f32 v[46:47], v[74:75], v[24:25], v[46:47] op_sel_hi:[0,1,1]
	s_wait_loadcnt 0x5
	v_mov_b32_e32 v24, v18
	v_pk_fma_f32 v[46:47], v[76:77], v[26:27], v[46:47] op_sel_hi:[0,1,1]
	s_wait_loadcnt 0x1
	v_dual_mov_b32 v27, v18 :: v_dual_mov_b32 v78, v39
	s_delay_alu instid0(VALU_DEP_2) | instskip(SKIP_1) | instid1(VALU_DEP_2)
	v_pk_fma_f32 v[46:47], v[36:37], v[24:25], v[46:47] op_sel_hi:[0,1,1]
	v_mov_b32_e32 v24, v14
	v_pk_fma_f32 v[46:47], v[36:37], v[26:27], v[46:47] op_sel:[1,0,0]
	v_mov_b32_e32 v27, v14
	s_delay_alu instid0(VALU_DEP_2) | instskip(SKIP_1) | instid1(VALU_DEP_2)
	v_pk_fma_f32 v[46:47], v[38:39], v[24:25], v[46:47] op_sel_hi:[0,1,1]
	v_mov_b32_e32 v24, v28
	v_pk_fma_f32 v[46:47], v[78:79], v[26:27], v[46:47] op_sel_hi:[0,1,1]
	v_mov_b32_e32 v27, v49
	s_wait_loadcnt 0x0
	s_delay_alu instid0(VALU_DEP_2) | instskip(SKIP_1) | instid1(VALU_DEP_1)
	v_pk_fma_f32 v[68:69], v[60:61], v[24:25], v[46:47] op_sel_hi:[0,1,1]
	v_mov_b32_e32 v24, v49
	v_pk_fma_f32 v[44:45], v[70:71], v[24:25], v[44:45] op_sel_hi:[0,1,1]
	v_mov_b32_e32 v24, v57
	s_delay_alu instid0(VALU_DEP_2) | instskip(SKIP_1) | instid1(VALU_DEP_2)
	v_pk_fma_f32 v[44:45], v[66:67], v[26:27], v[44:45] op_sel_hi:[0,1,1]
	v_mov_b32_e32 v27, v57
	v_pk_fma_f32 v[44:45], v[72:73], v[24:25], v[44:45] op_sel_hi:[0,1,1]
	v_mov_b32_e32 v24, v53
	s_delay_alu instid0(VALU_DEP_2) | instskip(SKIP_1) | instid1(VALU_DEP_2)
	v_pk_fma_f32 v[44:45], v[72:73], v[26:27], v[44:45] op_sel:[1,0,0]
	v_dual_mov_b32 v27, v53 :: v_dual_ashrrev_i32 v53, 31, v52
	v_pk_fma_f32 v[44:45], v[74:75], v[24:25], v[44:45] op_sel_hi:[0,1,1]
	v_mov_b32_e32 v24, v19
	s_delay_alu instid0(VALU_DEP_3) | instskip(NEXT) | instid1(VALU_DEP_3)
	v_lshl_add_u64 v[52:53], v[52:53], 3, s[4:5]
	v_pk_fma_f32 v[44:45], v[76:77], v[26:27], v[44:45] op_sel_hi:[0,1,1]
	v_mov_b32_e32 v27, v19
	s_delay_alu instid0(VALU_DEP_2) | instskip(SKIP_4) | instid1(VALU_DEP_2)
	v_pk_fma_f32 v[18:19], v[36:37], v[24:25], v[44:45] op_sel_hi:[0,1,1]
	v_mov_b32_e32 v24, v15
	global_load_b128 v[44:47], v[12:13], off offset:6144
	v_pk_fma_f32 v[18:19], v[36:37], v[26:27], v[18:19] op_sel:[1,0,0]
	v_mov_b32_e32 v27, v15
	v_pk_fma_f32 v[14:15], v[38:39], v[24:25], v[18:19] op_sel_hi:[0,1,1]
	v_mov_b32_e32 v24, v29
	s_delay_alu instid0(VALU_DEP_2) | instskip(SKIP_1) | instid1(VALU_DEP_2)
	v_pk_fma_f32 v[14:15], v[78:79], v[26:27], v[14:15] op_sel_hi:[0,1,1]
	v_mov_b32_e32 v27, v50
	v_pk_fma_f32 v[18:19], v[60:61], v[24:25], v[14:15] op_sel_hi:[0,1,1]
	v_mov_b32_e32 v24, v50
	s_delay_alu instid0(VALU_DEP_1) | instskip(SKIP_1) | instid1(VALU_DEP_2)
	v_pk_fma_f32 v[14:15], v[70:71], v[24:25], v[82:83] op_sel_hi:[0,1,1]
	v_mov_b32_e32 v24, v58
	v_pk_fma_f32 v[14:15], v[66:67], v[26:27], v[14:15] op_sel_hi:[0,1,1]
	v_mov_b32_e32 v27, v58
	s_delay_alu instid0(VALU_DEP_2) | instskip(SKIP_1) | instid1(VALU_DEP_2)
	v_pk_fma_f32 v[14:15], v[72:73], v[24:25], v[14:15] op_sel_hi:[0,1,1]
	v_mov_b32_e32 v24, v54
	v_pk_fma_f32 v[14:15], v[72:73], v[26:27], v[14:15] op_sel:[1,0,0]
	v_mov_b32_e32 v27, v54
	s_delay_alu instid0(VALU_DEP_2) | instskip(SKIP_1) | instid1(VALU_DEP_2)
	v_pk_fma_f32 v[14:15], v[74:75], v[24:25], v[14:15] op_sel_hi:[0,1,1]
	v_mov_b32_e32 v24, v20
	v_pk_fma_f32 v[14:15], v[76:77], v[26:27], v[14:15] op_sel_hi:[0,1,1]
	v_mov_b32_e32 v27, v20
	s_delay_alu instid0(VALU_DEP_2) | instskip(SKIP_1) | instid1(VALU_DEP_2)
	v_pk_fma_f32 v[14:15], v[36:37], v[24:25], v[14:15] op_sel_hi:[0,1,1]
	v_mov_b32_e32 v24, v16
	v_pk_fma_f32 v[14:15], v[36:37], v[26:27], v[14:15] op_sel:[1,0,0]
	v_mov_b32_e32 v27, v16
	s_delay_alu instid0(VALU_DEP_2) | instskip(SKIP_1) | instid1(VALU_DEP_2)
	v_pk_fma_f32 v[14:15], v[38:39], v[24:25], v[14:15] op_sel_hi:[0,1,1]
	v_mov_b32_e32 v24, v30
	v_pk_fma_f32 v[14:15], v[78:79], v[26:27], v[14:15] op_sel_hi:[0,1,1]
	v_mov_b32_e32 v27, v51
	s_delay_alu instid0(VALU_DEP_2) | instskip(SKIP_4) | instid1(VALU_DEP_2)
	v_pk_fma_f32 v[80:81], v[60:61], v[24:25], v[14:15] op_sel_hi:[0,1,1]
	v_mov_b32_e32 v24, v51
	global_load_b128 v[48:51], v[12:13], off offset:6176
	v_pk_fma_f32 v[14:15], v[70:71], v[24:25], v[64:65] op_sel_hi:[0,1,1]
	v_mov_b32_e32 v24, v59
	v_pk_fma_f32 v[14:15], v[66:67], v[26:27], v[14:15] op_sel_hi:[0,1,1]
	v_mov_b32_e32 v27, v59
	s_clause 0x1
	global_load_b128 v[56:59], v[52:53], off
	global_load_b128 v[64:67], v[52:53], off offset:16
	v_mov_b32_e32 v70, v63
	v_pk_fma_f32 v[14:15], v[72:73], v[24:25], v[14:15] op_sel_hi:[0,1,1]
	v_mov_b32_e32 v24, v55
	s_delay_alu instid0(VALU_DEP_2)
	v_pk_fma_f32 v[14:15], v[72:73], v[26:27], v[14:15] op_sel:[1,0,0]
	v_mov_b32_e32 v27, v55
	global_load_b128 v[52:55], v[12:13], off offset:6192
	s_wait_xcnt 0x0
	v_add_nc_u64_e32 v[12:13], 0x2000, v[12:13]
	v_pk_fma_f32 v[14:15], v[74:75], v[24:25], v[14:15] op_sel_hi:[0,1,1]
	v_mov_b32_e32 v24, v21
	s_delay_alu instid0(VALU_DEP_2) | instskip(SKIP_1) | instid1(VALU_DEP_2)
	v_pk_fma_f32 v[14:15], v[76:77], v[26:27], v[14:15] op_sel_hi:[0,1,1]
	v_mov_b32_e32 v27, v21
	v_pk_fma_f32 v[14:15], v[36:37], v[24:25], v[14:15] op_sel_hi:[0,1,1]
	v_mov_b32_e32 v24, v17
	s_delay_alu instid0(VALU_DEP_2) | instskip(SKIP_1) | instid1(VALU_DEP_2)
	v_pk_fma_f32 v[14:15], v[36:37], v[26:27], v[14:15] op_sel:[1,0,0]
	v_mov_b32_e32 v27, v17
	v_pk_fma_f32 v[14:15], v[38:39], v[24:25], v[14:15] op_sel_hi:[0,1,1]
	v_mov_b32_e32 v24, v31
	s_delay_alu instid0(VALU_DEP_2) | instskip(SKIP_1) | instid1(VALU_DEP_2)
	v_pk_fma_f32 v[14:15], v[78:79], v[26:27], v[14:15] op_sel_hi:[0,1,1]
	v_mov_b32_e32 v27, v28
	v_pk_fma_f32 v[36:37], v[60:61], v[24:25], v[14:15] op_sel_hi:[0,1,1]
	v_mov_b32_e32 v24, v32
	s_delay_alu instid0(VALU_DEP_3) | instskip(SKIP_1) | instid1(VALU_DEP_2)
	v_pk_fma_f32 v[14:15], v[60:61], v[26:27], v[68:69] op_sel:[1,0,0]
	v_mov_b32_e32 v27, v32
	v_pk_fma_f32 v[14:15], v[62:63], v[24:25], v[14:15] op_sel_hi:[0,1,1]
	s_wait_loadcnt 0x2
	v_dual_mov_b32 v24, v44 :: v_dual_mov_b32 v72, v59
	s_wait_loadcnt 0x1
	v_mov_b32_e32 v74, v67
	v_pk_fma_f32 v[14:15], v[70:71], v[26:27], v[14:15] op_sel_hi:[0,1,1]
	v_mov_b32_e32 v27, v44
	s_delay_alu instid0(VALU_DEP_2) | instskip(SKIP_1) | instid1(VALU_DEP_2)
	v_pk_fma_f32 v[14:15], v[56:57], v[24:25], v[14:15] op_sel_hi:[0,1,1]
	v_mov_b32_e32 v24, v40
	v_pk_fma_f32 v[14:15], v[56:57], v[26:27], v[14:15] op_sel:[1,0,0]
	v_mov_b32_e32 v27, v40
	s_delay_alu instid0(VALU_DEP_2) | instskip(SKIP_1) | instid1(VALU_DEP_2)
	v_pk_fma_f32 v[14:15], v[58:59], v[24:25], v[14:15] op_sel_hi:[0,1,1]
	v_mov_b32_e32 v24, v48
	v_pk_fma_f32 v[14:15], v[72:73], v[26:27], v[14:15] op_sel_hi:[0,1,1]
	v_mov_b32_e32 v27, v48
	s_delay_alu instid0(VALU_DEP_2) | instskip(SKIP_2) | instid1(VALU_DEP_2)
	v_pk_fma_f32 v[14:15], v[64:65], v[24:25], v[14:15] op_sel_hi:[0,1,1]
	s_wait_loadcnt 0x0
	v_mov_b32_e32 v24, v52
	v_pk_fma_f32 v[14:15], v[64:65], v[26:27], v[14:15] op_sel:[1,0,0]
	v_mov_b32_e32 v27, v52
	s_delay_alu instid0(VALU_DEP_2) | instskip(SKIP_1) | instid1(VALU_DEP_2)
	v_pk_fma_f32 v[14:15], v[66:67], v[24:25], v[14:15] op_sel_hi:[0,1,1]
	v_mov_b32_e32 v24, v33
	v_pk_fma_f32 v[14:15], v[74:75], v[26:27], v[14:15] op_sel_hi:[0,1,1]
	v_mov_b32_e32 v27, v29
	s_delay_alu instid0(VALU_DEP_1) | instskip(SKIP_1) | instid1(VALU_DEP_2)
	v_pk_fma_f32 v[16:17], v[60:61], v[26:27], v[18:19] op_sel:[1,0,0]
	v_mov_b32_e32 v27, v33
	v_pk_fma_f32 v[16:17], v[62:63], v[24:25], v[16:17] op_sel_hi:[0,1,1]
	v_mov_b32_e32 v24, v45
	s_delay_alu instid0(VALU_DEP_2) | instskip(SKIP_1) | instid1(VALU_DEP_2)
	v_pk_fma_f32 v[16:17], v[70:71], v[26:27], v[16:17] op_sel_hi:[0,1,1]
	v_mov_b32_e32 v27, v45
	v_pk_fma_f32 v[16:17], v[56:57], v[24:25], v[16:17] op_sel_hi:[0,1,1]
	v_mov_b32_e32 v24, v41
	s_delay_alu instid0(VALU_DEP_2) | instskip(SKIP_1) | instid1(VALU_DEP_2)
	v_pk_fma_f32 v[16:17], v[56:57], v[26:27], v[16:17] op_sel:[1,0,0]
	v_mov_b32_e32 v27, v41
	v_pk_fma_f32 v[16:17], v[58:59], v[24:25], v[16:17] op_sel_hi:[0,1,1]
	v_mov_b32_e32 v24, v49
	s_delay_alu instid0(VALU_DEP_2) | instskip(SKIP_1) | instid1(VALU_DEP_2)
	v_pk_fma_f32 v[16:17], v[72:73], v[26:27], v[16:17] op_sel_hi:[0,1,1]
	v_mov_b32_e32 v27, v49
	v_pk_fma_f32 v[16:17], v[64:65], v[24:25], v[16:17] op_sel_hi:[0,1,1]
	v_mov_b32_e32 v24, v53
	s_delay_alu instid0(VALU_DEP_2) | instskip(SKIP_1) | instid1(VALU_DEP_2)
	v_pk_fma_f32 v[16:17], v[64:65], v[26:27], v[16:17] op_sel:[1,0,0]
	v_mov_b32_e32 v27, v53
	v_pk_fma_f32 v[16:17], v[66:67], v[24:25], v[16:17] op_sel_hi:[0,1,1]
	v_mov_b32_e32 v24, v34
	s_delay_alu instid0(VALU_DEP_2) | instskip(SKIP_1) | instid1(VALU_DEP_1)
	v_pk_fma_f32 v[16:17], v[74:75], v[26:27], v[16:17] op_sel_hi:[0,1,1]
	v_mov_b32_e32 v27, v30
	v_pk_fma_f32 v[18:19], v[60:61], v[26:27], v[80:81] op_sel:[1,0,0]
	v_mov_b32_e32 v27, v34
	s_delay_alu instid0(VALU_DEP_2) | instskip(SKIP_1) | instid1(VALU_DEP_2)
	v_pk_fma_f32 v[18:19], v[62:63], v[24:25], v[18:19] op_sel_hi:[0,1,1]
	v_mov_b32_e32 v24, v46
	v_pk_fma_f32 v[18:19], v[70:71], v[26:27], v[18:19] op_sel_hi:[0,1,1]
	v_mov_b32_e32 v27, v46
	s_delay_alu instid0(VALU_DEP_2) | instskip(SKIP_1) | instid1(VALU_DEP_2)
	v_pk_fma_f32 v[18:19], v[56:57], v[24:25], v[18:19] op_sel_hi:[0,1,1]
	v_mov_b32_e32 v24, v42
	v_pk_fma_f32 v[18:19], v[56:57], v[26:27], v[18:19] op_sel:[1,0,0]
	v_mov_b32_e32 v27, v42
	s_delay_alu instid0(VALU_DEP_2) | instskip(SKIP_1) | instid1(VALU_DEP_2)
	v_pk_fma_f32 v[18:19], v[58:59], v[24:25], v[18:19] op_sel_hi:[0,1,1]
	v_mov_b32_e32 v24, v50
	v_pk_fma_f32 v[18:19], v[72:73], v[26:27], v[18:19] op_sel_hi:[0,1,1]
	v_mov_b32_e32 v27, v50
	s_delay_alu instid0(VALU_DEP_2) | instskip(SKIP_1) | instid1(VALU_DEP_2)
	v_pk_fma_f32 v[18:19], v[64:65], v[24:25], v[18:19] op_sel_hi:[0,1,1]
	v_mov_b32_e32 v24, v54
	v_pk_fma_f32 v[18:19], v[64:65], v[26:27], v[18:19] op_sel:[1,0,0]
	v_mov_b32_e32 v27, v54
	s_delay_alu instid0(VALU_DEP_2) | instskip(SKIP_1) | instid1(VALU_DEP_2)
	v_pk_fma_f32 v[18:19], v[66:67], v[24:25], v[18:19] op_sel_hi:[0,1,1]
	v_mov_b32_e32 v24, v35
	v_pk_fma_f32 v[20:21], v[74:75], v[26:27], v[18:19] op_sel_hi:[0,1,1]
	v_mov_b32_e32 v27, v31
	s_delay_alu instid0(VALU_DEP_1) | instskip(SKIP_1) | instid1(VALU_DEP_2)
	v_pk_fma_f32 v[18:19], v[60:61], v[26:27], v[36:37] op_sel:[1,0,0]
	v_mov_b32_e32 v27, v35
	v_pk_fma_f32 v[18:19], v[62:63], v[24:25], v[18:19] op_sel_hi:[0,1,1]
	v_mov_b32_e32 v24, v47
	s_delay_alu instid0(VALU_DEP_2) | instskip(SKIP_1) | instid1(VALU_DEP_2)
	v_pk_fma_f32 v[18:19], v[70:71], v[26:27], v[18:19] op_sel_hi:[0,1,1]
	v_mov_b32_e32 v27, v47
	v_pk_fma_f32 v[18:19], v[56:57], v[24:25], v[18:19] op_sel_hi:[0,1,1]
	v_mov_b32_e32 v24, v43
	s_delay_alu instid0(VALU_DEP_2) | instskip(SKIP_1) | instid1(VALU_DEP_2)
	v_pk_fma_f32 v[18:19], v[56:57], v[26:27], v[18:19] op_sel:[1,0,0]
	v_mov_b32_e32 v27, v43
	v_pk_fma_f32 v[18:19], v[58:59], v[24:25], v[18:19] op_sel_hi:[0,1,1]
	v_mov_b32_e32 v24, v51
	s_delay_alu instid0(VALU_DEP_2) | instskip(SKIP_1) | instid1(VALU_DEP_2)
	v_pk_fma_f32 v[18:19], v[72:73], v[26:27], v[18:19] op_sel_hi:[0,1,1]
	v_mov_b32_e32 v27, v51
	v_pk_fma_f32 v[18:19], v[64:65], v[24:25], v[18:19] op_sel_hi:[0,1,1]
	v_mov_b32_e32 v24, v55
	s_delay_alu instid0(VALU_DEP_2) | instskip(SKIP_1) | instid1(VALU_DEP_2)
	v_pk_fma_f32 v[18:19], v[64:65], v[26:27], v[18:19] op_sel:[1,0,0]
	v_mov_b32_e32 v27, v55
	v_pk_fma_f32 v[18:19], v[66:67], v[24:25], v[18:19] op_sel_hi:[0,1,1]
	s_delay_alu instid0(VALU_DEP_1)
	v_pk_fma_f32 v[18:19], v[74:75], v[26:27], v[18:19] op_sel_hi:[0,1,1]
	s_and_not1_b32 exec_lo, exec_lo, s7
	s_cbranch_execnz .LBB128_29
; %bb.30:
	s_or_b32 exec_lo, exec_lo, s7
.LBB128_31:
	s_delay_alu instid0(SALU_CYCLE_1)
	s_or_b32 exec_lo, exec_lo, s3
.LBB128_32:
	s_delay_alu instid0(SALU_CYCLE_1)
	s_or_b32 exec_lo, exec_lo, s6
.LBB128_33:
	v_mbcnt_lo_u32_b32 v1, -1, 0
	s_delay_alu instid0(VALU_DEP_1) | instskip(SKIP_1) | instid1(VALU_DEP_1)
	v_xor_b32_e32 v23, 8, v1
	v_xor_b32_e32 v7, 16, v1
	v_cmp_gt_i32_e32 vcc_lo, 32, v7
	v_cndmask_b32_e32 v7, v1, v7, vcc_lo
	s_delay_alu instid0(VALU_DEP_1)
	v_lshlrev_b32_e32 v7, 2, v7
	ds_bpermute_b32 v9, v7, v15
	s_wait_dscnt 0x0
	v_add_f32_e32 v9, v15, v9
	ds_bpermute_b32 v10, v7, v16
	ds_bpermute_b32 v8, v7, v14
	;; [unrolled: 1-line block ×7, first 2 shown]
	s_wait_dscnt 0x6
	v_add_f32_e32 v10, v16, v10
	v_cmp_gt_i32_e32 vcc_lo, 32, v23
	s_wait_dscnt 0x3
	v_dual_add_f32 v8, v14, v8 :: v_dual_add_f32 v11, v17, v11
	s_wait_dscnt 0x1
	v_dual_add_f32 v13, v21, v13 :: v_dual_add_f32 v14, v18, v22
	v_cndmask_b32_e32 v23, v1, v23, vcc_lo
	s_wait_dscnt 0x0
	v_dual_add_f32 v7, v19, v7 :: v_dual_add_f32 v12, v20, v12
	s_delay_alu instid0(VALU_DEP_2)
	v_lshlrev_b32_e32 v23, 2, v23
	ds_bpermute_b32 v15, v23, v8
	ds_bpermute_b32 v16, v23, v9
	;; [unrolled: 1-line block ×8, first 2 shown]
	s_wait_dscnt 0x7
	v_dual_add_f32 v8, v8, v15 :: v_dual_bitop2_b32 v23, 4, v1 bitop3:0x14
	s_delay_alu instid0(VALU_DEP_1)
	v_cmp_gt_i32_e32 vcc_lo, 32, v23
	s_wait_dscnt 0x4
	v_dual_add_f32 v10, v10, v17 :: v_dual_add_f32 v11, v11, v18
	s_wait_dscnt 0x2
	v_dual_add_f32 v12, v12, v19 :: v_dual_add_f32 v13, v13, v20
	s_wait_dscnt 0x1
	v_dual_add_f32 v14, v14, v21 :: v_dual_cndmask_b32 v23, v1, v23
	s_wait_dscnt 0x0
	v_dual_add_f32 v9, v9, v16 :: v_dual_add_f32 v7, v7, v22
	s_delay_alu instid0(VALU_DEP_2)
	v_lshlrev_b32_e32 v23, 2, v23
	ds_bpermute_b32 v15, v23, v8
	ds_bpermute_b32 v16, v23, v9
	;; [unrolled: 1-line block ×8, first 2 shown]
	v_xor_b32_e32 v23, 2, v1
	s_delay_alu instid0(VALU_DEP_1) | instskip(SKIP_4) | instid1(VALU_DEP_2)
	v_cmp_gt_i32_e32 vcc_lo, 32, v23
	v_cndmask_b32_e32 v23, v1, v23, vcc_lo
	s_wait_dscnt 0x6
	v_dual_add_f32 v8, v8, v15 :: v_dual_add_f32 v9, v9, v16
	s_wait_dscnt 0x5
	v_dual_add_f32 v10, v10, v17 :: v_dual_lshlrev_b32 v23, 2, v23
	s_wait_dscnt 0x3
	v_dual_add_f32 v11, v11, v18 :: v_dual_add_f32 v12, v12, v19
	s_wait_dscnt 0x1
	v_dual_add_f32 v13, v13, v20 :: v_dual_add_f32 v14, v14, v21
	s_wait_dscnt 0x0
	v_add_f32_e32 v15, v7, v22
	ds_bpermute_b32 v7, v23, v8
	ds_bpermute_b32 v16, v23, v9
	;; [unrolled: 1-line block ×8, first 2 shown]
	v_xor_b32_e32 v23, 1, v1
	s_delay_alu instid0(VALU_DEP_1) | instskip(SKIP_3) | instid1(VALU_DEP_2)
	v_cmp_gt_i32_e32 vcc_lo, 32, v23
	v_cndmask_b32_e32 v1, v1, v23, vcc_lo
	v_cmp_eq_u32_e32 vcc_lo, 31, v0
	s_wait_dscnt 0x7
	v_dual_lshlrev_b32 v23, 2, v1 :: v_dual_add_f32 v1, v8, v7
	s_wait_dscnt 0x5
	v_dual_add_f32 v7, v9, v16 :: v_dual_add_f32 v8, v10, v17
	s_wait_dscnt 0x3
	v_dual_add_f32 v9, v11, v18 :: v_dual_add_f32 v10, v12, v19
	;; [unrolled: 2-line block ×3, first 2 shown]
	s_wait_dscnt 0x0
	v_add_f32_e32 v13, v15, v22
	ds_bpermute_b32 v14, v23, v1
	ds_bpermute_b32 v15, v23, v7
	;; [unrolled: 1-line block ×8, first 2 shown]
	s_and_b32 exec_lo, exec_lo, vcc_lo
	s_cbranch_execz .LBB128_6
; %bb.34:
	s_load_b64 s[0:1], s[0:1], 0x50
	v_cmp_eq_f32_e32 vcc_lo, 0, v4
	s_wait_dscnt 0x6
	v_dual_add_f32 v0, v1, v14 :: v_dual_add_f32 v22, v7, v15
	s_wait_dscnt 0x4
	v_dual_add_f32 v8, v8, v16 :: v_dual_add_f32 v20, v9, v17
	;; [unrolled: 2-line block ×4, first 2 shown]
	v_xor_b32_e32 v18, 0x80000000, v3
	v_lshlrev_b32_e32 v6, 2, v6
	s_xor_b32 s2, s2, -1
	s_delay_alu instid0(SALU_CYCLE_1) | instskip(NEXT) | instid1(SALU_CYCLE_1)
	s_and_b32 s2, vcc_lo, s2
	s_and_saveexec_b32 s3, s2
	s_delay_alu instid0(SALU_CYCLE_1)
	s_xor_b32 s2, exec_lo, s3
	s_cbranch_execz .LBB128_36
; %bb.35:
	v_dual_mov_b32 v19, v2 :: v_dual_ashrrev_i32 v7, 31, v6
	s_delay_alu instid0(VALU_DEP_1)
	v_pk_mul_f32 v[4:5], v[22:23], v[18:19] op_sel_hi:[0,1]
	v_pk_mul_f32 v[20:21], v[20:21], v[18:19] op_sel_hi:[0,1]
	;; [unrolled: 1-line block ×4, first 2 shown]
	s_wait_kmcnt 0x0
	v_lshl_add_u64 v[18:19], v[6:7], 3, s[0:1]
	v_pk_fma_f32 v[4:5], v[2:3], v[0:1], v[4:5] op_sel_hi:[1,0,1]
	v_pk_fma_f32 v[6:7], v[2:3], v[8:9], v[20:21] op_sel_hi:[1,0,1]
	;; [unrolled: 1-line block ×4, first 2 shown]
                                        ; implicit-def: $vgpr22
                                        ; implicit-def: $vgpr8
                                        ; implicit-def: $vgpr20
                                        ; implicit-def: $vgpr10
                                        ; implicit-def: $vgpr16
                                        ; implicit-def: $vgpr12
                                        ; implicit-def: $vgpr14
	s_clause 0x1
	global_store_b128 v[18:19], v[4:7], off
	global_store_b128 v[18:19], v[0:3], off offset:16
                                        ; implicit-def: $vgpr0
                                        ; implicit-def: $vgpr2_vgpr3
                                        ; implicit-def: $vgpr4_vgpr5
                                        ; implicit-def: $vgpr18
                                        ; implicit-def: $vgpr6
.LBB128_36:
	s_wait_xcnt 0x0
	s_and_not1_saveexec_b32 s2, s2
	s_cbranch_execz .LBB128_6
; %bb.37:
	v_dual_ashrrev_i32 v7, 31, v6 :: v_dual_mov_b32 v19, v2
	s_wait_kmcnt 0x0
	s_delay_alu instid0(VALU_DEP_1) | instskip(NEXT) | instid1(VALU_DEP_2)
	v_lshl_add_u64 v[32:33], v[6:7], 3, s[0:1]
	v_pk_mul_f32 v[6:7], v[22:23], v[18:19] op_sel_hi:[0,1]
	v_pk_mul_f32 v[20:21], v[20:21], v[18:19] op_sel_hi:[0,1]
	;; [unrolled: 1-line block ×4, first 2 shown]
	s_clause 0x1
	global_load_b128 v[24:27], v[32:33], off
	global_load_b128 v[28:31], v[32:33], off offset:16
	v_pk_fma_f32 v[0:1], v[2:3], v[0:1], v[6:7] op_sel_hi:[1,0,1]
	v_pk_fma_f32 v[6:7], v[2:3], v[8:9], v[20:21] op_sel_hi:[1,0,1]
	v_pk_fma_f32 v[8:9], v[2:3], v[10:11], v[16:17] op_sel_hi:[1,0,1]
	v_pk_fma_f32 v[2:3], v[2:3], v[12:13], v[14:15] op_sel_hi:[1,0,1]
	v_xor_b32_e32 v22, 0x80000000, v5
	s_wait_loadcnt 0x1
	v_dual_mov_b32 v23, v4 :: v_dual_mov_b32 v10, v27
	v_pk_fma_f32 v[0:1], v[4:5], v[24:25], v[0:1] op_sel_hi:[1,0,1]
	v_pk_fma_f32 v[6:7], v[4:5], v[26:27], v[6:7] op_sel_hi:[1,0,1]
	s_wait_loadcnt 0x0
	v_pk_fma_f32 v[8:9], v[4:5], v[28:29], v[8:9] op_sel_hi:[1,0,1]
	v_pk_fma_f32 v[12:13], v[4:5], v[30:31], v[2:3] op_sel_hi:[1,0,1]
	v_mov_b32_e32 v14, v31
	v_pk_fma_f32 v[0:1], v[22:23], v[24:25], v[0:1] op_sel:[0,1,0]
	v_pk_fma_f32 v[2:3], v[22:23], v[10:11], v[6:7] op_sel_hi:[1,0,1]
	v_pk_fma_f32 v[4:5], v[22:23], v[28:29], v[8:9] op_sel:[0,1,0]
	s_delay_alu instid0(VALU_DEP_4)
	v_pk_fma_f32 v[6:7], v[22:23], v[14:15], v[12:13] op_sel_hi:[1,0,1]
	s_clause 0x1
	global_store_b128 v[32:33], v[0:3], off
	global_store_b128 v[32:33], v[4:7], off offset:16
	s_sendmsg sendmsg(MSG_DEALLOC_VGPRS)
	s_endpgm
	.section	.rodata,"a",@progbits
	.p2align	6, 0x0
	.amdhsa_kernel _ZN9rocsparseL18bsrxmvn_4x4_kernelILj128ELj32E21rocsparse_complex_numIfElifS2_S2_EEvT3_20rocsparse_direction_NS_24const_host_device_scalarIT1_EES3_PKS3_PKT2_SC_S9_PKT4_PKT5_S7_PT6_21rocsparse_index_base_b
		.amdhsa_group_segment_fixed_size 0
		.amdhsa_private_segment_fixed_size 0
		.amdhsa_kernarg_size 96
		.amdhsa_user_sgpr_count 2
		.amdhsa_user_sgpr_dispatch_ptr 0
		.amdhsa_user_sgpr_queue_ptr 0
		.amdhsa_user_sgpr_kernarg_segment_ptr 1
		.amdhsa_user_sgpr_dispatch_id 0
		.amdhsa_user_sgpr_kernarg_preload_length 0
		.amdhsa_user_sgpr_kernarg_preload_offset 0
		.amdhsa_user_sgpr_private_segment_size 0
		.amdhsa_wavefront_size32 1
		.amdhsa_uses_dynamic_stack 0
		.amdhsa_enable_private_segment 0
		.amdhsa_system_sgpr_workgroup_id_x 1
		.amdhsa_system_sgpr_workgroup_id_y 0
		.amdhsa_system_sgpr_workgroup_id_z 0
		.amdhsa_system_sgpr_workgroup_info 0
		.amdhsa_system_vgpr_workitem_id 0
		.amdhsa_next_free_vgpr 98
		.amdhsa_next_free_sgpr 16
		.amdhsa_named_barrier_count 0
		.amdhsa_reserve_vcc 1
		.amdhsa_float_round_mode_32 0
		.amdhsa_float_round_mode_16_64 0
		.amdhsa_float_denorm_mode_32 3
		.amdhsa_float_denorm_mode_16_64 3
		.amdhsa_fp16_overflow 0
		.amdhsa_memory_ordered 1
		.amdhsa_forward_progress 1
		.amdhsa_inst_pref_size 67
		.amdhsa_round_robin_scheduling 0
		.amdhsa_exception_fp_ieee_invalid_op 0
		.amdhsa_exception_fp_denorm_src 0
		.amdhsa_exception_fp_ieee_div_zero 0
		.amdhsa_exception_fp_ieee_overflow 0
		.amdhsa_exception_fp_ieee_underflow 0
		.amdhsa_exception_fp_ieee_inexact 0
		.amdhsa_exception_int_div_zero 0
	.end_amdhsa_kernel
	.section	.text._ZN9rocsparseL18bsrxmvn_4x4_kernelILj128ELj32E21rocsparse_complex_numIfElifS2_S2_EEvT3_20rocsparse_direction_NS_24const_host_device_scalarIT1_EES3_PKS3_PKT2_SC_S9_PKT4_PKT5_S7_PT6_21rocsparse_index_base_b,"axG",@progbits,_ZN9rocsparseL18bsrxmvn_4x4_kernelILj128ELj32E21rocsparse_complex_numIfElifS2_S2_EEvT3_20rocsparse_direction_NS_24const_host_device_scalarIT1_EES3_PKS3_PKT2_SC_S9_PKT4_PKT5_S7_PT6_21rocsparse_index_base_b,comdat
.Lfunc_end128:
	.size	_ZN9rocsparseL18bsrxmvn_4x4_kernelILj128ELj32E21rocsparse_complex_numIfElifS2_S2_EEvT3_20rocsparse_direction_NS_24const_host_device_scalarIT1_EES3_PKS3_PKT2_SC_S9_PKT4_PKT5_S7_PT6_21rocsparse_index_base_b, .Lfunc_end128-_ZN9rocsparseL18bsrxmvn_4x4_kernelILj128ELj32E21rocsparse_complex_numIfElifS2_S2_EEvT3_20rocsparse_direction_NS_24const_host_device_scalarIT1_EES3_PKS3_PKT2_SC_S9_PKT4_PKT5_S7_PT6_21rocsparse_index_base_b
                                        ; -- End function
	.set _ZN9rocsparseL18bsrxmvn_4x4_kernelILj128ELj32E21rocsparse_complex_numIfElifS2_S2_EEvT3_20rocsparse_direction_NS_24const_host_device_scalarIT1_EES3_PKS3_PKT2_SC_S9_PKT4_PKT5_S7_PT6_21rocsparse_index_base_b.num_vgpr, 98
	.set _ZN9rocsparseL18bsrxmvn_4x4_kernelILj128ELj32E21rocsparse_complex_numIfElifS2_S2_EEvT3_20rocsparse_direction_NS_24const_host_device_scalarIT1_EES3_PKS3_PKT2_SC_S9_PKT4_PKT5_S7_PT6_21rocsparse_index_base_b.num_agpr, 0
	.set _ZN9rocsparseL18bsrxmvn_4x4_kernelILj128ELj32E21rocsparse_complex_numIfElifS2_S2_EEvT3_20rocsparse_direction_NS_24const_host_device_scalarIT1_EES3_PKS3_PKT2_SC_S9_PKT4_PKT5_S7_PT6_21rocsparse_index_base_b.numbered_sgpr, 16
	.set _ZN9rocsparseL18bsrxmvn_4x4_kernelILj128ELj32E21rocsparse_complex_numIfElifS2_S2_EEvT3_20rocsparse_direction_NS_24const_host_device_scalarIT1_EES3_PKS3_PKT2_SC_S9_PKT4_PKT5_S7_PT6_21rocsparse_index_base_b.num_named_barrier, 0
	.set _ZN9rocsparseL18bsrxmvn_4x4_kernelILj128ELj32E21rocsparse_complex_numIfElifS2_S2_EEvT3_20rocsparse_direction_NS_24const_host_device_scalarIT1_EES3_PKS3_PKT2_SC_S9_PKT4_PKT5_S7_PT6_21rocsparse_index_base_b.private_seg_size, 0
	.set _ZN9rocsparseL18bsrxmvn_4x4_kernelILj128ELj32E21rocsparse_complex_numIfElifS2_S2_EEvT3_20rocsparse_direction_NS_24const_host_device_scalarIT1_EES3_PKS3_PKT2_SC_S9_PKT4_PKT5_S7_PT6_21rocsparse_index_base_b.uses_vcc, 1
	.set _ZN9rocsparseL18bsrxmvn_4x4_kernelILj128ELj32E21rocsparse_complex_numIfElifS2_S2_EEvT3_20rocsparse_direction_NS_24const_host_device_scalarIT1_EES3_PKS3_PKT2_SC_S9_PKT4_PKT5_S7_PT6_21rocsparse_index_base_b.uses_flat_scratch, 1
	.set _ZN9rocsparseL18bsrxmvn_4x4_kernelILj128ELj32E21rocsparse_complex_numIfElifS2_S2_EEvT3_20rocsparse_direction_NS_24const_host_device_scalarIT1_EES3_PKS3_PKT2_SC_S9_PKT4_PKT5_S7_PT6_21rocsparse_index_base_b.has_dyn_sized_stack, 0
	.set _ZN9rocsparseL18bsrxmvn_4x4_kernelILj128ELj32E21rocsparse_complex_numIfElifS2_S2_EEvT3_20rocsparse_direction_NS_24const_host_device_scalarIT1_EES3_PKS3_PKT2_SC_S9_PKT4_PKT5_S7_PT6_21rocsparse_index_base_b.has_recursion, 0
	.set _ZN9rocsparseL18bsrxmvn_4x4_kernelILj128ELj32E21rocsparse_complex_numIfElifS2_S2_EEvT3_20rocsparse_direction_NS_24const_host_device_scalarIT1_EES3_PKS3_PKT2_SC_S9_PKT4_PKT5_S7_PT6_21rocsparse_index_base_b.has_indirect_call, 0
	.section	.AMDGPU.csdata,"",@progbits
; Kernel info:
; codeLenInByte = 8544
; TotalNumSgprs: 18
; NumVgprs: 98
; ScratchSize: 0
; MemoryBound: 0
; FloatMode: 240
; IeeeMode: 1
; LDSByteSize: 0 bytes/workgroup (compile time only)
; SGPRBlocks: 0
; VGPRBlocks: 6
; NumSGPRsForWavesPerEU: 18
; NumVGPRsForWavesPerEU: 98
; NamedBarCnt: 0
; Occupancy: 9
; WaveLimiterHint : 1
; COMPUTE_PGM_RSRC2:SCRATCH_EN: 0
; COMPUTE_PGM_RSRC2:USER_SGPR: 2
; COMPUTE_PGM_RSRC2:TRAP_HANDLER: 0
; COMPUTE_PGM_RSRC2:TGID_X_EN: 1
; COMPUTE_PGM_RSRC2:TGID_Y_EN: 0
; COMPUTE_PGM_RSRC2:TGID_Z_EN: 0
; COMPUTE_PGM_RSRC2:TIDIG_COMP_CNT: 0
	.section	.text._ZN9rocsparseL18bsrxmvn_4x4_kernelILj128ELj64E21rocsparse_complex_numIfElifS2_S2_EEvT3_20rocsparse_direction_NS_24const_host_device_scalarIT1_EES3_PKS3_PKT2_SC_S9_PKT4_PKT5_S7_PT6_21rocsparse_index_base_b,"axG",@progbits,_ZN9rocsparseL18bsrxmvn_4x4_kernelILj128ELj64E21rocsparse_complex_numIfElifS2_S2_EEvT3_20rocsparse_direction_NS_24const_host_device_scalarIT1_EES3_PKS3_PKT2_SC_S9_PKT4_PKT5_S7_PT6_21rocsparse_index_base_b,comdat
	.globl	_ZN9rocsparseL18bsrxmvn_4x4_kernelILj128ELj64E21rocsparse_complex_numIfElifS2_S2_EEvT3_20rocsparse_direction_NS_24const_host_device_scalarIT1_EES3_PKS3_PKT2_SC_S9_PKT4_PKT5_S7_PT6_21rocsparse_index_base_b ; -- Begin function _ZN9rocsparseL18bsrxmvn_4x4_kernelILj128ELj64E21rocsparse_complex_numIfElifS2_S2_EEvT3_20rocsparse_direction_NS_24const_host_device_scalarIT1_EES3_PKS3_PKT2_SC_S9_PKT4_PKT5_S7_PT6_21rocsparse_index_base_b
	.p2align	8
	.type	_ZN9rocsparseL18bsrxmvn_4x4_kernelILj128ELj64E21rocsparse_complex_numIfElifS2_S2_EEvT3_20rocsparse_direction_NS_24const_host_device_scalarIT1_EES3_PKS3_PKT2_SC_S9_PKT4_PKT5_S7_PT6_21rocsparse_index_base_b,@function
_ZN9rocsparseL18bsrxmvn_4x4_kernelILj128ELj64E21rocsparse_complex_numIfElifS2_S2_EEvT3_20rocsparse_direction_NS_24const_host_device_scalarIT1_EES3_PKS3_PKT2_SC_S9_PKT4_PKT5_S7_PT6_21rocsparse_index_base_b: ; @_ZN9rocsparseL18bsrxmvn_4x4_kernelILj128ELj64E21rocsparse_complex_numIfElifS2_S2_EEvT3_20rocsparse_direction_NS_24const_host_device_scalarIT1_EES3_PKS3_PKT2_SC_S9_PKT4_PKT5_S7_PT6_21rocsparse_index_base_b
; %bb.0:
	s_clause 0x2
	s_load_b64 s[12:13], s[0:1], 0x58
	s_load_b64 s[2:3], s[0:1], 0x8
	;; [unrolled: 1-line block ×3, first 2 shown]
	v_mov_b32_e32 v1, 0
	s_add_nc_u64 s[6:7], s[0:1], 8
	s_add_nc_u64 s[8:9], s[0:1], 0x48
	s_wait_kmcnt 0x0
	s_bitcmp1_b32 s13, 0
	s_cselect_b32 s3, s7, s3
	s_cselect_b32 s2, s6, s2
	;; [unrolled: 1-line block ×4, first 2 shown]
	s_clause 0x1
	flat_load_b64 v[2:3], v1, s[2:3]
	flat_load_b64 v[4:5], v1, s[4:5]
	s_wait_loadcnt_dscnt 0x101
	v_cmp_neq_f32_e32 vcc_lo, 0, v2
	v_cmp_neq_f32_e64 s3, 0, v3
	s_wait_loadcnt_dscnt 0x0
	v_cmp_neq_f32_e64 s4, 1.0, v4
	v_cmp_neq_f32_e64 s2, 0, v5
	s_or_b32 s5, vcc_lo, s3
	s_mov_b32 s3, 0
	s_or_b32 s4, s4, s2
	s_delay_alu instid0(SALU_CYCLE_1) | instskip(NEXT) | instid1(SALU_CYCLE_1)
	s_or_b32 s4, s5, s4
	s_and_saveexec_b32 s5, s4
	s_cbranch_execz .LBB129_6
; %bb.1:
	s_clause 0x1
	s_load_b64 s[4:5], s[0:1], 0x18
	s_load_b64 s[14:15], s[0:1], 0x0
	s_bfe_u32 s6, ttmp6, 0x4000c
	s_and_b32 s7, ttmp6, 15
	s_add_co_i32 s6, s6, 1
	s_getreg_b32 s8, hwreg(HW_REG_IB_STS2, 6, 4)
	s_mul_i32 s6, ttmp9, s6
	v_lshrrev_b32_e32 v1, 6, v0
	s_add_co_i32 s7, s7, s6
	s_cmp_eq_u32 s8, 0
	s_cselect_b32 s6, ttmp9, s7
	s_delay_alu instid0(VALU_DEP_1) | instid1(SALU_CYCLE_1)
	v_lshl_or_b32 v6, s6, 1, v1
	s_wait_kmcnt 0x0
	s_cmp_lg_u64 s[4:5], 0
	s_cbranch_scc0 .LBB129_7
; %bb.2:
	s_load_b32 s3, s[0:1], 0x10
	s_mov_b32 s6, 0
                                        ; implicit-def: $vgpr1
	s_wait_kmcnt 0x0
	v_cmp_gt_i32_e32 vcc_lo, s3, v6
	s_mov_b32 s3, 0
	s_and_saveexec_b32 s7, vcc_lo
	s_delay_alu instid0(SALU_CYCLE_1)
	s_xor_b32 s7, exec_lo, s7
	s_cbranch_execz .LBB129_4
; %bb.3:
	global_load_b32 v1, v6, s[4:5] scale_offset
	s_mov_b32 s3, exec_lo
	s_wait_loadcnt 0x0
	v_subrev_nc_u32_e32 v1, s12, v1
.LBB129_4:
	s_or_b32 exec_lo, exec_lo, s7
	s_delay_alu instid0(SALU_CYCLE_1)
	s_and_b32 vcc_lo, exec_lo, s6
	s_cbranch_vccz .LBB129_8
.LBB129_5:
	v_cmp_gt_i32_e32 vcc_lo, s14, v6
	s_and_not1_b32 s3, s3, exec_lo
	s_and_b32 s4, vcc_lo, exec_lo
	s_delay_alu instid0(SALU_CYCLE_1) | instskip(NEXT) | instid1(SALU_CYCLE_1)
	s_or_b32 s3, s3, s4
	s_and_b32 exec_lo, exec_lo, s3
	s_cbranch_execnz .LBB129_9
.LBB129_6:
	s_sendmsg sendmsg(MSG_DEALLOC_VGPRS)
	s_endpgm
.LBB129_7:
                                        ; implicit-def: $vgpr1
	s_cbranch_execnz .LBB129_5
.LBB129_8:
	s_delay_alu instid0(VALU_DEP_1)
	v_mov_b32_e32 v6, v1
	s_and_b32 exec_lo, exec_lo, s3
	s_cbranch_execz .LBB129_6
.LBB129_9:
	s_load_b256 s[4:11], s[0:1], 0x20
	s_mov_b32 s13, 0
	v_dual_mov_b32 v1, 0 :: v_dual_bitop2_b32 v0, 63, v0 bitop3:0x40
	s_wait_kmcnt 0x0
	s_cmp_eq_u64 s[6:7], 0
	global_load_b64 v[22:23], v6, s[4:5] scale_offset
	s_cselect_b32 vcc_lo, -1, 0
	v_ashrrev_i32_e32 v7, 31, v6
	s_cmp_eq_u32 s15, 1
	s_delay_alu instid0(VALU_DEP_1) | instskip(NEXT) | instid1(VALU_DEP_1)
	v_lshlrev_b64_e32 v[8:9], 3, v[6:7]
	v_add_nc_u64_e32 v[10:11], s[4:5], v[8:9]
	v_add_nc_u64_e32 v[8:9], s[6:7], v[8:9]
	s_wait_xcnt 0x0
	s_load_b64 s[4:5], s[0:1], 0x40
	s_delay_alu instid0(VALU_DEP_2) | instskip(NEXT) | instid1(VALU_DEP_1)
	v_add_nc_u64_e32 v[10:11], 8, v[10:11]
	v_dual_cndmask_b32 v9, v9, v11 :: v_dual_cndmask_b32 v8, v8, v10
	global_load_b64 v[10:11], v[8:9], off
	s_wait_loadcnt 0x1
	s_wait_xcnt 0x0
	v_sub_nc_u64_e64 v[8:9], v[22:23], s[12:13]
	s_delay_alu instid0(VALU_DEP_1) | instskip(NEXT) | instid1(VALU_DEP_1)
	v_add_nc_u64_e32 v[8:9], v[8:9], v[0:1]
	v_lshlrev_b64_e32 v[12:13], 6, v[8:9]
	s_delay_alu instid0(VALU_DEP_1) | instskip(SKIP_2) | instid1(VALU_DEP_1)
	v_add_nc_u64_e32 v[12:13], s[10:11], v[12:13]
	s_wait_loadcnt 0x0
	v_sub_nc_u64_e64 v[10:11], v[10:11], s[12:13]
	v_cmp_lt_i64_e64 s3, v[8:9], v[10:11]
	s_cbranch_scc1 .LBB129_21
; %bb.10:
	v_dual_mov_b32 v15, v1 :: v_dual_mov_b32 v14, v1
	v_dual_mov_b32 v17, v1 :: v_dual_mov_b32 v16, v1
	;; [unrolled: 1-line block ×4, first 2 shown]
	s_and_saveexec_b32 s6, s3
	s_cbranch_execz .LBB129_20
; %bb.11:
	v_dual_mov_b32 v15, v1 :: v_dual_bitop2_b32 v14, 64, v0 bitop3:0x54
	v_sub_nc_u64_e32 v[16:17], s[12:13], v[0:1]
	v_not_b32_e32 v19, v23
	v_not_b32_e32 v18, v22
	v_mov_b64_e32 v[24:25], v[12:13]
	v_sub_nc_u64_e64 v[14:15], v[14:15], s[12:13]
	v_mov_b64_e32 v[26:27], v[8:9]
	s_delay_alu instid0(VALU_DEP_4) | instskip(SKIP_1) | instid1(VALU_DEP_4)
	v_add_nc_u64_e32 v[16:17], v[16:17], v[18:19]
	v_mov_b32_e32 v19, 0
	v_add_nc_u64_e32 v[14:15], v[14:15], v[22:23]
	s_delay_alu instid0(VALU_DEP_2) | instskip(NEXT) | instid1(VALU_DEP_2)
	v_dual_mov_b32 v20, v19 :: v_dual_mov_b32 v21, v19
	v_max_i64 v[14:15], v[14:15], v[10:11]
	s_delay_alu instid0(VALU_DEP_1) | instskip(SKIP_2) | instid1(VALU_DEP_3)
	v_add_nc_u64_e32 v[28:29], v[16:17], v[14:15]
	v_dual_mov_b32 v16, v19 :: v_dual_mov_b32 v17, v19
	v_dual_mov_b32 v14, v19 :: v_dual_mov_b32 v15, v19
	v_and_b32_e32 v18, 0xc0, v28
	s_delay_alu instid0(VALU_DEP_1)
	v_cmp_ne_u64_e32 vcc_lo, 0xc0, v[18:19]
	v_mov_b32_e32 v18, v19
	s_and_saveexec_b32 s7, vcc_lo
	s_cbranch_execz .LBB129_15
; %bb.12:
	v_dual_lshrrev_b32 v7, 6, v28 :: v_dual_mov_b32 v31, 0
	v_mov_b64_e32 v[26:27], v[8:9]
	v_mov_b64_e32 v[24:25], v[12:13]
	v_lshl_add_u64 v[32:33], v[8:9], 2, s[8:9]
	s_delay_alu instid0(VALU_DEP_4) | instskip(SKIP_2) | instid1(VALU_DEP_3)
	v_dual_mov_b32 v18, v31 :: v_dual_add_nc_u32 v7, 1, v7
	v_bfrev_b32_e32 v34, 1
	v_dual_mov_b32 v20, v31 :: v_dual_mov_b32 v21, v31
	v_dual_mov_b32 v19, v31 :: v_dual_bitop2_b32 v30, 3, v7 bitop3:0x40
	v_dual_mov_b32 v16, v31 :: v_dual_mov_b32 v17, v31
	v_dual_mov_b32 v14, v31 :: v_dual_mov_b32 v15, v31
	s_delay_alu instid0(VALU_DEP_3)
	v_sub_nc_u64_e32 v[36:37], 0, v[30:31]
	s_mov_b32 s10, 0
.LBB129_13:                             ; =>This Inner Loop Header: Depth=1
	global_load_b32 v7, v[32:33], off
	s_clause 0x1
	global_load_b128 v[38:41], v[24:25], off offset:16
	global_load_b128 v[42:45], v[24:25], off
	v_add_nc_u64_e32 v[36:37], 1, v[36:37]
	v_add_nc_u64_e32 v[26:27], 64, v[26:27]
	s_wait_xcnt 0x2
	v_add_nc_u64_e32 v[32:33], 0x100, v[32:33]
	s_delay_alu instid0(VALU_DEP_3)
	v_cmp_eq_u64_e32 vcc_lo, 0, v[36:37]
	s_or_b32 s10, vcc_lo, s10
	s_wait_loadcnt 0x2
	v_subrev_nc_u32_e32 v7, s12, v7
	s_wait_loadcnt 0x0
	v_dual_mov_b32 v30, v42 :: v_dual_mov_b32 v35, v42
	s_delay_alu instid0(VALU_DEP_2) | instskip(NEXT) | instid1(VALU_DEP_1)
	v_lshlrev_b32_e32 v46, 2, v7
	v_ashrrev_i32_e32 v47, 31, v46
	s_wait_kmcnt 0x0
	s_delay_alu instid0(VALU_DEP_1)
	v_lshl_add_u64 v[62:63], v[46:47], 3, s[4:5]
	s_clause 0x1
	global_load_b128 v[46:49], v[62:63], off
	global_load_b128 v[50:53], v[62:63], off offset:16
	s_clause 0x1
	global_load_b128 v[54:57], v[24:25], off offset:32
	global_load_b128 v[58:61], v[24:25], off offset:48
	s_wait_xcnt 0x0
	v_add_nc_u64_e32 v[24:25], 0x1000, v[24:25]
	s_wait_loadcnt 0x3
	v_pk_fma_f32 v[14:15], v[46:47], v[30:31], v[14:15] op_sel_hi:[0,1,1]
	v_dual_mov_b32 v30, v43 :: v_dual_mov_b32 v42, v49
	s_wait_loadcnt 0x2
	v_mov_b32_e32 v62, v53
	s_delay_alu instid0(VALU_DEP_3) | instskip(SKIP_1) | instid1(VALU_DEP_2)
	v_pk_fma_f32 v[14:15], v[46:47], v[34:35], v[14:15] op_sel:[1,0,0]
	v_mov_b32_e32 v35, v43
	v_pk_fma_f32 v[14:15], v[48:49], v[30:31], v[14:15] op_sel_hi:[0,1,1]
	v_mov_b32_e32 v30, v44
	s_delay_alu instid0(VALU_DEP_2) | instskip(SKIP_1) | instid1(VALU_DEP_2)
	v_pk_fma_f32 v[14:15], v[42:43], v[34:35], v[14:15] op_sel_hi:[0,1,1]
	v_mov_b32_e32 v35, v44
	v_pk_fma_f32 v[14:15], v[50:51], v[30:31], v[14:15] op_sel_hi:[0,1,1]
	v_mov_b32_e32 v30, v45
	s_delay_alu instid0(VALU_DEP_2) | instskip(SKIP_1) | instid1(VALU_DEP_2)
	v_pk_fma_f32 v[14:15], v[50:51], v[34:35], v[14:15] op_sel:[1,0,0]
	v_mov_b32_e32 v35, v45
	v_pk_fma_f32 v[14:15], v[52:53], v[30:31], v[14:15] op_sel_hi:[0,1,1]
	v_mov_b32_e32 v30, v38
	s_delay_alu instid0(VALU_DEP_2) | instskip(SKIP_1) | instid1(VALU_DEP_3)
	v_pk_fma_f32 v[14:15], v[62:63], v[34:35], v[14:15] op_sel_hi:[0,1,1]
	v_mov_b32_e32 v35, v38
	v_pk_fma_f32 v[16:17], v[46:47], v[30:31], v[16:17] op_sel_hi:[0,1,1]
	v_mov_b32_e32 v30, v39
	s_delay_alu instid0(VALU_DEP_2) | instskip(SKIP_1) | instid1(VALU_DEP_2)
	v_pk_fma_f32 v[16:17], v[46:47], v[34:35], v[16:17] op_sel:[1,0,0]
	v_mov_b32_e32 v35, v39
	v_pk_fma_f32 v[16:17], v[48:49], v[30:31], v[16:17] op_sel_hi:[0,1,1]
	v_mov_b32_e32 v30, v40
	s_delay_alu instid0(VALU_DEP_2) | instskip(SKIP_1) | instid1(VALU_DEP_2)
	v_pk_fma_f32 v[16:17], v[42:43], v[34:35], v[16:17] op_sel_hi:[0,1,1]
	v_mov_b32_e32 v35, v40
	v_pk_fma_f32 v[16:17], v[50:51], v[30:31], v[16:17] op_sel_hi:[0,1,1]
	v_mov_b32_e32 v30, v41
	s_delay_alu instid0(VALU_DEP_2) | instskip(SKIP_1) | instid1(VALU_DEP_2)
	v_pk_fma_f32 v[16:17], v[50:51], v[34:35], v[16:17] op_sel:[1,0,0]
	v_mov_b32_e32 v35, v41
	v_pk_fma_f32 v[16:17], v[52:53], v[30:31], v[16:17] op_sel_hi:[0,1,1]
	s_wait_loadcnt 0x1
	v_mov_b32_e32 v30, v54
	s_delay_alu instid0(VALU_DEP_2) | instskip(SKIP_1) | instid1(VALU_DEP_3)
	v_pk_fma_f32 v[16:17], v[62:63], v[34:35], v[16:17] op_sel_hi:[0,1,1]
	v_mov_b32_e32 v35, v54
	v_pk_fma_f32 v[20:21], v[46:47], v[30:31], v[20:21] op_sel_hi:[0,1,1]
	v_mov_b32_e32 v30, v55
	s_delay_alu instid0(VALU_DEP_2) | instskip(SKIP_1) | instid1(VALU_DEP_2)
	v_pk_fma_f32 v[20:21], v[46:47], v[34:35], v[20:21] op_sel:[1,0,0]
	v_mov_b32_e32 v35, v55
	v_pk_fma_f32 v[20:21], v[48:49], v[30:31], v[20:21] op_sel_hi:[0,1,1]
	v_mov_b32_e32 v30, v56
	s_delay_alu instid0(VALU_DEP_2) | instskip(SKIP_1) | instid1(VALU_DEP_2)
	v_pk_fma_f32 v[20:21], v[42:43], v[34:35], v[20:21] op_sel_hi:[0,1,1]
	v_mov_b32_e32 v35, v56
	v_pk_fma_f32 v[20:21], v[50:51], v[30:31], v[20:21] op_sel_hi:[0,1,1]
	v_mov_b32_e32 v30, v57
	s_delay_alu instid0(VALU_DEP_2) | instskip(SKIP_1) | instid1(VALU_DEP_2)
	v_pk_fma_f32 v[20:21], v[50:51], v[34:35], v[20:21] op_sel:[1,0,0]
	v_mov_b32_e32 v35, v57
	v_pk_fma_f32 v[20:21], v[52:53], v[30:31], v[20:21] op_sel_hi:[0,1,1]
	s_wait_loadcnt 0x0
	v_mov_b32_e32 v30, v58
	s_delay_alu instid0(VALU_DEP_2) | instskip(SKIP_1) | instid1(VALU_DEP_3)
	v_pk_fma_f32 v[20:21], v[62:63], v[34:35], v[20:21] op_sel_hi:[0,1,1]
	v_mov_b32_e32 v35, v58
	v_pk_fma_f32 v[18:19], v[46:47], v[30:31], v[18:19] op_sel_hi:[0,1,1]
	v_mov_b32_e32 v30, v59
	s_delay_alu instid0(VALU_DEP_2) | instskip(SKIP_1) | instid1(VALU_DEP_2)
	v_pk_fma_f32 v[18:19], v[46:47], v[34:35], v[18:19] op_sel:[1,0,0]
	v_mov_b32_e32 v35, v59
	v_pk_fma_f32 v[18:19], v[48:49], v[30:31], v[18:19] op_sel_hi:[0,1,1]
	v_mov_b32_e32 v30, v60
	s_delay_alu instid0(VALU_DEP_2) | instskip(SKIP_1) | instid1(VALU_DEP_2)
	v_pk_fma_f32 v[18:19], v[42:43], v[34:35], v[18:19] op_sel_hi:[0,1,1]
	v_mov_b32_e32 v35, v60
	v_pk_fma_f32 v[18:19], v[50:51], v[30:31], v[18:19] op_sel_hi:[0,1,1]
	v_mov_b32_e32 v30, v61
	s_delay_alu instid0(VALU_DEP_2) | instskip(SKIP_1) | instid1(VALU_DEP_2)
	v_pk_fma_f32 v[18:19], v[50:51], v[34:35], v[18:19] op_sel:[1,0,0]
	v_mov_b32_e32 v35, v61
	v_pk_fma_f32 v[18:19], v[52:53], v[30:31], v[18:19] op_sel_hi:[0,1,1]
	s_delay_alu instid0(VALU_DEP_1)
	v_pk_fma_f32 v[18:19], v[62:63], v[34:35], v[18:19] op_sel_hi:[0,1,1]
	s_and_not1_b32 exec_lo, exec_lo, s10
	s_cbranch_execnz .LBB129_13
; %bb.14:
	s_or_b32 exec_lo, exec_lo, s10
.LBB129_15:
	s_delay_alu instid0(SALU_CYCLE_1) | instskip(NEXT) | instid1(SALU_CYCLE_1)
	s_or_b32 exec_lo, exec_lo, s7
	s_mov_b32 s7, exec_lo
	v_cmpx_lt_u64_e32 0xbf, v[28:29]
	s_cbranch_execz .LBB129_19
; %bb.16:
	v_lshl_add_u64 v[28:29], v[26:27], 2, s[8:9]
	v_mov_b32_e32 v31, 0
	v_bfrev_b32_e32 v32, 1
	s_mov_b32 s10, 0
	s_delay_alu instid0(VALU_DEP_3)
	v_add_nc_u64_e32 v[28:29], 0x200, v[28:29]
.LBB129_17:                             ; =>This Inner Loop Header: Depth=1
	s_clause 0x1
	global_load_b32 v7, v[28:29], off offset:-512
	global_load_b32 v30, v[28:29], off offset:-256
	s_clause 0x7
	global_load_b128 v[34:37], v[24:25], off
	global_load_b128 v[38:41], v[24:25], off offset:16
	global_load_b128 v[42:45], v[24:25], off offset:4144
	global_load_b128 v[46:49], v[24:25], off offset:4128
	global_load_b128 v[50:53], v[24:25], off offset:4112
	global_load_b128 v[54:57], v[24:25], off offset:4096
	global_load_b128 v[58:61], v[24:25], off offset:48
	global_load_b128 v[62:65], v[24:25], off offset:32
	s_clause 0x1
	global_load_b32 v94, v[28:29], off
	global_load_b32 v95, v[28:29], off offset:256
	global_load_b128 v[66:69], v[24:25], off offset:8192
	v_add_nc_u64_e32 v[26:27], 0x100, v[26:27]
	s_wait_xcnt 0x1
	v_add_nc_u64_e32 v[28:29], 0x400, v[28:29]
	s_delay_alu instid0(VALU_DEP_2)
	v_cmp_ge_i64_e32 vcc_lo, v[26:27], v[10:11]
	s_or_b32 s10, vcc_lo, s10
	s_wait_loadcnt 0xc
	v_subrev_nc_u32_e32 v7, s12, v7
	s_wait_loadcnt 0xb
	v_subrev_nc_u32_e32 v71, s12, v30
	s_wait_loadcnt 0xa
	v_dual_mov_b32 v30, v34 :: v_dual_mov_b32 v33, v34
	s_delay_alu instid0(VALU_DEP_2) | instskip(SKIP_3) | instid1(VALU_DEP_2)
	v_lshlrev_b32_e32 v72, 2, v71
	v_lshlrev_b32_e32 v70, 2, v7
	s_wait_loadcnt 0x2
	v_subrev_nc_u32_e32 v7, s12, v94
	v_dual_ashrrev_i32 v73, 31, v72 :: v_dual_ashrrev_i32 v71, 31, v70
	s_wait_kmcnt 0x0
	s_delay_alu instid0(VALU_DEP_1) | instskip(NEXT) | instid1(VALU_DEP_2)
	v_lshl_add_u64 v[88:89], v[72:73], 3, s[4:5]
	v_lshl_add_u64 v[86:87], v[70:71], 3, s[4:5]
	s_clause 0x3
	global_load_b128 v[70:73], v[86:87], off
	global_load_b128 v[74:77], v[86:87], off offset:16
	global_load_b128 v[78:81], v[88:89], off
	global_load_b128 v[82:85], v[88:89], off offset:16
	s_wait_loadcnt 0x3
	v_pk_fma_f32 v[14:15], v[70:71], v[30:31], v[14:15] op_sel_hi:[0,1,1]
	s_wait_xcnt 0x2
	v_dual_mov_b32 v30, v35 :: v_dual_mov_b32 v86, v73
	s_wait_loadcnt 0x2
	s_wait_xcnt 0x0
	v_mov_b32_e32 v88, v77
	v_pk_fma_f32 v[14:15], v[70:71], v[32:33], v[14:15] op_sel:[1,0,0]
	v_mov_b32_e32 v33, v35
	s_delay_alu instid0(VALU_DEP_2) | instskip(SKIP_1) | instid1(VALU_DEP_2)
	v_pk_fma_f32 v[14:15], v[72:73], v[30:31], v[14:15] op_sel_hi:[0,1,1]
	v_mov_b32_e32 v30, v36
	v_pk_fma_f32 v[14:15], v[86:87], v[32:33], v[14:15] op_sel_hi:[0,1,1]
	v_mov_b32_e32 v33, v36
	s_delay_alu instid0(VALU_DEP_2) | instskip(SKIP_1) | instid1(VALU_DEP_2)
	v_pk_fma_f32 v[14:15], v[74:75], v[30:31], v[14:15] op_sel_hi:[0,1,1]
	v_mov_b32_e32 v30, v37
	v_pk_fma_f32 v[14:15], v[74:75], v[32:33], v[14:15] op_sel:[1,0,0]
	v_mov_b32_e32 v33, v37
	s_delay_alu instid0(VALU_DEP_2) | instskip(SKIP_1) | instid1(VALU_DEP_2)
	v_pk_fma_f32 v[14:15], v[76:77], v[30:31], v[14:15] op_sel_hi:[0,1,1]
	v_mov_b32_e32 v30, v54
	v_pk_fma_f32 v[14:15], v[88:89], v[32:33], v[14:15] op_sel_hi:[0,1,1]
	v_mov_b32_e32 v33, v54
	s_wait_loadcnt 0x1
	s_delay_alu instid0(VALU_DEP_2) | instskip(SKIP_1) | instid1(VALU_DEP_2)
	v_pk_fma_f32 v[14:15], v[78:79], v[30:31], v[14:15] op_sel_hi:[0,1,1]
	v_mov_b32_e32 v30, v38
	v_pk_fma_f32 v[90:91], v[78:79], v[32:33], v[14:15] op_sel:[1,0,0]
	v_mov_b32_e32 v33, v38
	s_delay_alu instid0(VALU_DEP_3) | instskip(SKIP_1) | instid1(VALU_DEP_2)
	v_pk_fma_f32 v[14:15], v[70:71], v[30:31], v[16:17] op_sel_hi:[0,1,1]
	v_mov_b32_e32 v30, v39
	v_pk_fma_f32 v[14:15], v[70:71], v[32:33], v[14:15] op_sel:[1,0,0]
	v_mov_b32_e32 v33, v39
	v_subrev_nc_u32_e32 v39, s12, v95
	s_delay_alu instid0(VALU_DEP_3) | instskip(SKIP_1) | instid1(VALU_DEP_2)
	v_pk_fma_f32 v[14:15], v[72:73], v[30:31], v[14:15] op_sel_hi:[0,1,1]
	v_mov_b32_e32 v30, v40
	v_pk_fma_f32 v[14:15], v[86:87], v[32:33], v[14:15] op_sel_hi:[0,1,1]
	s_delay_alu instid0(VALU_DEP_4) | instskip(SKIP_1) | instid1(VALU_DEP_3)
	v_dual_mov_b32 v33, v40 :: v_dual_lshlrev_b32 v40, 2, v39
	v_lshlrev_b32_e32 v38, 2, v7
	v_pk_fma_f32 v[14:15], v[74:75], v[30:31], v[14:15] op_sel_hi:[0,1,1]
	v_mov_b32_e32 v30, v41
	s_delay_alu instid0(VALU_DEP_2)
	v_pk_fma_f32 v[34:35], v[74:75], v[32:33], v[14:15] op_sel:[1,0,0]
	v_dual_mov_b32 v33, v41 :: v_dual_ashrrev_i32 v41, 31, v40
	v_ashrrev_i32_e32 v39, 31, v38
	global_load_b128 v[14:17], v[24:25], off offset:12288
	v_pk_fma_f32 v[34:35], v[76:77], v[30:31], v[34:35] op_sel_hi:[0,1,1]
	v_mov_b32_e32 v30, v50
	v_lshl_add_u64 v[94:95], v[40:41], 3, s[4:5]
	s_delay_alu instid0(VALU_DEP_3) | instskip(SKIP_1) | instid1(VALU_DEP_2)
	v_pk_fma_f32 v[34:35], v[88:89], v[32:33], v[34:35] op_sel_hi:[0,1,1]
	v_mov_b32_e32 v33, v50
	v_pk_fma_f32 v[34:35], v[78:79], v[30:31], v[34:35] op_sel_hi:[0,1,1]
	v_mov_b32_e32 v30, v62
	s_delay_alu instid0(VALU_DEP_2) | instskip(SKIP_1) | instid1(VALU_DEP_3)
	v_pk_fma_f32 v[92:93], v[78:79], v[32:33], v[34:35] op_sel:[1,0,0]
	v_mov_b32_e32 v33, v62
	v_pk_fma_f32 v[20:21], v[70:71], v[30:31], v[20:21] op_sel_hi:[0,1,1]
	v_mov_b32_e32 v30, v63
	global_load_b128 v[34:37], v[24:25], off offset:8208
	v_pk_fma_f32 v[20:21], v[70:71], v[32:33], v[20:21] op_sel:[1,0,0]
	v_mov_b32_e32 v33, v63
	v_lshl_add_u64 v[62:63], v[38:39], 3, s[4:5]
	s_delay_alu instid0(VALU_DEP_3) | instskip(SKIP_4) | instid1(VALU_DEP_2)
	v_pk_fma_f32 v[20:21], v[72:73], v[30:31], v[20:21] op_sel_hi:[0,1,1]
	v_mov_b32_e32 v30, v64
	global_load_b128 v[38:41], v[62:63], off
	v_pk_fma_f32 v[20:21], v[86:87], v[32:33], v[20:21] op_sel_hi:[0,1,1]
	v_mov_b32_e32 v33, v64
	v_pk_fma_f32 v[20:21], v[74:75], v[30:31], v[20:21] op_sel_hi:[0,1,1]
	v_mov_b32_e32 v30, v65
	s_delay_alu instid0(VALU_DEP_2) | instskip(SKIP_1) | instid1(VALU_DEP_2)
	v_pk_fma_f32 v[20:21], v[74:75], v[32:33], v[20:21] op_sel:[1,0,0]
	v_mov_b32_e32 v33, v65
	v_pk_fma_f32 v[20:21], v[76:77], v[30:31], v[20:21] op_sel_hi:[0,1,1]
	v_mov_b32_e32 v30, v46
	s_delay_alu instid0(VALU_DEP_2) | instskip(SKIP_1) | instid1(VALU_DEP_2)
	v_pk_fma_f32 v[20:21], v[88:89], v[32:33], v[20:21] op_sel_hi:[0,1,1]
	v_mov_b32_e32 v33, v46
	v_pk_fma_f32 v[20:21], v[78:79], v[30:31], v[20:21] op_sel_hi:[0,1,1]
	v_mov_b32_e32 v30, v58
	s_delay_alu instid0(VALU_DEP_2) | instskip(SKIP_1) | instid1(VALU_DEP_3)
	v_pk_fma_f32 v[96:97], v[78:79], v[32:33], v[20:21] op_sel:[1,0,0]
	v_mov_b32_e32 v33, v58
	v_pk_fma_f32 v[18:19], v[70:71], v[30:31], v[18:19] op_sel_hi:[0,1,1]
	v_mov_b32_e32 v30, v59
	s_delay_alu instid0(VALU_DEP_2) | instskip(SKIP_1) | instid1(VALU_DEP_2)
	v_pk_fma_f32 v[18:19], v[70:71], v[32:33], v[18:19] op_sel:[1,0,0]
	v_mov_b32_e32 v33, v59
	v_pk_fma_f32 v[18:19], v[72:73], v[30:31], v[18:19] op_sel_hi:[0,1,1]
	v_mov_b32_e32 v30, v60
	global_load_b128 v[70:73], v[94:95], off offset:16
	v_pk_fma_f32 v[18:19], v[86:87], v[32:33], v[18:19] op_sel_hi:[0,1,1]
	v_mov_b32_e32 v33, v60
	s_delay_alu instid0(VALU_DEP_2) | instskip(SKIP_1) | instid1(VALU_DEP_2)
	v_pk_fma_f32 v[18:19], v[74:75], v[30:31], v[18:19] op_sel_hi:[0,1,1]
	v_mov_b32_e32 v30, v61
	v_pk_fma_f32 v[18:19], v[74:75], v[32:33], v[18:19] op_sel:[1,0,0]
	v_mov_b32_e32 v33, v61
	s_clause 0x1
	global_load_b128 v[58:61], v[94:95], off
	global_load_b128 v[62:65], v[62:63], off offset:16
	v_mov_b32_e32 v74, v81
	v_pk_fma_f32 v[18:19], v[76:77], v[30:31], v[18:19] op_sel_hi:[0,1,1]
	s_wait_loadcnt 0x6
	v_dual_mov_b32 v30, v42 :: v_dual_mov_b32 v76, v85
	s_delay_alu instid0(VALU_DEP_2) | instskip(SKIP_1) | instid1(VALU_DEP_2)
	v_pk_fma_f32 v[18:19], v[88:89], v[32:33], v[18:19] op_sel_hi:[0,1,1]
	v_mov_b32_e32 v33, v42
	v_pk_fma_f32 v[18:19], v[78:79], v[30:31], v[18:19] op_sel_hi:[0,1,1]
	v_mov_b32_e32 v30, v55
	s_delay_alu instid0(VALU_DEP_2) | instskip(SKIP_1) | instid1(VALU_DEP_3)
	v_pk_fma_f32 v[78:79], v[78:79], v[32:33], v[18:19] op_sel:[1,0,0]
	v_mov_b32_e32 v33, v55
	v_pk_fma_f32 v[18:19], v[80:81], v[30:31], v[90:91] op_sel_hi:[0,1,1]
	v_mov_b32_e32 v30, v56
	s_delay_alu instid0(VALU_DEP_2) | instskip(SKIP_1) | instid1(VALU_DEP_2)
	v_pk_fma_f32 v[18:19], v[74:75], v[32:33], v[18:19] op_sel_hi:[0,1,1]
	v_mov_b32_e32 v33, v56
	v_pk_fma_f32 v[18:19], v[82:83], v[30:31], v[18:19] op_sel_hi:[0,1,1]
	v_mov_b32_e32 v30, v57
	s_delay_alu instid0(VALU_DEP_2) | instskip(SKIP_1) | instid1(VALU_DEP_2)
	v_pk_fma_f32 v[18:19], v[82:83], v[32:33], v[18:19] op_sel:[1,0,0]
	v_mov_b32_e32 v33, v57
	v_pk_fma_f32 v[18:19], v[84:85], v[30:31], v[18:19] op_sel_hi:[0,1,1]
	v_mov_b32_e32 v30, v66
	s_delay_alu instid0(VALU_DEP_2) | instskip(SKIP_2) | instid1(VALU_DEP_2)
	v_pk_fma_f32 v[18:19], v[76:77], v[32:33], v[18:19] op_sel_hi:[0,1,1]
	s_wait_loadcnt 0x3
	v_dual_mov_b32 v33, v66 :: v_dual_mov_b32 v42, v41
	v_pk_fma_f32 v[18:19], v[38:39], v[30:31], v[18:19] op_sel_hi:[0,1,1]
	v_mov_b32_e32 v30, v67
	s_delay_alu instid0(VALU_DEP_2) | instskip(SKIP_1) | instid1(VALU_DEP_2)
	v_pk_fma_f32 v[18:19], v[38:39], v[32:33], v[18:19] op_sel:[1,0,0]
	v_mov_b32_e32 v33, v67
	v_pk_fma_f32 v[18:19], v[40:41], v[30:31], v[18:19] op_sel_hi:[0,1,1]
	v_mov_b32_e32 v30, v68
	s_delay_alu instid0(VALU_DEP_2)
	v_pk_fma_f32 v[18:19], v[42:43], v[32:33], v[18:19] op_sel_hi:[0,1,1]
	s_wait_loadcnt 0x2
	v_dual_mov_b32 v33, v68 :: v_dual_mov_b32 v86, v73
	s_wait_loadcnt 0x1
	v_mov_b32_e32 v68, v61
	s_wait_loadcnt 0x0
	v_pk_fma_f32 v[18:19], v[30:31], v[62:63], v[18:19] op_sel_hi:[1,0,1]
	v_dual_mov_b32 v30, v69 :: v_dual_mov_b32 v66, v65
	s_delay_alu instid0(VALU_DEP_2) | instskip(SKIP_4) | instid1(VALU_DEP_2)
	v_pk_fma_f32 v[54:55], v[62:63], v[32:33], v[18:19] op_sel:[1,0,0]
	global_load_b128 v[18:21], v[24:25], off offset:12304
	v_mov_b32_e32 v33, v69
	v_pk_fma_f32 v[54:55], v[64:65], v[30:31], v[54:55] op_sel_hi:[0,1,1]
	v_mov_b32_e32 v30, v14
	v_pk_fma_f32 v[54:55], v[66:67], v[32:33], v[54:55] op_sel_hi:[0,1,1]
	v_mov_b32_e32 v33, v14
	s_delay_alu instid0(VALU_DEP_2) | instskip(SKIP_1) | instid1(VALU_DEP_2)
	v_pk_fma_f32 v[54:55], v[58:59], v[30:31], v[54:55] op_sel_hi:[0,1,1]
	v_mov_b32_e32 v30, v15
	v_pk_fma_f32 v[54:55], v[58:59], v[32:33], v[54:55] op_sel:[1,0,0]
	v_mov_b32_e32 v33, v15
	s_delay_alu instid0(VALU_DEP_2) | instskip(SKIP_4) | instid1(VALU_DEP_2)
	v_pk_fma_f32 v[14:15], v[60:61], v[30:31], v[54:55] op_sel_hi:[0,1,1]
	v_mov_b32_e32 v30, v16
	global_load_b128 v[54:57], v[24:25], off offset:8240
	v_pk_fma_f32 v[14:15], v[68:69], v[32:33], v[14:15] op_sel_hi:[0,1,1]
	v_mov_b32_e32 v33, v16
	v_pk_fma_f32 v[14:15], v[70:71], v[30:31], v[14:15] op_sel_hi:[0,1,1]
	v_mov_b32_e32 v30, v17
	s_delay_alu instid0(VALU_DEP_2) | instskip(SKIP_1) | instid1(VALU_DEP_2)
	v_pk_fma_f32 v[14:15], v[70:71], v[32:33], v[14:15] op_sel:[1,0,0]
	v_mov_b32_e32 v33, v17
	v_pk_fma_f32 v[14:15], v[72:73], v[30:31], v[14:15] op_sel_hi:[0,1,1]
	v_mov_b32_e32 v30, v51
	s_delay_alu instid0(VALU_DEP_2) | instskip(SKIP_1) | instid1(VALU_DEP_3)
	v_pk_fma_f32 v[14:15], v[86:87], v[32:33], v[14:15] op_sel_hi:[0,1,1]
	v_mov_b32_e32 v33, v51
	v_pk_fma_f32 v[16:17], v[80:81], v[30:31], v[92:93] op_sel_hi:[0,1,1]
	v_mov_b32_e32 v30, v52
	s_delay_alu instid0(VALU_DEP_2) | instskip(SKIP_1) | instid1(VALU_DEP_2)
	v_pk_fma_f32 v[16:17], v[74:75], v[32:33], v[16:17] op_sel_hi:[0,1,1]
	v_mov_b32_e32 v33, v52
	v_pk_fma_f32 v[16:17], v[82:83], v[30:31], v[16:17] op_sel_hi:[0,1,1]
	v_mov_b32_e32 v30, v53
	s_delay_alu instid0(VALU_DEP_2) | instskip(SKIP_4) | instid1(VALU_DEP_2)
	v_pk_fma_f32 v[16:17], v[82:83], v[32:33], v[16:17] op_sel:[1,0,0]
	v_mov_b32_e32 v33, v53
	global_load_b128 v[50:53], v[24:25], off offset:8224
	v_pk_fma_f32 v[16:17], v[84:85], v[30:31], v[16:17] op_sel_hi:[0,1,1]
	v_mov_b32_e32 v30, v34
	v_pk_fma_f32 v[16:17], v[76:77], v[32:33], v[16:17] op_sel_hi:[0,1,1]
	v_mov_b32_e32 v33, v34
	s_delay_alu instid0(VALU_DEP_2) | instskip(SKIP_1) | instid1(VALU_DEP_2)
	v_pk_fma_f32 v[16:17], v[38:39], v[30:31], v[16:17] op_sel_hi:[0,1,1]
	v_mov_b32_e32 v30, v35
	v_pk_fma_f32 v[16:17], v[38:39], v[32:33], v[16:17] op_sel:[1,0,0]
	v_mov_b32_e32 v33, v35
	s_delay_alu instid0(VALU_DEP_2) | instskip(SKIP_1) | instid1(VALU_DEP_2)
	v_pk_fma_f32 v[16:17], v[40:41], v[30:31], v[16:17] op_sel_hi:[0,1,1]
	v_mov_b32_e32 v30, v36
	v_pk_fma_f32 v[16:17], v[42:43], v[32:33], v[16:17] op_sel_hi:[0,1,1]
	v_mov_b32_e32 v33, v36
	s_delay_alu instid0(VALU_DEP_2) | instskip(SKIP_1) | instid1(VALU_DEP_2)
	v_pk_fma_f32 v[16:17], v[30:31], v[62:63], v[16:17] op_sel_hi:[1,0,1]
	v_mov_b32_e32 v30, v37
	v_pk_fma_f32 v[16:17], v[62:63], v[32:33], v[16:17] op_sel:[1,0,0]
	v_mov_b32_e32 v33, v37
	global_load_b128 v[34:37], v[24:25], off offset:12320
	v_pk_fma_f32 v[16:17], v[64:65], v[30:31], v[16:17] op_sel_hi:[0,1,1]
	s_delay_alu instid0(VALU_DEP_1) | instskip(SKIP_2) | instid1(VALU_DEP_1)
	v_pk_fma_f32 v[16:17], v[66:67], v[32:33], v[16:17] op_sel_hi:[0,1,1]
	s_wait_loadcnt 0x3
	v_dual_mov_b32 v30, v18 :: v_dual_mov_b32 v33, v18
	v_pk_fma_f32 v[16:17], v[58:59], v[30:31], v[16:17] op_sel_hi:[0,1,1]
	v_mov_b32_e32 v30, v19
	s_delay_alu instid0(VALU_DEP_2) | instskip(SKIP_1) | instid1(VALU_DEP_2)
	v_pk_fma_f32 v[16:17], v[58:59], v[32:33], v[16:17] op_sel:[1,0,0]
	v_mov_b32_e32 v33, v19
	v_pk_fma_f32 v[16:17], v[60:61], v[30:31], v[16:17] op_sel_hi:[0,1,1]
	v_mov_b32_e32 v30, v20
	s_delay_alu instid0(VALU_DEP_2) | instskip(SKIP_1) | instid1(VALU_DEP_2)
	v_pk_fma_f32 v[16:17], v[68:69], v[32:33], v[16:17] op_sel_hi:[0,1,1]
	v_mov_b32_e32 v33, v20
	v_pk_fma_f32 v[16:17], v[70:71], v[30:31], v[16:17] op_sel_hi:[0,1,1]
	v_mov_b32_e32 v30, v21
	s_delay_alu instid0(VALU_DEP_2) | instskip(SKIP_1) | instid1(VALU_DEP_2)
	v_pk_fma_f32 v[16:17], v[70:71], v[32:33], v[16:17] op_sel:[1,0,0]
	v_mov_b32_e32 v33, v21
	v_pk_fma_f32 v[16:17], v[72:73], v[30:31], v[16:17] op_sel_hi:[0,1,1]
	v_mov_b32_e32 v30, v47
	s_delay_alu instid0(VALU_DEP_2) | instskip(SKIP_1) | instid1(VALU_DEP_3)
	v_pk_fma_f32 v[16:17], v[86:87], v[32:33], v[16:17] op_sel_hi:[0,1,1]
	v_mov_b32_e32 v33, v47
	v_pk_fma_f32 v[18:19], v[80:81], v[30:31], v[96:97] op_sel_hi:[0,1,1]
	v_mov_b32_e32 v30, v48
	s_delay_alu instid0(VALU_DEP_2) | instskip(SKIP_1) | instid1(VALU_DEP_2)
	v_pk_fma_f32 v[18:19], v[74:75], v[32:33], v[18:19] op_sel_hi:[0,1,1]
	v_mov_b32_e32 v33, v48
	v_pk_fma_f32 v[18:19], v[82:83], v[30:31], v[18:19] op_sel_hi:[0,1,1]
	v_mov_b32_e32 v30, v49
	s_delay_alu instid0(VALU_DEP_2)
	v_pk_fma_f32 v[18:19], v[82:83], v[32:33], v[18:19] op_sel:[1,0,0]
	v_mov_b32_e32 v33, v49
	global_load_b128 v[46:49], v[24:25], off offset:12336
	s_wait_xcnt 0x0
	v_add_nc_u64_e32 v[24:25], 0x4000, v[24:25]
	v_pk_fma_f32 v[18:19], v[84:85], v[30:31], v[18:19] op_sel_hi:[0,1,1]
	s_delay_alu instid0(VALU_DEP_1) | instskip(SKIP_2) | instid1(VALU_DEP_1)
	v_pk_fma_f32 v[18:19], v[76:77], v[32:33], v[18:19] op_sel_hi:[0,1,1]
	s_wait_loadcnt 0x2
	v_dual_mov_b32 v30, v50 :: v_dual_mov_b32 v33, v50
	v_pk_fma_f32 v[18:19], v[38:39], v[30:31], v[18:19] op_sel_hi:[0,1,1]
	v_mov_b32_e32 v30, v51
	s_delay_alu instid0(VALU_DEP_2) | instskip(SKIP_1) | instid1(VALU_DEP_2)
	v_pk_fma_f32 v[18:19], v[38:39], v[32:33], v[18:19] op_sel:[1,0,0]
	v_mov_b32_e32 v33, v51
	v_pk_fma_f32 v[18:19], v[40:41], v[30:31], v[18:19] op_sel_hi:[0,1,1]
	v_mov_b32_e32 v30, v52
	s_delay_alu instid0(VALU_DEP_2) | instskip(SKIP_1) | instid1(VALU_DEP_2)
	v_pk_fma_f32 v[18:19], v[42:43], v[32:33], v[18:19] op_sel_hi:[0,1,1]
	v_mov_b32_e32 v33, v52
	v_pk_fma_f32 v[18:19], v[30:31], v[62:63], v[18:19] op_sel_hi:[1,0,1]
	v_mov_b32_e32 v30, v53
	s_delay_alu instid0(VALU_DEP_2) | instskip(SKIP_1) | instid1(VALU_DEP_2)
	v_pk_fma_f32 v[18:19], v[62:63], v[32:33], v[18:19] op_sel:[1,0,0]
	v_mov_b32_e32 v33, v53
	v_pk_fma_f32 v[18:19], v[64:65], v[30:31], v[18:19] op_sel_hi:[0,1,1]
	s_wait_loadcnt 0x1
	v_mov_b32_e32 v30, v34
	s_delay_alu instid0(VALU_DEP_2) | instskip(SKIP_1) | instid1(VALU_DEP_2)
	v_pk_fma_f32 v[18:19], v[66:67], v[32:33], v[18:19] op_sel_hi:[0,1,1]
	v_mov_b32_e32 v33, v34
	v_pk_fma_f32 v[18:19], v[58:59], v[30:31], v[18:19] op_sel_hi:[0,1,1]
	v_mov_b32_e32 v30, v35
	s_delay_alu instid0(VALU_DEP_2) | instskip(SKIP_1) | instid1(VALU_DEP_2)
	v_pk_fma_f32 v[18:19], v[58:59], v[32:33], v[18:19] op_sel:[1,0,0]
	v_mov_b32_e32 v33, v35
	v_pk_fma_f32 v[18:19], v[60:61], v[30:31], v[18:19] op_sel_hi:[0,1,1]
	v_mov_b32_e32 v30, v36
	s_delay_alu instid0(VALU_DEP_2) | instskip(SKIP_1) | instid1(VALU_DEP_2)
	v_pk_fma_f32 v[18:19], v[68:69], v[32:33], v[18:19] op_sel_hi:[0,1,1]
	v_mov_b32_e32 v33, v36
	v_pk_fma_f32 v[18:19], v[70:71], v[30:31], v[18:19] op_sel_hi:[0,1,1]
	v_mov_b32_e32 v30, v37
	s_delay_alu instid0(VALU_DEP_2) | instskip(SKIP_1) | instid1(VALU_DEP_2)
	v_pk_fma_f32 v[18:19], v[70:71], v[32:33], v[18:19] op_sel:[1,0,0]
	v_mov_b32_e32 v33, v37
	v_pk_fma_f32 v[18:19], v[72:73], v[30:31], v[18:19] op_sel_hi:[0,1,1]
	v_mov_b32_e32 v30, v43
	s_delay_alu instid0(VALU_DEP_2) | instskip(SKIP_1) | instid1(VALU_DEP_3)
	v_pk_fma_f32 v[20:21], v[86:87], v[32:33], v[18:19] op_sel_hi:[0,1,1]
	v_mov_b32_e32 v33, v43
	v_pk_fma_f32 v[18:19], v[80:81], v[30:31], v[78:79] op_sel_hi:[0,1,1]
	v_mov_b32_e32 v30, v44
	s_delay_alu instid0(VALU_DEP_2) | instskip(SKIP_1) | instid1(VALU_DEP_2)
	v_pk_fma_f32 v[18:19], v[74:75], v[32:33], v[18:19] op_sel_hi:[0,1,1]
	v_mov_b32_e32 v33, v44
	v_pk_fma_f32 v[18:19], v[82:83], v[30:31], v[18:19] op_sel_hi:[0,1,1]
	v_mov_b32_e32 v30, v45
	s_delay_alu instid0(VALU_DEP_2) | instskip(SKIP_1) | instid1(VALU_DEP_2)
	v_pk_fma_f32 v[18:19], v[82:83], v[32:33], v[18:19] op_sel:[1,0,0]
	v_mov_b32_e32 v33, v45
	v_pk_fma_f32 v[18:19], v[84:85], v[30:31], v[18:19] op_sel_hi:[0,1,1]
	v_mov_b32_e32 v30, v54
	s_delay_alu instid0(VALU_DEP_2) | instskip(SKIP_1) | instid1(VALU_DEP_2)
	v_pk_fma_f32 v[18:19], v[76:77], v[32:33], v[18:19] op_sel_hi:[0,1,1]
	v_mov_b32_e32 v33, v54
	v_pk_fma_f32 v[18:19], v[38:39], v[30:31], v[18:19] op_sel_hi:[0,1,1]
	v_mov_b32_e32 v30, v55
	s_delay_alu instid0(VALU_DEP_2) | instskip(SKIP_1) | instid1(VALU_DEP_2)
	v_pk_fma_f32 v[18:19], v[38:39], v[32:33], v[18:19] op_sel:[1,0,0]
	;; [unrolled: 10-line block ×3, first 2 shown]
	v_mov_b32_e32 v33, v57
	v_pk_fma_f32 v[18:19], v[64:65], v[30:31], v[18:19] op_sel_hi:[0,1,1]
	s_delay_alu instid0(VALU_DEP_1) | instskip(SKIP_2) | instid1(VALU_DEP_1)
	v_pk_fma_f32 v[18:19], v[66:67], v[32:33], v[18:19] op_sel_hi:[0,1,1]
	s_wait_loadcnt 0x0
	v_dual_mov_b32 v30, v46 :: v_dual_mov_b32 v33, v46
	v_pk_fma_f32 v[18:19], v[58:59], v[30:31], v[18:19] op_sel_hi:[0,1,1]
	v_mov_b32_e32 v30, v47
	s_delay_alu instid0(VALU_DEP_2) | instskip(SKIP_1) | instid1(VALU_DEP_2)
	v_pk_fma_f32 v[18:19], v[58:59], v[32:33], v[18:19] op_sel:[1,0,0]
	v_mov_b32_e32 v33, v47
	v_pk_fma_f32 v[18:19], v[60:61], v[30:31], v[18:19] op_sel_hi:[0,1,1]
	v_mov_b32_e32 v30, v48
	s_delay_alu instid0(VALU_DEP_2) | instskip(SKIP_1) | instid1(VALU_DEP_2)
	v_pk_fma_f32 v[18:19], v[68:69], v[32:33], v[18:19] op_sel_hi:[0,1,1]
	v_mov_b32_e32 v33, v48
	v_pk_fma_f32 v[18:19], v[70:71], v[30:31], v[18:19] op_sel_hi:[0,1,1]
	v_mov_b32_e32 v30, v49
	s_delay_alu instid0(VALU_DEP_2) | instskip(SKIP_1) | instid1(VALU_DEP_2)
	v_pk_fma_f32 v[18:19], v[70:71], v[32:33], v[18:19] op_sel:[1,0,0]
	v_mov_b32_e32 v33, v49
	v_pk_fma_f32 v[18:19], v[72:73], v[30:31], v[18:19] op_sel_hi:[0,1,1]
	s_delay_alu instid0(VALU_DEP_1)
	v_pk_fma_f32 v[18:19], v[86:87], v[32:33], v[18:19] op_sel_hi:[0,1,1]
	s_and_not1_b32 exec_lo, exec_lo, s10
	s_cbranch_execnz .LBB129_17
; %bb.18:
	s_or_b32 exec_lo, exec_lo, s10
.LBB129_19:
	s_delay_alu instid0(SALU_CYCLE_1)
	s_or_b32 exec_lo, exec_lo, s7
.LBB129_20:
	s_delay_alu instid0(SALU_CYCLE_1)
	s_or_b32 exec_lo, exec_lo, s6
	s_cbranch_execz .LBB129_22
	s_branch .LBB129_33
.LBB129_21:
                                        ; implicit-def: $vgpr15
                                        ; implicit-def: $vgpr17
                                        ; implicit-def: $vgpr21
                                        ; implicit-def: $vgpr19
.LBB129_22:
	v_dual_mov_b32 v15, 0 :: v_dual_mov_b32 v14, 0
	v_dual_mov_b32 v17, 0 :: v_dual_mov_b32 v16, 0
	;; [unrolled: 1-line block ×4, first 2 shown]
	s_and_saveexec_b32 s6, s3
	s_cbranch_execz .LBB129_32
; %bb.23:
	v_dual_mov_b32 v15, v1 :: v_dual_bitop2_b32 v14, 64, v0 bitop3:0x54
	v_sub_nc_u64_e32 v[16:17], s[12:13], v[0:1]
	v_not_b32_e32 v19, v23
	v_not_b32_e32 v18, v22
	s_delay_alu instid0(VALU_DEP_4) | instskip(NEXT) | instid1(VALU_DEP_2)
	v_sub_nc_u64_e64 v[14:15], v[14:15], s[12:13]
	v_add_nc_u64_e32 v[16:17], v[16:17], v[18:19]
	v_mov_b32_e32 v19, 0
	s_delay_alu instid0(VALU_DEP_3) | instskip(NEXT) | instid1(VALU_DEP_2)
	v_add_nc_u64_e32 v[14:15], v[14:15], v[22:23]
	v_dual_mov_b32 v20, v19 :: v_dual_mov_b32 v21, v19
	s_delay_alu instid0(VALU_DEP_2) | instskip(NEXT) | instid1(VALU_DEP_1)
	v_max_i64 v[14:15], v[14:15], v[10:11]
	v_add_nc_u64_e32 v[22:23], v[16:17], v[14:15]
	v_dual_mov_b32 v16, v19 :: v_dual_mov_b32 v17, v19
	v_dual_mov_b32 v14, v19 :: v_dual_mov_b32 v15, v19
	s_delay_alu instid0(VALU_DEP_3) | instskip(NEXT) | instid1(VALU_DEP_1)
	v_and_b32_e32 v18, 0xc0, v22
	v_cmp_ne_u64_e32 vcc_lo, 0xc0, v[18:19]
	v_mov_b32_e32 v18, v19
	s_and_saveexec_b32 s3, vcc_lo
	s_cbranch_execz .LBB129_27
; %bb.24:
	v_dual_lshrrev_b32 v1, 6, v22 :: v_dual_mov_b32 v25, 0
	v_lshl_add_u64 v[26:27], v[8:9], 2, s[8:9]
	v_bfrev_b32_e32 v28, 1
	s_mov_b32 s7, 0
	s_delay_alu instid0(VALU_DEP_3) | instskip(SKIP_2) | instid1(VALU_DEP_3)
	v_dual_mov_b32 v18, v25 :: v_dual_add_nc_u32 v1, 1, v1
	v_dual_mov_b32 v20, v25 :: v_dual_mov_b32 v21, v25
	v_dual_mov_b32 v16, v25 :: v_dual_mov_b32 v17, v25
	v_dual_mov_b32 v19, v25 :: v_dual_bitop2_b32 v24, 3, v1 bitop3:0x40
	v_dual_mov_b32 v14, v25 :: v_dual_mov_b32 v15, v25
	s_delay_alu instid0(VALU_DEP_2)
	v_sub_nc_u64_e32 v[30:31], 0, v[24:25]
.LBB129_25:                             ; =>This Inner Loop Header: Depth=1
	global_load_b32 v1, v[26:27], off
	s_clause 0x1
	global_load_b128 v[32:35], v[12:13], off offset:16
	global_load_b128 v[36:39], v[12:13], off
	v_add_nc_u64_e32 v[30:31], 1, v[30:31]
	v_add_nc_u64_e32 v[8:9], 64, v[8:9]
	s_wait_xcnt 0x2
	v_add_nc_u64_e32 v[26:27], 0x100, v[26:27]
	s_delay_alu instid0(VALU_DEP_3)
	v_cmp_eq_u64_e32 vcc_lo, 0, v[30:31]
	s_or_b32 s7, vcc_lo, s7
	s_wait_loadcnt 0x2
	v_subrev_nc_u32_e32 v1, s12, v1
	s_wait_loadcnt 0x0
	v_dual_mov_b32 v24, v36 :: v_dual_mov_b32 v29, v36
	s_delay_alu instid0(VALU_DEP_2) | instskip(NEXT) | instid1(VALU_DEP_1)
	v_lshlrev_b32_e32 v40, 2, v1
	v_ashrrev_i32_e32 v41, 31, v40
	s_wait_kmcnt 0x0
	s_delay_alu instid0(VALU_DEP_1)
	v_lshl_add_u64 v[56:57], v[40:41], 3, s[4:5]
	s_clause 0x1
	global_load_b128 v[40:43], v[56:57], off
	global_load_b128 v[44:47], v[56:57], off offset:16
	s_clause 0x1
	global_load_b128 v[48:51], v[12:13], off offset:32
	global_load_b128 v[52:55], v[12:13], off offset:48
	s_wait_xcnt 0x0
	v_add_nc_u64_e32 v[12:13], 0x1000, v[12:13]
	s_wait_loadcnt 0x3
	v_pk_fma_f32 v[14:15], v[40:41], v[24:25], v[14:15] op_sel_hi:[0,1,1]
	v_dual_mov_b32 v24, v32 :: v_dual_mov_b32 v36, v43
	s_wait_loadcnt 0x2
	v_mov_b32_e32 v56, v47
	s_delay_alu instid0(VALU_DEP_3) | instskip(SKIP_1) | instid1(VALU_DEP_2)
	v_pk_fma_f32 v[14:15], v[40:41], v[28:29], v[14:15] op_sel:[1,0,0]
	v_mov_b32_e32 v29, v32
	v_pk_fma_f32 v[14:15], v[42:43], v[24:25], v[14:15] op_sel_hi:[0,1,1]
	s_wait_loadcnt 0x1
	v_mov_b32_e32 v24, v48
	s_delay_alu instid0(VALU_DEP_2) | instskip(SKIP_1) | instid1(VALU_DEP_2)
	v_pk_fma_f32 v[14:15], v[36:37], v[28:29], v[14:15] op_sel_hi:[0,1,1]
	v_mov_b32_e32 v29, v48
	v_pk_fma_f32 v[14:15], v[44:45], v[24:25], v[14:15] op_sel_hi:[0,1,1]
	s_wait_loadcnt 0x0
	v_mov_b32_e32 v24, v52
	s_delay_alu instid0(VALU_DEP_2) | instskip(SKIP_1) | instid1(VALU_DEP_2)
	v_pk_fma_f32 v[14:15], v[44:45], v[28:29], v[14:15] op_sel:[1,0,0]
	v_mov_b32_e32 v29, v52
	v_pk_fma_f32 v[14:15], v[46:47], v[24:25], v[14:15] op_sel_hi:[0,1,1]
	v_mov_b32_e32 v24, v37
	s_delay_alu instid0(VALU_DEP_2) | instskip(SKIP_1) | instid1(VALU_DEP_3)
	v_pk_fma_f32 v[14:15], v[56:57], v[28:29], v[14:15] op_sel_hi:[0,1,1]
	v_mov_b32_e32 v29, v37
	v_pk_fma_f32 v[16:17], v[40:41], v[24:25], v[16:17] op_sel_hi:[0,1,1]
	v_mov_b32_e32 v24, v33
	s_delay_alu instid0(VALU_DEP_2) | instskip(SKIP_1) | instid1(VALU_DEP_2)
	v_pk_fma_f32 v[16:17], v[40:41], v[28:29], v[16:17] op_sel:[1,0,0]
	v_mov_b32_e32 v29, v33
	v_pk_fma_f32 v[16:17], v[42:43], v[24:25], v[16:17] op_sel_hi:[0,1,1]
	v_mov_b32_e32 v24, v49
	s_delay_alu instid0(VALU_DEP_2) | instskip(SKIP_1) | instid1(VALU_DEP_2)
	v_pk_fma_f32 v[16:17], v[36:37], v[28:29], v[16:17] op_sel_hi:[0,1,1]
	v_mov_b32_e32 v29, v49
	v_pk_fma_f32 v[16:17], v[44:45], v[24:25], v[16:17] op_sel_hi:[0,1,1]
	v_mov_b32_e32 v24, v53
	s_delay_alu instid0(VALU_DEP_2) | instskip(SKIP_1) | instid1(VALU_DEP_2)
	v_pk_fma_f32 v[16:17], v[44:45], v[28:29], v[16:17] op_sel:[1,0,0]
	v_mov_b32_e32 v29, v53
	v_pk_fma_f32 v[16:17], v[46:47], v[24:25], v[16:17] op_sel_hi:[0,1,1]
	v_mov_b32_e32 v24, v38
	s_delay_alu instid0(VALU_DEP_2) | instskip(SKIP_1) | instid1(VALU_DEP_3)
	v_pk_fma_f32 v[16:17], v[56:57], v[28:29], v[16:17] op_sel_hi:[0,1,1]
	v_mov_b32_e32 v29, v38
	v_pk_fma_f32 v[20:21], v[40:41], v[24:25], v[20:21] op_sel_hi:[0,1,1]
	v_mov_b32_e32 v24, v34
	s_delay_alu instid0(VALU_DEP_2) | instskip(SKIP_1) | instid1(VALU_DEP_2)
	v_pk_fma_f32 v[20:21], v[40:41], v[28:29], v[20:21] op_sel:[1,0,0]
	v_mov_b32_e32 v29, v34
	v_pk_fma_f32 v[20:21], v[42:43], v[24:25], v[20:21] op_sel_hi:[0,1,1]
	v_mov_b32_e32 v24, v50
	s_delay_alu instid0(VALU_DEP_2) | instskip(SKIP_1) | instid1(VALU_DEP_2)
	v_pk_fma_f32 v[20:21], v[36:37], v[28:29], v[20:21] op_sel_hi:[0,1,1]
	v_mov_b32_e32 v29, v50
	v_pk_fma_f32 v[20:21], v[44:45], v[24:25], v[20:21] op_sel_hi:[0,1,1]
	;; [unrolled: 20-line block ×3, first 2 shown]
	v_mov_b32_e32 v24, v55
	s_delay_alu instid0(VALU_DEP_2) | instskip(SKIP_1) | instid1(VALU_DEP_2)
	v_pk_fma_f32 v[18:19], v[44:45], v[28:29], v[18:19] op_sel:[1,0,0]
	v_mov_b32_e32 v29, v55
	v_pk_fma_f32 v[18:19], v[46:47], v[24:25], v[18:19] op_sel_hi:[0,1,1]
	s_delay_alu instid0(VALU_DEP_1)
	v_pk_fma_f32 v[18:19], v[56:57], v[28:29], v[18:19] op_sel_hi:[0,1,1]
	s_and_not1_b32 exec_lo, exec_lo, s7
	s_cbranch_execnz .LBB129_25
; %bb.26:
	s_or_b32 exec_lo, exec_lo, s7
.LBB129_27:
	s_delay_alu instid0(SALU_CYCLE_1) | instskip(NEXT) | instid1(SALU_CYCLE_1)
	s_or_b32 exec_lo, exec_lo, s3
	s_mov_b32 s3, exec_lo
	v_cmpx_lt_u64_e32 0xbf, v[22:23]
	s_cbranch_execz .LBB129_31
; %bb.28:
	v_lshl_add_u64 v[22:23], v[8:9], 2, s[8:9]
	v_mov_b32_e32 v25, 0
	v_bfrev_b32_e32 v26, 1
	s_mov_b32 s7, 0
	s_delay_alu instid0(VALU_DEP_3)
	v_add_nc_u64_e32 v[22:23], 0x200, v[22:23]
.LBB129_29:                             ; =>This Inner Loop Header: Depth=1
	s_clause 0x1
	global_load_b32 v1, v[22:23], off offset:-512
	global_load_b32 v7, v[22:23], off offset:-256
	s_clause 0x3
	global_load_b128 v[28:31], v[12:13], off
	global_load_b128 v[32:35], v[12:13], off offset:16
	global_load_b128 v[36:39], v[12:13], off offset:48
	;; [unrolled: 1-line block ×3, first 2 shown]
	s_clause 0x1
	global_load_b32 v84, v[22:23], off
	global_load_b32 v85, v[22:23], off offset:256
	s_clause 0x3
	global_load_b128 v[44:47], v[12:13], off offset:4096
	global_load_b128 v[48:51], v[12:13], off offset:4112
	;; [unrolled: 1-line block ×4, first 2 shown]
	v_add_nc_u64_e32 v[8:9], 0x100, v[8:9]
	s_wait_xcnt 0x4
	v_add_nc_u64_e32 v[22:23], 0x400, v[22:23]
	s_delay_alu instid0(VALU_DEP_2)
	v_cmp_ge_i64_e32 vcc_lo, v[8:9], v[10:11]
	s_or_b32 s7, vcc_lo, s7
	s_wait_loadcnt 0xb
	v_subrev_nc_u32_e32 v1, s12, v1
	s_wait_loadcnt 0xa
	v_subrev_nc_u32_e32 v7, s12, v7
	s_wait_loadcnt 0x9
	v_dual_mov_b32 v24, v28 :: v_dual_mov_b32 v27, v28
	s_delay_alu instid0(VALU_DEP_2) | instskip(SKIP_2) | instid1(VALU_DEP_2)
	v_dual_lshlrev_b32 v60, 2, v1 :: v_dual_lshlrev_b32 v62, 2, v7
	s_wait_loadcnt 0x5
	v_subrev_nc_u32_e32 v1, s12, v84
	v_dual_ashrrev_i32 v61, 31, v60 :: v_dual_ashrrev_i32 v63, 31, v62
	s_wait_kmcnt 0x0
	s_delay_alu instid0(VALU_DEP_1) | instskip(NEXT) | instid1(VALU_DEP_2)
	v_lshl_add_u64 v[76:77], v[60:61], 3, s[4:5]
	v_lshl_add_u64 v[78:79], v[62:63], 3, s[4:5]
	s_clause 0x3
	global_load_b128 v[60:63], v[76:77], off
	global_load_b128 v[64:67], v[76:77], off offset:16
	global_load_b128 v[68:71], v[78:79], off
	global_load_b128 v[72:75], v[78:79], off offset:16
	s_wait_loadcnt 0x3
	v_pk_fma_f32 v[14:15], v[60:61], v[24:25], v[14:15] op_sel_hi:[0,1,1]
	s_wait_xcnt 0x2
	v_dual_mov_b32 v24, v32 :: v_dual_mov_b32 v76, v63
	s_wait_loadcnt 0x2
	s_wait_xcnt 0x0
	v_mov_b32_e32 v78, v67
	v_pk_fma_f32 v[14:15], v[60:61], v[26:27], v[14:15] op_sel:[1,0,0]
	v_mov_b32_e32 v27, v32
	s_delay_alu instid0(VALU_DEP_2) | instskip(SKIP_1) | instid1(VALU_DEP_2)
	v_pk_fma_f32 v[14:15], v[62:63], v[24:25], v[14:15] op_sel_hi:[0,1,1]
	v_mov_b32_e32 v24, v40
	v_pk_fma_f32 v[14:15], v[76:77], v[26:27], v[14:15] op_sel_hi:[0,1,1]
	v_mov_b32_e32 v27, v40
	s_delay_alu instid0(VALU_DEP_2) | instskip(SKIP_1) | instid1(VALU_DEP_2)
	v_pk_fma_f32 v[14:15], v[64:65], v[24:25], v[14:15] op_sel_hi:[0,1,1]
	v_mov_b32_e32 v24, v36
	v_pk_fma_f32 v[14:15], v[64:65], v[26:27], v[14:15] op_sel:[1,0,0]
	v_mov_b32_e32 v27, v36
	s_delay_alu instid0(VALU_DEP_2) | instskip(SKIP_1) | instid1(VALU_DEP_2)
	v_pk_fma_f32 v[14:15], v[66:67], v[24:25], v[14:15] op_sel_hi:[0,1,1]
	v_mov_b32_e32 v24, v44
	v_pk_fma_f32 v[14:15], v[78:79], v[26:27], v[14:15] op_sel_hi:[0,1,1]
	v_mov_b32_e32 v27, v44
	s_wait_loadcnt 0x1
	s_delay_alu instid0(VALU_DEP_2) | instskip(SKIP_1) | instid1(VALU_DEP_2)
	v_pk_fma_f32 v[14:15], v[68:69], v[24:25], v[14:15] op_sel_hi:[0,1,1]
	v_mov_b32_e32 v24, v29
	v_pk_fma_f32 v[80:81], v[68:69], v[26:27], v[14:15] op_sel:[1,0,0]
	v_mov_b32_e32 v27, v29
	s_delay_alu instid0(VALU_DEP_3) | instskip(SKIP_1) | instid1(VALU_DEP_2)
	v_pk_fma_f32 v[14:15], v[60:61], v[24:25], v[16:17] op_sel_hi:[0,1,1]
	v_mov_b32_e32 v24, v33
	v_pk_fma_f32 v[14:15], v[60:61], v[26:27], v[14:15] op_sel:[1,0,0]
	v_mov_b32_e32 v27, v33
	s_delay_alu instid0(VALU_DEP_2) | instskip(SKIP_1) | instid1(VALU_DEP_2)
	v_pk_fma_f32 v[14:15], v[62:63], v[24:25], v[14:15] op_sel_hi:[0,1,1]
	v_mov_b32_e32 v24, v41
	v_pk_fma_f32 v[14:15], v[76:77], v[26:27], v[14:15] op_sel_hi:[0,1,1]
	v_mov_b32_e32 v27, v41
	s_delay_alu instid0(VALU_DEP_2) | instskip(SKIP_1) | instid1(VALU_DEP_2)
	v_pk_fma_f32 v[14:15], v[64:65], v[24:25], v[14:15] op_sel_hi:[0,1,1]
	v_mov_b32_e32 v24, v37
	v_pk_fma_f32 v[14:15], v[64:65], v[26:27], v[14:15] op_sel:[1,0,0]
	v_mov_b32_e32 v27, v37
	s_delay_alu instid0(VALU_DEP_2) | instskip(SKIP_1) | instid1(VALU_DEP_2)
	v_pk_fma_f32 v[14:15], v[66:67], v[24:25], v[14:15] op_sel_hi:[0,1,1]
	v_mov_b32_e32 v24, v45
	v_pk_fma_f32 v[14:15], v[78:79], v[26:27], v[14:15] op_sel_hi:[0,1,1]
	v_mov_b32_e32 v27, v45
	s_delay_alu instid0(VALU_DEP_2) | instskip(SKIP_1) | instid1(VALU_DEP_2)
	v_pk_fma_f32 v[14:15], v[68:69], v[24:25], v[14:15] op_sel_hi:[0,1,1]
	v_mov_b32_e32 v24, v30
	v_pk_fma_f32 v[44:45], v[68:69], v[26:27], v[14:15] op_sel:[1,0,0]
	v_mov_b32_e32 v27, v30
	s_delay_alu instid0(VALU_DEP_3) | instskip(SKIP_1) | instid1(VALU_DEP_2)
	v_pk_fma_f32 v[14:15], v[60:61], v[24:25], v[20:21] op_sel_hi:[0,1,1]
	v_mov_b32_e32 v24, v34
	v_pk_fma_f32 v[14:15], v[60:61], v[26:27], v[14:15] op_sel:[1,0,0]
	v_mov_b32_e32 v27, v34
	s_delay_alu instid0(VALU_DEP_2) | instskip(SKIP_1) | instid1(VALU_DEP_2)
	v_pk_fma_f32 v[14:15], v[62:63], v[24:25], v[14:15] op_sel_hi:[0,1,1]
	v_mov_b32_e32 v24, v42
	v_pk_fma_f32 v[14:15], v[76:77], v[26:27], v[14:15] op_sel_hi:[0,1,1]
	v_mov_b32_e32 v27, v42
	s_delay_alu instid0(VALU_DEP_2) | instskip(SKIP_1) | instid1(VALU_DEP_2)
	v_pk_fma_f32 v[14:15], v[64:65], v[24:25], v[14:15] op_sel_hi:[0,1,1]
	v_mov_b32_e32 v24, v38
	v_pk_fma_f32 v[14:15], v[64:65], v[26:27], v[14:15] op_sel:[1,0,0]
	v_dual_mov_b32 v27, v38 :: v_dual_lshlrev_b32 v38, 2, v1
	v_subrev_nc_u32_e32 v1, s12, v85
	s_delay_alu instid0(VALU_DEP_3) | instskip(SKIP_1) | instid1(VALU_DEP_2)
	v_pk_fma_f32 v[14:15], v[66:67], v[24:25], v[14:15] op_sel_hi:[0,1,1]
	v_mov_b32_e32 v24, v46
	v_pk_fma_f32 v[14:15], v[78:79], v[26:27], v[14:15] op_sel_hi:[0,1,1]
	v_mov_b32_e32 v27, v46
	s_delay_alu instid0(VALU_DEP_2) | instskip(SKIP_1) | instid1(VALU_DEP_2)
	v_pk_fma_f32 v[14:15], v[68:69], v[24:25], v[14:15] op_sel_hi:[0,1,1]
	v_mov_b32_e32 v24, v31
	v_pk_fma_f32 v[82:83], v[68:69], v[26:27], v[14:15] op_sel:[1,0,0]
	v_mov_b32_e32 v27, v31
	s_delay_alu instid0(VALU_DEP_3)
	v_pk_fma_f32 v[18:19], v[60:61], v[24:25], v[18:19] op_sel_hi:[0,1,1]
	v_mov_b32_e32 v24, v35
	global_load_b128 v[14:17], v[12:13], off offset:8208
	v_pk_fma_f32 v[28:29], v[60:61], v[26:27], v[18:19] op_sel:[1,0,0]
	v_mov_b32_e32 v27, v35
	global_load_b128 v[18:21], v[12:13], off offset:8192
	v_pk_fma_f32 v[32:33], v[62:63], v[24:25], v[28:29] op_sel_hi:[0,1,1]
	v_mov_b32_e32 v24, v43
	global_load_b128 v[28:31], v[12:13], off offset:8224
	v_pk_fma_f32 v[36:37], v[76:77], v[26:27], v[32:33] op_sel_hi:[0,1,1]
	v_mov_b32_e32 v27, v43
	s_clause 0x1
	global_load_b128 v[32:35], v[12:13], off offset:8240
	global_load_b128 v[40:43], v[12:13], off offset:12304
	s_wait_loadcnt 0x5
	v_mov_b32_e32 v76, v75
	v_pk_fma_f32 v[36:37], v[64:65], v[24:25], v[36:37] op_sel_hi:[0,1,1]
	v_mov_b32_e32 v24, v39
	s_delay_alu instid0(VALU_DEP_2) | instskip(SKIP_1) | instid1(VALU_DEP_2)
	v_pk_fma_f32 v[36:37], v[64:65], v[26:27], v[36:37] op_sel:[1,0,0]
	v_dual_mov_b32 v27, v39 :: v_dual_ashrrev_i32 v39, 31, v38
	v_pk_fma_f32 v[66:67], v[66:67], v[24:25], v[36:37] op_sel_hi:[0,1,1]
	v_mov_b32_e32 v24, v47
	s_delay_alu instid0(VALU_DEP_3)
	v_lshl_add_u64 v[64:65], v[38:39], 3, s[4:5]
	s_clause 0x1
	global_load_b128 v[36:39], v[64:65], off
	global_load_b128 v[60:63], v[64:65], off offset:16
	s_wait_xcnt 0x0
	v_pk_fma_f32 v[64:65], v[78:79], v[26:27], v[66:67] op_sel_hi:[0,1,1]
	v_dual_mov_b32 v27, v47 :: v_dual_mov_b32 v66, v71
	s_delay_alu instid0(VALU_DEP_2) | instskip(SKIP_1) | instid1(VALU_DEP_2)
	v_pk_fma_f32 v[46:47], v[68:69], v[24:25], v[64:65] op_sel_hi:[0,1,1]
	v_mov_b32_e32 v24, v48
	v_pk_fma_f32 v[64:65], v[68:69], v[26:27], v[46:47] op_sel:[1,0,0]
	v_mov_b32_e32 v27, v48
	s_delay_alu instid0(VALU_DEP_3) | instskip(SKIP_1) | instid1(VALU_DEP_2)
	v_pk_fma_f32 v[46:47], v[70:71], v[24:25], v[80:81] op_sel_hi:[0,1,1]
	v_mov_b32_e32 v24, v56
	v_pk_fma_f32 v[46:47], v[66:67], v[26:27], v[46:47] op_sel_hi:[0,1,1]
	v_mov_b32_e32 v27, v56
	s_delay_alu instid0(VALU_DEP_2) | instskip(SKIP_1) | instid1(VALU_DEP_2)
	v_pk_fma_f32 v[46:47], v[72:73], v[24:25], v[46:47] op_sel_hi:[0,1,1]
	v_mov_b32_e32 v24, v52
	v_pk_fma_f32 v[46:47], v[72:73], v[26:27], v[46:47] op_sel:[1,0,0]
	v_dual_mov_b32 v27, v52 :: v_dual_lshlrev_b32 v52, 2, v1
	s_delay_alu instid0(VALU_DEP_2) | instskip(SKIP_2) | instid1(VALU_DEP_2)
	v_pk_fma_f32 v[46:47], v[74:75], v[24:25], v[46:47] op_sel_hi:[0,1,1]
	s_wait_loadcnt 0x5
	v_mov_b32_e32 v24, v18
	v_pk_fma_f32 v[46:47], v[76:77], v[26:27], v[46:47] op_sel_hi:[0,1,1]
	s_wait_loadcnt 0x1
	v_dual_mov_b32 v27, v18 :: v_dual_mov_b32 v78, v39
	s_delay_alu instid0(VALU_DEP_2) | instskip(SKIP_1) | instid1(VALU_DEP_2)
	v_pk_fma_f32 v[46:47], v[36:37], v[24:25], v[46:47] op_sel_hi:[0,1,1]
	v_mov_b32_e32 v24, v14
	v_pk_fma_f32 v[46:47], v[36:37], v[26:27], v[46:47] op_sel:[1,0,0]
	v_mov_b32_e32 v27, v14
	s_delay_alu instid0(VALU_DEP_2) | instskip(SKIP_1) | instid1(VALU_DEP_2)
	v_pk_fma_f32 v[46:47], v[38:39], v[24:25], v[46:47] op_sel_hi:[0,1,1]
	v_mov_b32_e32 v24, v28
	v_pk_fma_f32 v[46:47], v[78:79], v[26:27], v[46:47] op_sel_hi:[0,1,1]
	v_mov_b32_e32 v27, v49
	s_wait_loadcnt 0x0
	s_delay_alu instid0(VALU_DEP_2) | instskip(SKIP_1) | instid1(VALU_DEP_1)
	v_pk_fma_f32 v[68:69], v[60:61], v[24:25], v[46:47] op_sel_hi:[0,1,1]
	v_mov_b32_e32 v24, v49
	v_pk_fma_f32 v[44:45], v[70:71], v[24:25], v[44:45] op_sel_hi:[0,1,1]
	v_mov_b32_e32 v24, v57
	s_delay_alu instid0(VALU_DEP_2) | instskip(SKIP_1) | instid1(VALU_DEP_2)
	v_pk_fma_f32 v[44:45], v[66:67], v[26:27], v[44:45] op_sel_hi:[0,1,1]
	v_mov_b32_e32 v27, v57
	v_pk_fma_f32 v[44:45], v[72:73], v[24:25], v[44:45] op_sel_hi:[0,1,1]
	v_mov_b32_e32 v24, v53
	s_delay_alu instid0(VALU_DEP_2) | instskip(SKIP_1) | instid1(VALU_DEP_2)
	v_pk_fma_f32 v[44:45], v[72:73], v[26:27], v[44:45] op_sel:[1,0,0]
	v_dual_mov_b32 v27, v53 :: v_dual_ashrrev_i32 v53, 31, v52
	v_pk_fma_f32 v[44:45], v[74:75], v[24:25], v[44:45] op_sel_hi:[0,1,1]
	v_mov_b32_e32 v24, v19
	s_delay_alu instid0(VALU_DEP_3) | instskip(NEXT) | instid1(VALU_DEP_3)
	v_lshl_add_u64 v[52:53], v[52:53], 3, s[4:5]
	v_pk_fma_f32 v[44:45], v[76:77], v[26:27], v[44:45] op_sel_hi:[0,1,1]
	v_mov_b32_e32 v27, v19
	s_delay_alu instid0(VALU_DEP_2) | instskip(SKIP_4) | instid1(VALU_DEP_2)
	v_pk_fma_f32 v[18:19], v[36:37], v[24:25], v[44:45] op_sel_hi:[0,1,1]
	v_mov_b32_e32 v24, v15
	global_load_b128 v[44:47], v[12:13], off offset:12288
	v_pk_fma_f32 v[18:19], v[36:37], v[26:27], v[18:19] op_sel:[1,0,0]
	v_mov_b32_e32 v27, v15
	v_pk_fma_f32 v[14:15], v[38:39], v[24:25], v[18:19] op_sel_hi:[0,1,1]
	v_mov_b32_e32 v24, v29
	s_delay_alu instid0(VALU_DEP_2) | instskip(SKIP_1) | instid1(VALU_DEP_2)
	v_pk_fma_f32 v[14:15], v[78:79], v[26:27], v[14:15] op_sel_hi:[0,1,1]
	v_mov_b32_e32 v27, v50
	v_pk_fma_f32 v[18:19], v[60:61], v[24:25], v[14:15] op_sel_hi:[0,1,1]
	v_mov_b32_e32 v24, v50
	s_delay_alu instid0(VALU_DEP_1) | instskip(SKIP_1) | instid1(VALU_DEP_2)
	v_pk_fma_f32 v[14:15], v[70:71], v[24:25], v[82:83] op_sel_hi:[0,1,1]
	v_mov_b32_e32 v24, v58
	v_pk_fma_f32 v[14:15], v[66:67], v[26:27], v[14:15] op_sel_hi:[0,1,1]
	v_mov_b32_e32 v27, v58
	s_delay_alu instid0(VALU_DEP_2) | instskip(SKIP_1) | instid1(VALU_DEP_2)
	v_pk_fma_f32 v[14:15], v[72:73], v[24:25], v[14:15] op_sel_hi:[0,1,1]
	v_mov_b32_e32 v24, v54
	v_pk_fma_f32 v[14:15], v[72:73], v[26:27], v[14:15] op_sel:[1,0,0]
	v_mov_b32_e32 v27, v54
	s_delay_alu instid0(VALU_DEP_2) | instskip(SKIP_1) | instid1(VALU_DEP_2)
	v_pk_fma_f32 v[14:15], v[74:75], v[24:25], v[14:15] op_sel_hi:[0,1,1]
	v_mov_b32_e32 v24, v20
	v_pk_fma_f32 v[14:15], v[76:77], v[26:27], v[14:15] op_sel_hi:[0,1,1]
	v_mov_b32_e32 v27, v20
	s_delay_alu instid0(VALU_DEP_2) | instskip(SKIP_1) | instid1(VALU_DEP_2)
	v_pk_fma_f32 v[14:15], v[36:37], v[24:25], v[14:15] op_sel_hi:[0,1,1]
	v_mov_b32_e32 v24, v16
	v_pk_fma_f32 v[14:15], v[36:37], v[26:27], v[14:15] op_sel:[1,0,0]
	v_mov_b32_e32 v27, v16
	s_delay_alu instid0(VALU_DEP_2) | instskip(SKIP_1) | instid1(VALU_DEP_2)
	v_pk_fma_f32 v[14:15], v[38:39], v[24:25], v[14:15] op_sel_hi:[0,1,1]
	v_mov_b32_e32 v24, v30
	v_pk_fma_f32 v[14:15], v[78:79], v[26:27], v[14:15] op_sel_hi:[0,1,1]
	v_mov_b32_e32 v27, v51
	s_delay_alu instid0(VALU_DEP_2) | instskip(SKIP_4) | instid1(VALU_DEP_2)
	v_pk_fma_f32 v[80:81], v[60:61], v[24:25], v[14:15] op_sel_hi:[0,1,1]
	v_mov_b32_e32 v24, v51
	global_load_b128 v[48:51], v[12:13], off offset:12320
	v_pk_fma_f32 v[14:15], v[70:71], v[24:25], v[64:65] op_sel_hi:[0,1,1]
	v_mov_b32_e32 v24, v59
	v_pk_fma_f32 v[14:15], v[66:67], v[26:27], v[14:15] op_sel_hi:[0,1,1]
	v_mov_b32_e32 v27, v59
	s_clause 0x1
	global_load_b128 v[56:59], v[52:53], off
	global_load_b128 v[64:67], v[52:53], off offset:16
	v_mov_b32_e32 v70, v63
	v_pk_fma_f32 v[14:15], v[72:73], v[24:25], v[14:15] op_sel_hi:[0,1,1]
	v_mov_b32_e32 v24, v55
	s_delay_alu instid0(VALU_DEP_2)
	v_pk_fma_f32 v[14:15], v[72:73], v[26:27], v[14:15] op_sel:[1,0,0]
	v_mov_b32_e32 v27, v55
	global_load_b128 v[52:55], v[12:13], off offset:12336
	s_wait_xcnt 0x0
	v_add_nc_u64_e32 v[12:13], 0x4000, v[12:13]
	v_pk_fma_f32 v[14:15], v[74:75], v[24:25], v[14:15] op_sel_hi:[0,1,1]
	v_mov_b32_e32 v24, v21
	s_delay_alu instid0(VALU_DEP_2) | instskip(SKIP_1) | instid1(VALU_DEP_2)
	v_pk_fma_f32 v[14:15], v[76:77], v[26:27], v[14:15] op_sel_hi:[0,1,1]
	v_mov_b32_e32 v27, v21
	v_pk_fma_f32 v[14:15], v[36:37], v[24:25], v[14:15] op_sel_hi:[0,1,1]
	v_mov_b32_e32 v24, v17
	s_delay_alu instid0(VALU_DEP_2) | instskip(SKIP_1) | instid1(VALU_DEP_2)
	v_pk_fma_f32 v[14:15], v[36:37], v[26:27], v[14:15] op_sel:[1,0,0]
	v_mov_b32_e32 v27, v17
	v_pk_fma_f32 v[14:15], v[38:39], v[24:25], v[14:15] op_sel_hi:[0,1,1]
	v_mov_b32_e32 v24, v31
	s_delay_alu instid0(VALU_DEP_2) | instskip(SKIP_1) | instid1(VALU_DEP_2)
	v_pk_fma_f32 v[14:15], v[78:79], v[26:27], v[14:15] op_sel_hi:[0,1,1]
	v_mov_b32_e32 v27, v28
	v_pk_fma_f32 v[36:37], v[60:61], v[24:25], v[14:15] op_sel_hi:[0,1,1]
	v_mov_b32_e32 v24, v32
	s_delay_alu instid0(VALU_DEP_3) | instskip(SKIP_1) | instid1(VALU_DEP_2)
	v_pk_fma_f32 v[14:15], v[60:61], v[26:27], v[68:69] op_sel:[1,0,0]
	v_mov_b32_e32 v27, v32
	v_pk_fma_f32 v[14:15], v[62:63], v[24:25], v[14:15] op_sel_hi:[0,1,1]
	s_wait_loadcnt 0x2
	v_dual_mov_b32 v24, v44 :: v_dual_mov_b32 v72, v59
	s_wait_loadcnt 0x1
	v_mov_b32_e32 v74, v67
	v_pk_fma_f32 v[14:15], v[70:71], v[26:27], v[14:15] op_sel_hi:[0,1,1]
	v_mov_b32_e32 v27, v44
	s_delay_alu instid0(VALU_DEP_2) | instskip(SKIP_1) | instid1(VALU_DEP_2)
	v_pk_fma_f32 v[14:15], v[56:57], v[24:25], v[14:15] op_sel_hi:[0,1,1]
	v_mov_b32_e32 v24, v40
	v_pk_fma_f32 v[14:15], v[56:57], v[26:27], v[14:15] op_sel:[1,0,0]
	v_mov_b32_e32 v27, v40
	s_delay_alu instid0(VALU_DEP_2) | instskip(SKIP_1) | instid1(VALU_DEP_2)
	v_pk_fma_f32 v[14:15], v[58:59], v[24:25], v[14:15] op_sel_hi:[0,1,1]
	v_mov_b32_e32 v24, v48
	v_pk_fma_f32 v[14:15], v[72:73], v[26:27], v[14:15] op_sel_hi:[0,1,1]
	v_mov_b32_e32 v27, v48
	s_delay_alu instid0(VALU_DEP_2) | instskip(SKIP_2) | instid1(VALU_DEP_2)
	v_pk_fma_f32 v[14:15], v[64:65], v[24:25], v[14:15] op_sel_hi:[0,1,1]
	s_wait_loadcnt 0x0
	v_mov_b32_e32 v24, v52
	v_pk_fma_f32 v[14:15], v[64:65], v[26:27], v[14:15] op_sel:[1,0,0]
	v_mov_b32_e32 v27, v52
	s_delay_alu instid0(VALU_DEP_2) | instskip(SKIP_1) | instid1(VALU_DEP_2)
	v_pk_fma_f32 v[14:15], v[66:67], v[24:25], v[14:15] op_sel_hi:[0,1,1]
	v_mov_b32_e32 v24, v33
	v_pk_fma_f32 v[14:15], v[74:75], v[26:27], v[14:15] op_sel_hi:[0,1,1]
	v_mov_b32_e32 v27, v29
	s_delay_alu instid0(VALU_DEP_1) | instskip(SKIP_1) | instid1(VALU_DEP_2)
	v_pk_fma_f32 v[16:17], v[60:61], v[26:27], v[18:19] op_sel:[1,0,0]
	v_mov_b32_e32 v27, v33
	v_pk_fma_f32 v[16:17], v[62:63], v[24:25], v[16:17] op_sel_hi:[0,1,1]
	v_mov_b32_e32 v24, v45
	s_delay_alu instid0(VALU_DEP_2) | instskip(SKIP_1) | instid1(VALU_DEP_2)
	v_pk_fma_f32 v[16:17], v[70:71], v[26:27], v[16:17] op_sel_hi:[0,1,1]
	v_mov_b32_e32 v27, v45
	v_pk_fma_f32 v[16:17], v[56:57], v[24:25], v[16:17] op_sel_hi:[0,1,1]
	v_mov_b32_e32 v24, v41
	s_delay_alu instid0(VALU_DEP_2) | instskip(SKIP_1) | instid1(VALU_DEP_2)
	v_pk_fma_f32 v[16:17], v[56:57], v[26:27], v[16:17] op_sel:[1,0,0]
	v_mov_b32_e32 v27, v41
	v_pk_fma_f32 v[16:17], v[58:59], v[24:25], v[16:17] op_sel_hi:[0,1,1]
	v_mov_b32_e32 v24, v49
	s_delay_alu instid0(VALU_DEP_2) | instskip(SKIP_1) | instid1(VALU_DEP_2)
	v_pk_fma_f32 v[16:17], v[72:73], v[26:27], v[16:17] op_sel_hi:[0,1,1]
	v_mov_b32_e32 v27, v49
	v_pk_fma_f32 v[16:17], v[64:65], v[24:25], v[16:17] op_sel_hi:[0,1,1]
	v_mov_b32_e32 v24, v53
	s_delay_alu instid0(VALU_DEP_2) | instskip(SKIP_1) | instid1(VALU_DEP_2)
	v_pk_fma_f32 v[16:17], v[64:65], v[26:27], v[16:17] op_sel:[1,0,0]
	v_mov_b32_e32 v27, v53
	v_pk_fma_f32 v[16:17], v[66:67], v[24:25], v[16:17] op_sel_hi:[0,1,1]
	v_mov_b32_e32 v24, v34
	s_delay_alu instid0(VALU_DEP_2) | instskip(SKIP_1) | instid1(VALU_DEP_1)
	v_pk_fma_f32 v[16:17], v[74:75], v[26:27], v[16:17] op_sel_hi:[0,1,1]
	v_mov_b32_e32 v27, v30
	v_pk_fma_f32 v[18:19], v[60:61], v[26:27], v[80:81] op_sel:[1,0,0]
	v_mov_b32_e32 v27, v34
	s_delay_alu instid0(VALU_DEP_2) | instskip(SKIP_1) | instid1(VALU_DEP_2)
	v_pk_fma_f32 v[18:19], v[62:63], v[24:25], v[18:19] op_sel_hi:[0,1,1]
	v_mov_b32_e32 v24, v46
	v_pk_fma_f32 v[18:19], v[70:71], v[26:27], v[18:19] op_sel_hi:[0,1,1]
	v_mov_b32_e32 v27, v46
	s_delay_alu instid0(VALU_DEP_2) | instskip(SKIP_1) | instid1(VALU_DEP_2)
	v_pk_fma_f32 v[18:19], v[56:57], v[24:25], v[18:19] op_sel_hi:[0,1,1]
	v_mov_b32_e32 v24, v42
	v_pk_fma_f32 v[18:19], v[56:57], v[26:27], v[18:19] op_sel:[1,0,0]
	v_mov_b32_e32 v27, v42
	s_delay_alu instid0(VALU_DEP_2) | instskip(SKIP_1) | instid1(VALU_DEP_2)
	v_pk_fma_f32 v[18:19], v[58:59], v[24:25], v[18:19] op_sel_hi:[0,1,1]
	v_mov_b32_e32 v24, v50
	v_pk_fma_f32 v[18:19], v[72:73], v[26:27], v[18:19] op_sel_hi:[0,1,1]
	v_mov_b32_e32 v27, v50
	s_delay_alu instid0(VALU_DEP_2) | instskip(SKIP_1) | instid1(VALU_DEP_2)
	v_pk_fma_f32 v[18:19], v[64:65], v[24:25], v[18:19] op_sel_hi:[0,1,1]
	v_mov_b32_e32 v24, v54
	v_pk_fma_f32 v[18:19], v[64:65], v[26:27], v[18:19] op_sel:[1,0,0]
	v_mov_b32_e32 v27, v54
	s_delay_alu instid0(VALU_DEP_2) | instskip(SKIP_1) | instid1(VALU_DEP_2)
	v_pk_fma_f32 v[18:19], v[66:67], v[24:25], v[18:19] op_sel_hi:[0,1,1]
	v_mov_b32_e32 v24, v35
	v_pk_fma_f32 v[20:21], v[74:75], v[26:27], v[18:19] op_sel_hi:[0,1,1]
	v_mov_b32_e32 v27, v31
	s_delay_alu instid0(VALU_DEP_1) | instskip(SKIP_1) | instid1(VALU_DEP_2)
	v_pk_fma_f32 v[18:19], v[60:61], v[26:27], v[36:37] op_sel:[1,0,0]
	v_mov_b32_e32 v27, v35
	v_pk_fma_f32 v[18:19], v[62:63], v[24:25], v[18:19] op_sel_hi:[0,1,1]
	v_mov_b32_e32 v24, v47
	s_delay_alu instid0(VALU_DEP_2) | instskip(SKIP_1) | instid1(VALU_DEP_2)
	v_pk_fma_f32 v[18:19], v[70:71], v[26:27], v[18:19] op_sel_hi:[0,1,1]
	v_mov_b32_e32 v27, v47
	v_pk_fma_f32 v[18:19], v[56:57], v[24:25], v[18:19] op_sel_hi:[0,1,1]
	v_mov_b32_e32 v24, v43
	s_delay_alu instid0(VALU_DEP_2) | instskip(SKIP_1) | instid1(VALU_DEP_2)
	v_pk_fma_f32 v[18:19], v[56:57], v[26:27], v[18:19] op_sel:[1,0,0]
	v_mov_b32_e32 v27, v43
	v_pk_fma_f32 v[18:19], v[58:59], v[24:25], v[18:19] op_sel_hi:[0,1,1]
	v_mov_b32_e32 v24, v51
	s_delay_alu instid0(VALU_DEP_2) | instskip(SKIP_1) | instid1(VALU_DEP_2)
	v_pk_fma_f32 v[18:19], v[72:73], v[26:27], v[18:19] op_sel_hi:[0,1,1]
	v_mov_b32_e32 v27, v51
	v_pk_fma_f32 v[18:19], v[64:65], v[24:25], v[18:19] op_sel_hi:[0,1,1]
	v_mov_b32_e32 v24, v55
	s_delay_alu instid0(VALU_DEP_2) | instskip(SKIP_1) | instid1(VALU_DEP_2)
	v_pk_fma_f32 v[18:19], v[64:65], v[26:27], v[18:19] op_sel:[1,0,0]
	v_mov_b32_e32 v27, v55
	v_pk_fma_f32 v[18:19], v[66:67], v[24:25], v[18:19] op_sel_hi:[0,1,1]
	s_delay_alu instid0(VALU_DEP_1)
	v_pk_fma_f32 v[18:19], v[74:75], v[26:27], v[18:19] op_sel_hi:[0,1,1]
	s_and_not1_b32 exec_lo, exec_lo, s7
	s_cbranch_execnz .LBB129_29
; %bb.30:
	s_or_b32 exec_lo, exec_lo, s7
.LBB129_31:
	s_delay_alu instid0(SALU_CYCLE_1)
	s_or_b32 exec_lo, exec_lo, s3
.LBB129_32:
	s_delay_alu instid0(SALU_CYCLE_1)
	s_or_b32 exec_lo, exec_lo, s6
.LBB129_33:
	v_mbcnt_lo_u32_b32 v1, -1, 0
	s_delay_alu instid0(VALU_DEP_1) | instskip(SKIP_1) | instid1(VALU_DEP_1)
	v_xor_b32_e32 v23, 16, v1
	v_or_b32_e32 v7, 32, v1
	v_cmp_gt_i32_e32 vcc_lo, 32, v7
	v_cndmask_b32_e32 v7, v1, v7, vcc_lo
	s_delay_alu instid0(VALU_DEP_1)
	v_lshlrev_b32_e32 v7, 2, v7
	ds_bpermute_b32 v9, v7, v15
	s_wait_dscnt 0x0
	v_add_f32_e32 v9, v15, v9
	ds_bpermute_b32 v10, v7, v16
	ds_bpermute_b32 v8, v7, v14
	;; [unrolled: 1-line block ×7, first 2 shown]
	s_wait_dscnt 0x6
	v_add_f32_e32 v10, v16, v10
	v_cmp_gt_i32_e32 vcc_lo, 32, v23
	s_wait_dscnt 0x3
	v_dual_add_f32 v8, v14, v8 :: v_dual_add_f32 v11, v17, v11
	s_wait_dscnt 0x1
	v_dual_add_f32 v13, v21, v13 :: v_dual_add_f32 v14, v18, v22
	v_cndmask_b32_e32 v23, v1, v23, vcc_lo
	s_wait_dscnt 0x0
	v_dual_add_f32 v7, v19, v7 :: v_dual_add_f32 v12, v20, v12
	s_delay_alu instid0(VALU_DEP_2)
	v_lshlrev_b32_e32 v23, 2, v23
	ds_bpermute_b32 v15, v23, v8
	ds_bpermute_b32 v17, v23, v10
	;; [unrolled: 1-line block ×8, first 2 shown]
	s_wait_dscnt 0x7
	v_dual_add_f32 v8, v8, v15 :: v_dual_bitop2_b32 v23, 8, v1 bitop3:0x14
	s_delay_alu instid0(VALU_DEP_1)
	v_cmp_gt_i32_e32 vcc_lo, 32, v23
	s_wait_dscnt 0x4
	v_dual_add_f32 v10, v10, v17 :: v_dual_add_f32 v11, v11, v18
	s_wait_dscnt 0x2
	v_dual_add_f32 v12, v12, v19 :: v_dual_add_f32 v13, v13, v20
	s_wait_dscnt 0x1
	v_dual_add_f32 v14, v14, v21 :: v_dual_cndmask_b32 v23, v1, v23
	s_wait_dscnt 0x0
	v_dual_add_f32 v9, v9, v16 :: v_dual_add_f32 v7, v7, v22
	s_delay_alu instid0(VALU_DEP_2)
	v_lshlrev_b32_e32 v23, 2, v23
	ds_bpermute_b32 v15, v23, v8
	ds_bpermute_b32 v17, v23, v10
	;; [unrolled: 1-line block ×8, first 2 shown]
	v_xor_b32_e32 v23, 4, v1
	s_delay_alu instid0(VALU_DEP_1) | instskip(SKIP_4) | instid1(VALU_DEP_2)
	v_cmp_gt_i32_e32 vcc_lo, 32, v23
	v_cndmask_b32_e32 v23, v1, v23, vcc_lo
	s_wait_dscnt 0x6
	v_dual_add_f32 v8, v8, v15 :: v_dual_add_f32 v10, v10, v17
	s_wait_dscnt 0x5
	v_dual_add_f32 v9, v9, v16 :: v_dual_lshlrev_b32 v23, 2, v23
	s_wait_dscnt 0x3
	v_dual_add_f32 v11, v11, v18 :: v_dual_add_f32 v12, v12, v19
	s_wait_dscnt 0x1
	v_dual_add_f32 v13, v13, v20 :: v_dual_add_f32 v14, v14, v21
	s_wait_dscnt 0x0
	v_add_f32_e32 v7, v7, v22
	ds_bpermute_b32 v15, v23, v8
	ds_bpermute_b32 v16, v23, v9
	;; [unrolled: 1-line block ×8, first 2 shown]
	s_wait_dscnt 0x7
	v_dual_add_f32 v8, v8, v15 :: v_dual_bitop2_b32 v23, 2, v1 bitop3:0x14
	s_delay_alu instid0(VALU_DEP_1)
	v_cmp_gt_i32_e32 vcc_lo, 32, v23
	s_wait_dscnt 0x5
	v_dual_add_f32 v9, v9, v16 :: v_dual_add_f32 v10, v10, v17
	s_wait_dscnt 0x3
	v_dual_add_f32 v11, v11, v18 :: v_dual_add_f32 v12, v12, v19
	v_cndmask_b32_e32 v23, v1, v23, vcc_lo
	s_wait_dscnt 0x1
	v_dual_add_f32 v13, v13, v20 :: v_dual_add_f32 v14, v14, v21
	s_wait_dscnt 0x0
	s_delay_alu instid0(VALU_DEP_2)
	v_dual_add_f32 v15, v7, v22 :: v_dual_lshlrev_b32 v23, 2, v23
	ds_bpermute_b32 v7, v23, v8
	ds_bpermute_b32 v16, v23, v9
	;; [unrolled: 1-line block ×8, first 2 shown]
	v_xor_b32_e32 v23, 1, v1
	s_delay_alu instid0(VALU_DEP_1) | instskip(SKIP_3) | instid1(VALU_DEP_2)
	v_cmp_gt_i32_e32 vcc_lo, 32, v23
	v_cndmask_b32_e32 v1, v1, v23, vcc_lo
	v_cmp_eq_u32_e32 vcc_lo, 63, v0
	s_wait_dscnt 0x7
	v_dual_lshlrev_b32 v23, 2, v1 :: v_dual_add_f32 v1, v8, v7
	s_wait_dscnt 0x4
	v_dual_add_f32 v7, v9, v16 :: v_dual_add_f32 v9, v11, v18
	s_wait_dscnt 0x3
	v_dual_add_f32 v8, v10, v17 :: v_dual_add_f32 v10, v12, v19
	;; [unrolled: 2-line block ×3, first 2 shown]
	s_wait_dscnt 0x0
	v_add_f32_e32 v13, v15, v22
	ds_bpermute_b32 v14, v23, v1
	ds_bpermute_b32 v15, v23, v7
	;; [unrolled: 1-line block ×8, first 2 shown]
	s_and_b32 exec_lo, exec_lo, vcc_lo
	s_cbranch_execz .LBB129_6
; %bb.34:
	s_load_b64 s[0:1], s[0:1], 0x50
	v_cmp_eq_f32_e32 vcc_lo, 0, v4
	s_wait_dscnt 0x6
	v_dual_add_f32 v0, v1, v14 :: v_dual_add_f32 v22, v7, v15
	s_wait_dscnt 0x4
	v_dual_add_f32 v8, v8, v16 :: v_dual_add_f32 v20, v9, v17
	;; [unrolled: 2-line block ×4, first 2 shown]
	v_xor_b32_e32 v18, 0x80000000, v3
	v_lshlrev_b32_e32 v6, 2, v6
	s_xor_b32 s2, s2, -1
	s_delay_alu instid0(SALU_CYCLE_1) | instskip(NEXT) | instid1(SALU_CYCLE_1)
	s_and_b32 s2, vcc_lo, s2
	s_and_saveexec_b32 s3, s2
	s_delay_alu instid0(SALU_CYCLE_1)
	s_xor_b32 s2, exec_lo, s3
	s_cbranch_execz .LBB129_36
; %bb.35:
	v_dual_mov_b32 v19, v2 :: v_dual_ashrrev_i32 v7, 31, v6
	s_delay_alu instid0(VALU_DEP_1)
	v_pk_mul_f32 v[4:5], v[22:23], v[18:19] op_sel_hi:[0,1]
	v_pk_mul_f32 v[20:21], v[20:21], v[18:19] op_sel_hi:[0,1]
	;; [unrolled: 1-line block ×4, first 2 shown]
	s_wait_kmcnt 0x0
	v_lshl_add_u64 v[18:19], v[6:7], 3, s[0:1]
	v_pk_fma_f32 v[4:5], v[2:3], v[0:1], v[4:5] op_sel_hi:[1,0,1]
	v_pk_fma_f32 v[6:7], v[2:3], v[8:9], v[20:21] op_sel_hi:[1,0,1]
	;; [unrolled: 1-line block ×4, first 2 shown]
                                        ; implicit-def: $vgpr22
                                        ; implicit-def: $vgpr8
                                        ; implicit-def: $vgpr20
                                        ; implicit-def: $vgpr10
                                        ; implicit-def: $vgpr16
                                        ; implicit-def: $vgpr12
                                        ; implicit-def: $vgpr14
	s_clause 0x1
	global_store_b128 v[18:19], v[4:7], off
	global_store_b128 v[18:19], v[0:3], off offset:16
                                        ; implicit-def: $vgpr0
                                        ; implicit-def: $vgpr2_vgpr3
                                        ; implicit-def: $vgpr4_vgpr5
                                        ; implicit-def: $vgpr18
                                        ; implicit-def: $vgpr6
.LBB129_36:
	s_wait_xcnt 0x0
	s_and_not1_saveexec_b32 s2, s2
	s_cbranch_execz .LBB129_6
; %bb.37:
	v_dual_ashrrev_i32 v7, 31, v6 :: v_dual_mov_b32 v19, v2
	s_wait_kmcnt 0x0
	s_delay_alu instid0(VALU_DEP_1) | instskip(NEXT) | instid1(VALU_DEP_2)
	v_lshl_add_u64 v[32:33], v[6:7], 3, s[0:1]
	v_pk_mul_f32 v[6:7], v[22:23], v[18:19] op_sel_hi:[0,1]
	v_pk_mul_f32 v[20:21], v[20:21], v[18:19] op_sel_hi:[0,1]
	;; [unrolled: 1-line block ×4, first 2 shown]
	s_clause 0x1
	global_load_b128 v[24:27], v[32:33], off
	global_load_b128 v[28:31], v[32:33], off offset:16
	v_pk_fma_f32 v[0:1], v[2:3], v[0:1], v[6:7] op_sel_hi:[1,0,1]
	v_pk_fma_f32 v[6:7], v[2:3], v[8:9], v[20:21] op_sel_hi:[1,0,1]
	;; [unrolled: 1-line block ×4, first 2 shown]
	v_xor_b32_e32 v22, 0x80000000, v5
	s_wait_loadcnt 0x1
	v_dual_mov_b32 v23, v4 :: v_dual_mov_b32 v10, v27
	v_pk_fma_f32 v[0:1], v[4:5], v[24:25], v[0:1] op_sel_hi:[1,0,1]
	v_pk_fma_f32 v[6:7], v[4:5], v[26:27], v[6:7] op_sel_hi:[1,0,1]
	s_wait_loadcnt 0x0
	v_pk_fma_f32 v[8:9], v[4:5], v[28:29], v[8:9] op_sel_hi:[1,0,1]
	v_pk_fma_f32 v[12:13], v[4:5], v[30:31], v[2:3] op_sel_hi:[1,0,1]
	v_mov_b32_e32 v14, v31
	v_pk_fma_f32 v[0:1], v[22:23], v[24:25], v[0:1] op_sel:[0,1,0]
	v_pk_fma_f32 v[2:3], v[22:23], v[10:11], v[6:7] op_sel_hi:[1,0,1]
	v_pk_fma_f32 v[4:5], v[22:23], v[28:29], v[8:9] op_sel:[0,1,0]
	s_delay_alu instid0(VALU_DEP_4)
	v_pk_fma_f32 v[6:7], v[22:23], v[14:15], v[12:13] op_sel_hi:[1,0,1]
	s_clause 0x1
	global_store_b128 v[32:33], v[0:3], off
	global_store_b128 v[32:33], v[4:7], off offset:16
	s_sendmsg sendmsg(MSG_DEALLOC_VGPRS)
	s_endpgm
	.section	.rodata,"a",@progbits
	.p2align	6, 0x0
	.amdhsa_kernel _ZN9rocsparseL18bsrxmvn_4x4_kernelILj128ELj64E21rocsparse_complex_numIfElifS2_S2_EEvT3_20rocsparse_direction_NS_24const_host_device_scalarIT1_EES3_PKS3_PKT2_SC_S9_PKT4_PKT5_S7_PT6_21rocsparse_index_base_b
		.amdhsa_group_segment_fixed_size 0
		.amdhsa_private_segment_fixed_size 0
		.amdhsa_kernarg_size 96
		.amdhsa_user_sgpr_count 2
		.amdhsa_user_sgpr_dispatch_ptr 0
		.amdhsa_user_sgpr_queue_ptr 0
		.amdhsa_user_sgpr_kernarg_segment_ptr 1
		.amdhsa_user_sgpr_dispatch_id 0
		.amdhsa_user_sgpr_kernarg_preload_length 0
		.amdhsa_user_sgpr_kernarg_preload_offset 0
		.amdhsa_user_sgpr_private_segment_size 0
		.amdhsa_wavefront_size32 1
		.amdhsa_uses_dynamic_stack 0
		.amdhsa_enable_private_segment 0
		.amdhsa_system_sgpr_workgroup_id_x 1
		.amdhsa_system_sgpr_workgroup_id_y 0
		.amdhsa_system_sgpr_workgroup_id_z 0
		.amdhsa_system_sgpr_workgroup_info 0
		.amdhsa_system_vgpr_workitem_id 0
		.amdhsa_next_free_vgpr 98
		.amdhsa_next_free_sgpr 16
		.amdhsa_named_barrier_count 0
		.amdhsa_reserve_vcc 1
		.amdhsa_float_round_mode_32 0
		.amdhsa_float_round_mode_16_64 0
		.amdhsa_float_denorm_mode_32 3
		.amdhsa_float_denorm_mode_16_64 3
		.amdhsa_fp16_overflow 0
		.amdhsa_memory_ordered 1
		.amdhsa_forward_progress 1
		.amdhsa_inst_pref_size 69
		.amdhsa_round_robin_scheduling 0
		.amdhsa_exception_fp_ieee_invalid_op 0
		.amdhsa_exception_fp_denorm_src 0
		.amdhsa_exception_fp_ieee_div_zero 0
		.amdhsa_exception_fp_ieee_overflow 0
		.amdhsa_exception_fp_ieee_underflow 0
		.amdhsa_exception_fp_ieee_inexact 0
		.amdhsa_exception_int_div_zero 0
	.end_amdhsa_kernel
	.section	.text._ZN9rocsparseL18bsrxmvn_4x4_kernelILj128ELj64E21rocsparse_complex_numIfElifS2_S2_EEvT3_20rocsparse_direction_NS_24const_host_device_scalarIT1_EES3_PKS3_PKT2_SC_S9_PKT4_PKT5_S7_PT6_21rocsparse_index_base_b,"axG",@progbits,_ZN9rocsparseL18bsrxmvn_4x4_kernelILj128ELj64E21rocsparse_complex_numIfElifS2_S2_EEvT3_20rocsparse_direction_NS_24const_host_device_scalarIT1_EES3_PKS3_PKT2_SC_S9_PKT4_PKT5_S7_PT6_21rocsparse_index_base_b,comdat
.Lfunc_end129:
	.size	_ZN9rocsparseL18bsrxmvn_4x4_kernelILj128ELj64E21rocsparse_complex_numIfElifS2_S2_EEvT3_20rocsparse_direction_NS_24const_host_device_scalarIT1_EES3_PKS3_PKT2_SC_S9_PKT4_PKT5_S7_PT6_21rocsparse_index_base_b, .Lfunc_end129-_ZN9rocsparseL18bsrxmvn_4x4_kernelILj128ELj64E21rocsparse_complex_numIfElifS2_S2_EEvT3_20rocsparse_direction_NS_24const_host_device_scalarIT1_EES3_PKS3_PKT2_SC_S9_PKT4_PKT5_S7_PT6_21rocsparse_index_base_b
                                        ; -- End function
	.set _ZN9rocsparseL18bsrxmvn_4x4_kernelILj128ELj64E21rocsparse_complex_numIfElifS2_S2_EEvT3_20rocsparse_direction_NS_24const_host_device_scalarIT1_EES3_PKS3_PKT2_SC_S9_PKT4_PKT5_S7_PT6_21rocsparse_index_base_b.num_vgpr, 98
	.set _ZN9rocsparseL18bsrxmvn_4x4_kernelILj128ELj64E21rocsparse_complex_numIfElifS2_S2_EEvT3_20rocsparse_direction_NS_24const_host_device_scalarIT1_EES3_PKS3_PKT2_SC_S9_PKT4_PKT5_S7_PT6_21rocsparse_index_base_b.num_agpr, 0
	.set _ZN9rocsparseL18bsrxmvn_4x4_kernelILj128ELj64E21rocsparse_complex_numIfElifS2_S2_EEvT3_20rocsparse_direction_NS_24const_host_device_scalarIT1_EES3_PKS3_PKT2_SC_S9_PKT4_PKT5_S7_PT6_21rocsparse_index_base_b.numbered_sgpr, 16
	.set _ZN9rocsparseL18bsrxmvn_4x4_kernelILj128ELj64E21rocsparse_complex_numIfElifS2_S2_EEvT3_20rocsparse_direction_NS_24const_host_device_scalarIT1_EES3_PKS3_PKT2_SC_S9_PKT4_PKT5_S7_PT6_21rocsparse_index_base_b.num_named_barrier, 0
	.set _ZN9rocsparseL18bsrxmvn_4x4_kernelILj128ELj64E21rocsparse_complex_numIfElifS2_S2_EEvT3_20rocsparse_direction_NS_24const_host_device_scalarIT1_EES3_PKS3_PKT2_SC_S9_PKT4_PKT5_S7_PT6_21rocsparse_index_base_b.private_seg_size, 0
	.set _ZN9rocsparseL18bsrxmvn_4x4_kernelILj128ELj64E21rocsparse_complex_numIfElifS2_S2_EEvT3_20rocsparse_direction_NS_24const_host_device_scalarIT1_EES3_PKS3_PKT2_SC_S9_PKT4_PKT5_S7_PT6_21rocsparse_index_base_b.uses_vcc, 1
	.set _ZN9rocsparseL18bsrxmvn_4x4_kernelILj128ELj64E21rocsparse_complex_numIfElifS2_S2_EEvT3_20rocsparse_direction_NS_24const_host_device_scalarIT1_EES3_PKS3_PKT2_SC_S9_PKT4_PKT5_S7_PT6_21rocsparse_index_base_b.uses_flat_scratch, 1
	.set _ZN9rocsparseL18bsrxmvn_4x4_kernelILj128ELj64E21rocsparse_complex_numIfElifS2_S2_EEvT3_20rocsparse_direction_NS_24const_host_device_scalarIT1_EES3_PKS3_PKT2_SC_S9_PKT4_PKT5_S7_PT6_21rocsparse_index_base_b.has_dyn_sized_stack, 0
	.set _ZN9rocsparseL18bsrxmvn_4x4_kernelILj128ELj64E21rocsparse_complex_numIfElifS2_S2_EEvT3_20rocsparse_direction_NS_24const_host_device_scalarIT1_EES3_PKS3_PKT2_SC_S9_PKT4_PKT5_S7_PT6_21rocsparse_index_base_b.has_recursion, 0
	.set _ZN9rocsparseL18bsrxmvn_4x4_kernelILj128ELj64E21rocsparse_complex_numIfElifS2_S2_EEvT3_20rocsparse_direction_NS_24const_host_device_scalarIT1_EES3_PKS3_PKT2_SC_S9_PKT4_PKT5_S7_PT6_21rocsparse_index_base_b.has_indirect_call, 0
	.section	.AMDGPU.csdata,"",@progbits
; Kernel info:
; codeLenInByte = 8708
; TotalNumSgprs: 18
; NumVgprs: 98
; ScratchSize: 0
; MemoryBound: 0
; FloatMode: 240
; IeeeMode: 1
; LDSByteSize: 0 bytes/workgroup (compile time only)
; SGPRBlocks: 0
; VGPRBlocks: 6
; NumSGPRsForWavesPerEU: 18
; NumVGPRsForWavesPerEU: 98
; NamedBarCnt: 0
; Occupancy: 9
; WaveLimiterHint : 1
; COMPUTE_PGM_RSRC2:SCRATCH_EN: 0
; COMPUTE_PGM_RSRC2:USER_SGPR: 2
; COMPUTE_PGM_RSRC2:TRAP_HANDLER: 0
; COMPUTE_PGM_RSRC2:TGID_X_EN: 1
; COMPUTE_PGM_RSRC2:TGID_Y_EN: 0
; COMPUTE_PGM_RSRC2:TGID_Z_EN: 0
; COMPUTE_PGM_RSRC2:TIDIG_COMP_CNT: 0
	.section	.text._ZN9rocsparseL18bsrxmvn_4x4_kernelILj128ELj4E21rocsparse_complex_numIfEllfS2_S2_EEvT3_20rocsparse_direction_NS_24const_host_device_scalarIT1_EES3_PKS3_PKT2_SC_S9_PKT4_PKT5_S7_PT6_21rocsparse_index_base_b,"axG",@progbits,_ZN9rocsparseL18bsrxmvn_4x4_kernelILj128ELj4E21rocsparse_complex_numIfEllfS2_S2_EEvT3_20rocsparse_direction_NS_24const_host_device_scalarIT1_EES3_PKS3_PKT2_SC_S9_PKT4_PKT5_S7_PT6_21rocsparse_index_base_b,comdat
	.globl	_ZN9rocsparseL18bsrxmvn_4x4_kernelILj128ELj4E21rocsparse_complex_numIfEllfS2_S2_EEvT3_20rocsparse_direction_NS_24const_host_device_scalarIT1_EES3_PKS3_PKT2_SC_S9_PKT4_PKT5_S7_PT6_21rocsparse_index_base_b ; -- Begin function _ZN9rocsparseL18bsrxmvn_4x4_kernelILj128ELj4E21rocsparse_complex_numIfEllfS2_S2_EEvT3_20rocsparse_direction_NS_24const_host_device_scalarIT1_EES3_PKS3_PKT2_SC_S9_PKT4_PKT5_S7_PT6_21rocsparse_index_base_b
	.p2align	8
	.type	_ZN9rocsparseL18bsrxmvn_4x4_kernelILj128ELj4E21rocsparse_complex_numIfEllfS2_S2_EEvT3_20rocsparse_direction_NS_24const_host_device_scalarIT1_EES3_PKS3_PKT2_SC_S9_PKT4_PKT5_S7_PT6_21rocsparse_index_base_b,@function
_ZN9rocsparseL18bsrxmvn_4x4_kernelILj128ELj4E21rocsparse_complex_numIfEllfS2_S2_EEvT3_20rocsparse_direction_NS_24const_host_device_scalarIT1_EES3_PKS3_PKT2_SC_S9_PKT4_PKT5_S7_PT6_21rocsparse_index_base_b: ; @_ZN9rocsparseL18bsrxmvn_4x4_kernelILj128ELj4E21rocsparse_complex_numIfEllfS2_S2_EEvT3_20rocsparse_direction_NS_24const_host_device_scalarIT1_EES3_PKS3_PKT2_SC_S9_PKT4_PKT5_S7_PT6_21rocsparse_index_base_b
; %bb.0:
	s_clause 0x2
	s_load_b64 s[8:9], s[0:1], 0x60
	s_load_b128 s[4:7], s[0:1], 0x10
	s_load_b64 s[2:3], s[0:1], 0x50
	v_mov_b32_e32 v11, 0
	s_add_nc_u64 s[10:11], s[0:1], 16
	s_add_nc_u64 s[12:13], s[0:1], 0x50
	s_wait_kmcnt 0x0
	s_bitcmp1_b32 s9, 0
	s_cselect_b32 s5, s11, s5
	s_cselect_b32 s4, s10, s4
	;; [unrolled: 1-line block ×4, first 2 shown]
	s_clause 0x1
	flat_load_b64 v[2:3], v11, s[4:5]
	flat_load_b64 v[4:5], v11, s[2:3]
	s_wait_loadcnt_dscnt 0x101
	v_cmp_neq_f32_e32 vcc_lo, 0, v2
	s_wait_xcnt 0x0
	v_cmp_neq_f32_e64 s3, 0, v3
	s_wait_loadcnt_dscnt 0x0
	v_cmp_neq_f32_e64 s4, 1.0, v4
	v_cmp_neq_f32_e64 s2, 0, v5
	s_or_b32 s5, vcc_lo, s3
	s_mov_b32 s3, 0
	s_or_b32 s4, s4, s2
	s_delay_alu instid0(SALU_CYCLE_1) | instskip(NEXT) | instid1(SALU_CYCLE_1)
	s_or_b32 s4, s5, s4
	s_and_saveexec_b32 s5, s4
	s_cbranch_execz .LBB130_6
; %bb.1:
	s_load_b64 s[4:5], s[0:1], 0x20
	s_bfe_u32 s9, ttmp6, 0x4000c
	s_and_b32 s10, ttmp6, 15
	s_add_co_i32 s9, s9, 1
	s_getreg_b32 s11, hwreg(HW_REG_IB_STS2, 6, 4)
	s_mul_i32 s9, ttmp9, s9
	v_lshrrev_b32_e32 v1, 2, v0
	s_add_co_i32 s10, s10, s9
	s_cmp_eq_u32 s11, 0
	s_cselect_b32 s9, ttmp9, s10
	s_delay_alu instid0(VALU_DEP_1) | instid1(SALU_CYCLE_1)
	v_lshl_or_b32 v10, s9, 5, v1
	s_wait_kmcnt 0x0
	s_cmp_lg_u64 s[4:5], 0
	s_cbranch_scc0 .LBB130_7
; %bb.2:
	s_delay_alu instid0(VALU_DEP_1) | instskip(SKIP_2) | instid1(SALU_CYCLE_1)
	v_cmp_gt_i64_e32 vcc_lo, s[6:7], v[10:11]
	s_mov_b32 s6, 0
                                        ; implicit-def: $vgpr6_vgpr7
                                        ; implicit-def: $vgpr8_vgpr9
	s_and_saveexec_b32 s7, vcc_lo
	s_xor_b32 s7, exec_lo, s7
	s_cbranch_execz .LBB130_4
; %bb.3:
	v_lshl_add_u64 v[6:7], v[10:11], 3, s[4:5]
	s_mov_b32 s9, 0
	s_mov_b32 s3, exec_lo
	v_mov_b64_e32 v[8:9], s[8:9]
	global_load_b64 v[6:7], v[6:7], off
	s_wait_loadcnt 0x0
	v_sub_nc_u64_e64 v[6:7], v[6:7], s[8:9]
.LBB130_4:
	s_or_b32 exec_lo, exec_lo, s7
	s_delay_alu instid0(SALU_CYCLE_1)
	s_and_b32 vcc_lo, exec_lo, s6
	s_cbranch_vccnz .LBB130_8
.LBB130_5:
	s_and_b32 exec_lo, exec_lo, s3
	s_cbranch_execnz .LBB130_11
.LBB130_6:
	s_sendmsg sendmsg(MSG_DEALLOC_VGPRS)
	s_endpgm
.LBB130_7:
                                        ; implicit-def: $vgpr6_vgpr7
                                        ; implicit-def: $vgpr8_vgpr9
	s_cbranch_execz .LBB130_5
.LBB130_8:
	s_load_b64 s[4:5], s[0:1], 0x0
	s_wait_kmcnt 0x0
	v_cmp_gt_i64_e32 vcc_lo, s[4:5], v[10:11]
	s_and_saveexec_b32 s4, vcc_lo
; %bb.9:
	s_mov_b32 s9, 0
	s_or_b32 s3, s3, exec_lo
; %bb.10:
	s_or_b32 exec_lo, exec_lo, s4
	v_mov_b64_e32 v[8:9], s[8:9]
	v_mov_b64_e32 v[6:7], v[10:11]
	s_and_b32 exec_lo, exec_lo, s3
	s_cbranch_execz .LBB130_6
.LBB130_11:
	s_load_b256 s[4:11], s[0:1], 0x28
	s_delay_alu instid0(VALU_DEP_1) | instskip(SKIP_2) | instid1(VALU_DEP_2)
	v_lshlrev_b64_e32 v[10:11], 3, v[6:7]
	v_dual_mov_b32 v1, 0 :: v_dual_bitop2_b32 v0, 3, v0 bitop3:0x40
	s_wait_kmcnt 0x0
	v_add_nc_u64_e32 v[12:13], s[4:5], v[10:11]
	v_add_nc_u64_e32 v[10:11], s[6:7], v[10:11]
	s_cmp_eq_u64 s[6:7], 0
	s_clause 0x1
	s_load_b32 s6, s[0:1], 0x8
	s_load_b64 s[4:5], s[0:1], 0x48
	s_cselect_b32 vcc_lo, -1, 0
	global_load_b64 v[24:25], v[12:13], off
	s_wait_xcnt 0x0
	v_add_nc_u64_e32 v[12:13], 8, v[12:13]
	s_delay_alu instid0(VALU_DEP_1)
	v_dual_cndmask_b32 v11, v11, v13 :: v_dual_cndmask_b32 v10, v10, v12
	global_load_b64 v[12:13], v[10:11], off
	s_wait_kmcnt 0x0
	s_cmp_eq_u32 s6, 1
	s_wait_loadcnt 0x1
	s_wait_xcnt 0x0
	v_sub_nc_u64_e32 v[10:11], v[24:25], v[8:9]
	s_delay_alu instid0(VALU_DEP_1) | instskip(SKIP_2) | instid1(VALU_DEP_2)
	v_add_nc_u64_e32 v[10:11], v[10:11], v[0:1]
	s_wait_loadcnt 0x0
	v_sub_nc_u64_e32 v[12:13], v[12:13], v[8:9]
	v_lshlrev_b64_e32 v[14:15], 6, v[10:11]
	s_delay_alu instid0(VALU_DEP_2) | instskip(NEXT) | instid1(VALU_DEP_2)
	v_cmp_lt_i64_e64 s3, v[10:11], v[12:13]
	v_add_nc_u64_e32 v[14:15], s[10:11], v[14:15]
	s_cbranch_scc1 .LBB130_23
; %bb.12:
	v_dual_mov_b32 v17, v1 :: v_dual_mov_b32 v16, v1
	v_dual_mov_b32 v21, v1 :: v_dual_mov_b32 v20, v1
	;; [unrolled: 1-line block ×4, first 2 shown]
	s_and_saveexec_b32 s6, s3
	s_cbranch_execz .LBB130_22
; %bb.13:
	v_dual_mov_b32 v17, v1 :: v_dual_bitop2_b32 v16, 4, v0 bitop3:0x54
	v_sub_nc_u64_e32 v[18:19], v[8:9], v[0:1]
	v_not_b32_e32 v21, v25
	v_not_b32_e32 v20, v24
	v_mov_b64_e32 v[26:27], v[14:15]
	v_sub_nc_u64_e32 v[16:17], v[16:17], v[8:9]
	v_mov_b64_e32 v[28:29], v[10:11]
	s_delay_alu instid0(VALU_DEP_4) | instskip(NEXT) | instid1(VALU_DEP_3)
	v_add_nc_u64_e32 v[18:19], v[18:19], v[20:21]
	v_add_nc_u64_e32 v[16:17], v[16:17], v[24:25]
	s_delay_alu instid0(VALU_DEP_1) | instskip(NEXT) | instid1(VALU_DEP_1)
	v_max_i64 v[16:17], v[16:17], v[12:13]
	v_add_nc_u64_e32 v[30:31], v[18:19], v[16:17]
	s_delay_alu instid0(VALU_DEP_1) | instskip(NEXT) | instid1(VALU_DEP_1)
	v_dual_mov_b32 v23, 0 :: v_dual_bitop2_b32 v22, 12, v30 bitop3:0x40
	v_dual_mov_b32 v18, v23 :: v_dual_mov_b32 v19, v23
	v_dual_mov_b32 v20, v23 :: v_dual_mov_b32 v21, v23
	s_delay_alu instid0(VALU_DEP_3)
	v_cmp_ne_u64_e32 vcc_lo, 12, v[22:23]
	v_dual_mov_b32 v16, v23 :: v_dual_mov_b32 v22, v23
	v_mov_b32_e32 v17, v23
	s_and_saveexec_b32 s7, vcc_lo
	s_cbranch_execz .LBB130_17
; %bb.14:
	v_dual_mov_b32 v33, 0 :: v_dual_lshrrev_b32 v16, 2, v30
	v_mov_b64_e32 v[28:29], v[10:11]
	v_mov_b64_e32 v[26:27], v[14:15]
	v_lshl_add_u64 v[34:35], v[10:11], 3, s[8:9]
	s_delay_alu instid0(VALU_DEP_4) | instskip(SKIP_2) | instid1(VALU_DEP_3)
	v_dual_add_nc_u32 v16, 1, v16 :: v_dual_mov_b32 v22, v33
	v_bfrev_b32_e32 v36, 1
	v_dual_mov_b32 v18, v33 :: v_dual_mov_b32 v19, v33
	v_dual_mov_b32 v23, v33 :: v_dual_bitop2_b32 v32, 3, v16 bitop3:0x40
	v_dual_mov_b32 v20, v33 :: v_dual_mov_b32 v21, v33
	v_dual_mov_b32 v16, v33 :: v_dual_mov_b32 v17, v33
	s_delay_alu instid0(VALU_DEP_3)
	v_sub_nc_u64_e32 v[38:39], 0, v[32:33]
	s_mov_b32 s10, 0
.LBB130_15:                             ; =>This Inner Loop Header: Depth=1
	global_load_b64 v[48:49], v[34:35], off
	s_clause 0x1
	global_load_b128 v[40:43], v[26:27], off offset:16
	global_load_b128 v[44:47], v[26:27], off
	v_add_nc_u64_e32 v[38:39], 1, v[38:39]
	v_add_nc_u64_e32 v[28:29], 4, v[28:29]
	s_wait_xcnt 0x2
	v_add_nc_u64_e32 v[34:35], 32, v[34:35]
	s_delay_alu instid0(VALU_DEP_3)
	v_cmp_eq_u64_e32 vcc_lo, 0, v[38:39]
	s_or_b32 s10, vcc_lo, s10
	s_wait_loadcnt 0x2
	v_sub_nc_u64_e32 v[48:49], v[48:49], v[8:9]
	s_wait_loadcnt 0x0
	v_dual_mov_b32 v32, v44 :: v_dual_mov_b32 v37, v44
	s_delay_alu instid0(VALU_DEP_2) | instskip(NEXT) | instid1(VALU_DEP_1)
	v_lshlrev_b64_e32 v[48:49], 5, v[48:49]
	v_add_nc_u64_e32 v[64:65], s[4:5], v[48:49]
	s_clause 0x1
	global_load_b128 v[48:51], v[64:65], off
	global_load_b128 v[52:55], v[64:65], off offset:16
	s_clause 0x1
	global_load_b128 v[56:59], v[26:27], off offset:32
	global_load_b128 v[60:63], v[26:27], off offset:48
	s_wait_xcnt 0x0
	v_add_nc_u64_e32 v[26:27], 0x100, v[26:27]
	s_wait_loadcnt 0x3
	v_pk_fma_f32 v[16:17], v[48:49], v[32:33], v[16:17] op_sel_hi:[0,1,1]
	v_dual_mov_b32 v32, v45 :: v_dual_mov_b32 v44, v51
	s_wait_loadcnt 0x2
	v_mov_b32_e32 v64, v55
	s_delay_alu instid0(VALU_DEP_3) | instskip(SKIP_1) | instid1(VALU_DEP_2)
	v_pk_fma_f32 v[16:17], v[48:49], v[36:37], v[16:17] op_sel:[1,0,0]
	v_mov_b32_e32 v37, v45
	v_pk_fma_f32 v[16:17], v[50:51], v[32:33], v[16:17] op_sel_hi:[0,1,1]
	v_mov_b32_e32 v32, v46
	s_delay_alu instid0(VALU_DEP_2) | instskip(SKIP_1) | instid1(VALU_DEP_2)
	v_pk_fma_f32 v[16:17], v[44:45], v[36:37], v[16:17] op_sel_hi:[0,1,1]
	v_mov_b32_e32 v37, v46
	v_pk_fma_f32 v[16:17], v[52:53], v[32:33], v[16:17] op_sel_hi:[0,1,1]
	v_mov_b32_e32 v32, v47
	s_delay_alu instid0(VALU_DEP_2) | instskip(SKIP_1) | instid1(VALU_DEP_2)
	v_pk_fma_f32 v[16:17], v[52:53], v[36:37], v[16:17] op_sel:[1,0,0]
	v_mov_b32_e32 v37, v47
	v_pk_fma_f32 v[16:17], v[54:55], v[32:33], v[16:17] op_sel_hi:[0,1,1]
	v_mov_b32_e32 v32, v40
	s_delay_alu instid0(VALU_DEP_2) | instskip(SKIP_1) | instid1(VALU_DEP_3)
	v_pk_fma_f32 v[16:17], v[64:65], v[36:37], v[16:17] op_sel_hi:[0,1,1]
	v_mov_b32_e32 v37, v40
	v_pk_fma_f32 v[20:21], v[48:49], v[32:33], v[20:21] op_sel_hi:[0,1,1]
	v_mov_b32_e32 v32, v41
	s_delay_alu instid0(VALU_DEP_2) | instskip(SKIP_1) | instid1(VALU_DEP_2)
	v_pk_fma_f32 v[20:21], v[48:49], v[36:37], v[20:21] op_sel:[1,0,0]
	v_mov_b32_e32 v37, v41
	v_pk_fma_f32 v[20:21], v[50:51], v[32:33], v[20:21] op_sel_hi:[0,1,1]
	v_mov_b32_e32 v32, v42
	s_delay_alu instid0(VALU_DEP_2) | instskip(SKIP_1) | instid1(VALU_DEP_2)
	v_pk_fma_f32 v[20:21], v[44:45], v[36:37], v[20:21] op_sel_hi:[0,1,1]
	v_mov_b32_e32 v37, v42
	v_pk_fma_f32 v[20:21], v[52:53], v[32:33], v[20:21] op_sel_hi:[0,1,1]
	v_mov_b32_e32 v32, v43
	s_delay_alu instid0(VALU_DEP_2) | instskip(SKIP_1) | instid1(VALU_DEP_2)
	v_pk_fma_f32 v[20:21], v[52:53], v[36:37], v[20:21] op_sel:[1,0,0]
	v_mov_b32_e32 v37, v43
	v_pk_fma_f32 v[20:21], v[54:55], v[32:33], v[20:21] op_sel_hi:[0,1,1]
	s_wait_loadcnt 0x1
	v_mov_b32_e32 v32, v56
	s_delay_alu instid0(VALU_DEP_2) | instskip(SKIP_1) | instid1(VALU_DEP_3)
	v_pk_fma_f32 v[20:21], v[64:65], v[36:37], v[20:21] op_sel_hi:[0,1,1]
	v_mov_b32_e32 v37, v56
	v_pk_fma_f32 v[18:19], v[48:49], v[32:33], v[18:19] op_sel_hi:[0,1,1]
	v_mov_b32_e32 v32, v57
	s_delay_alu instid0(VALU_DEP_2) | instskip(SKIP_1) | instid1(VALU_DEP_2)
	v_pk_fma_f32 v[18:19], v[48:49], v[36:37], v[18:19] op_sel:[1,0,0]
	v_mov_b32_e32 v37, v57
	v_pk_fma_f32 v[18:19], v[50:51], v[32:33], v[18:19] op_sel_hi:[0,1,1]
	v_mov_b32_e32 v32, v58
	s_delay_alu instid0(VALU_DEP_2) | instskip(SKIP_1) | instid1(VALU_DEP_2)
	v_pk_fma_f32 v[18:19], v[44:45], v[36:37], v[18:19] op_sel_hi:[0,1,1]
	v_mov_b32_e32 v37, v58
	v_pk_fma_f32 v[18:19], v[52:53], v[32:33], v[18:19] op_sel_hi:[0,1,1]
	v_mov_b32_e32 v32, v59
	s_delay_alu instid0(VALU_DEP_2) | instskip(SKIP_1) | instid1(VALU_DEP_2)
	v_pk_fma_f32 v[18:19], v[52:53], v[36:37], v[18:19] op_sel:[1,0,0]
	v_mov_b32_e32 v37, v59
	v_pk_fma_f32 v[18:19], v[54:55], v[32:33], v[18:19] op_sel_hi:[0,1,1]
	s_wait_loadcnt 0x0
	v_mov_b32_e32 v32, v60
	s_delay_alu instid0(VALU_DEP_2) | instskip(SKIP_1) | instid1(VALU_DEP_3)
	v_pk_fma_f32 v[18:19], v[64:65], v[36:37], v[18:19] op_sel_hi:[0,1,1]
	v_mov_b32_e32 v37, v60
	v_pk_fma_f32 v[22:23], v[48:49], v[32:33], v[22:23] op_sel_hi:[0,1,1]
	v_mov_b32_e32 v32, v61
	s_delay_alu instid0(VALU_DEP_2) | instskip(SKIP_1) | instid1(VALU_DEP_2)
	v_pk_fma_f32 v[22:23], v[48:49], v[36:37], v[22:23] op_sel:[1,0,0]
	v_mov_b32_e32 v37, v61
	v_pk_fma_f32 v[22:23], v[50:51], v[32:33], v[22:23] op_sel_hi:[0,1,1]
	v_mov_b32_e32 v32, v62
	s_delay_alu instid0(VALU_DEP_2) | instskip(SKIP_1) | instid1(VALU_DEP_2)
	v_pk_fma_f32 v[22:23], v[44:45], v[36:37], v[22:23] op_sel_hi:[0,1,1]
	v_mov_b32_e32 v37, v62
	v_pk_fma_f32 v[22:23], v[52:53], v[32:33], v[22:23] op_sel_hi:[0,1,1]
	v_mov_b32_e32 v32, v63
	s_delay_alu instid0(VALU_DEP_2) | instskip(SKIP_1) | instid1(VALU_DEP_2)
	v_pk_fma_f32 v[22:23], v[52:53], v[36:37], v[22:23] op_sel:[1,0,0]
	v_mov_b32_e32 v37, v63
	v_pk_fma_f32 v[22:23], v[54:55], v[32:33], v[22:23] op_sel_hi:[0,1,1]
	s_delay_alu instid0(VALU_DEP_1)
	v_pk_fma_f32 v[22:23], v[64:65], v[36:37], v[22:23] op_sel_hi:[0,1,1]
	s_and_not1_b32 exec_lo, exec_lo, s10
	s_cbranch_execnz .LBB130_15
; %bb.16:
	s_or_b32 exec_lo, exec_lo, s10
.LBB130_17:
	s_delay_alu instid0(SALU_CYCLE_1) | instskip(NEXT) | instid1(SALU_CYCLE_1)
	s_or_b32 exec_lo, exec_lo, s7
	s_mov_b32 s7, exec_lo
	v_cmpx_lt_u64_e32 11, v[30:31]
	s_cbranch_execz .LBB130_21
; %bb.18:
	v_lshl_add_u64 v[30:31], v[28:29], 3, s[8:9]
	v_mov_b32_e32 v33, 0
	v_bfrev_b32_e32 v34, 1
	s_mov_b32 s10, 0
	s_delay_alu instid0(VALU_DEP_3)
	v_add_nc_u64_e32 v[30:31], 64, v[30:31]
.LBB130_19:                             ; =>This Inner Loop Header: Depth=1
	s_clause 0x3
	global_load_b64 v[52:53], v[30:31], off offset:-64
	global_load_b64 v[54:55], v[30:31], off offset:-32
	global_load_b64 v[92:93], v[30:31], off
	global_load_b64 v[94:95], v[30:31], off offset:32
	s_clause 0x3
	global_load_b128 v[36:39], v[26:27], off offset:272
	global_load_b128 v[40:43], v[26:27], off offset:256
	global_load_b128 v[44:47], v[26:27], off
	global_load_b128 v[48:51], v[26:27], off offset:16
	v_add_nc_u64_e32 v[28:29], 16, v[28:29]
	s_wait_xcnt 0x4
	v_add_nc_u64_e32 v[30:31], 0x80, v[30:31]
	s_delay_alu instid0(VALU_DEP_2)
	v_cmp_ge_i64_e32 vcc_lo, v[28:29], v[12:13]
	s_or_b32 s10, vcc_lo, s10
	s_wait_loadcnt 0x7
	v_sub_nc_u64_e32 v[52:53], v[52:53], v[8:9]
	s_wait_loadcnt 0x6
	v_sub_nc_u64_e32 v[54:55], v[54:55], v[8:9]
	;; [unrolled: 2-line block ×4, first 2 shown]
	s_wait_loadcnt 0x1
	v_dual_mov_b32 v32, v44 :: v_dual_mov_b32 v35, v44
	v_lshlrev_b64_e32 v[52:53], 5, v[52:53]
	v_lshlrev_b64_e32 v[54:55], 5, v[54:55]
	;; [unrolled: 1-line block ×4, first 2 shown]
	s_delay_alu instid0(VALU_DEP_4) | instskip(NEXT) | instid1(VALU_DEP_4)
	v_add_nc_u64_e32 v[96:97], s[4:5], v[52:53]
	v_add_nc_u64_e32 v[120:121], s[4:5], v[54:55]
	s_delay_alu instid0(VALU_DEP_4) | instskip(NEXT) | instid1(VALU_DEP_4)
	v_add_nc_u64_e32 v[122:123], s[4:5], v[92:93]
	v_add_nc_u64_e32 v[124:125], s[4:5], v[94:95]
	s_clause 0x2
	global_load_b128 v[52:55], v[96:97], off
	global_load_b128 v[56:59], v[96:97], off offset:16
	global_load_b128 v[60:63], v[120:121], off
	s_clause 0x6
	global_load_b128 v[64:67], v[26:27], off offset:32
	global_load_b128 v[68:71], v[26:27], off offset:48
	;; [unrolled: 1-line block ×7, first 2 shown]
	s_clause 0x4
	global_load_b128 v[92:95], v[120:121], off offset:16
	global_load_b128 v[96:99], v[122:123], off
	global_load_b128 v[100:103], v[122:123], off offset:16
	global_load_b128 v[104:107], v[124:125], off
	global_load_b128 v[108:111], v[124:125], off offset:16
	s_clause 0x1
	global_load_b128 v[112:115], v[26:27], off offset:784
	global_load_b128 v[116:119], v[26:27], off offset:544
	s_wait_loadcnt 0x10
	v_pk_fma_f32 v[16:17], v[52:53], v[32:33], v[16:17] op_sel_hi:[0,1,1]
	s_wait_xcnt 0x6
	v_dual_mov_b32 v32, v45 :: v_dual_mov_b32 v120, v55
	s_wait_loadcnt 0xf
	s_wait_xcnt 0x4
	v_mov_b32_e32 v122, v59
	v_pk_fma_f32 v[16:17], v[52:53], v[34:35], v[16:17] op_sel:[1,0,0]
	v_mov_b32_e32 v35, v45
	s_delay_alu instid0(VALU_DEP_2) | instskip(SKIP_1) | instid1(VALU_DEP_2)
	v_pk_fma_f32 v[16:17], v[54:55], v[32:33], v[16:17] op_sel_hi:[0,1,1]
	v_mov_b32_e32 v32, v46
	v_pk_fma_f32 v[16:17], v[120:121], v[34:35], v[16:17] op_sel_hi:[0,1,1]
	v_mov_b32_e32 v35, v46
	s_delay_alu instid0(VALU_DEP_2) | instskip(SKIP_1) | instid1(VALU_DEP_2)
	v_pk_fma_f32 v[16:17], v[56:57], v[32:33], v[16:17] op_sel_hi:[0,1,1]
	v_mov_b32_e32 v32, v47
	v_pk_fma_f32 v[16:17], v[56:57], v[34:35], v[16:17] op_sel:[1,0,0]
	v_mov_b32_e32 v35, v47
	global_load_b128 v[44:47], v[26:27], off offset:800
	v_pk_fma_f32 v[16:17], v[58:59], v[32:33], v[16:17] op_sel_hi:[0,1,1]
	v_mov_b32_e32 v32, v40
	s_delay_alu instid0(VALU_DEP_2) | instskip(SKIP_2) | instid1(VALU_DEP_2)
	v_pk_fma_f32 v[16:17], v[122:123], v[34:35], v[16:17] op_sel_hi:[0,1,1]
	s_wait_loadcnt 0x7
	v_dual_mov_b32 v35, v40 :: v_dual_mov_b32 v40, v95
	v_pk_fma_f32 v[16:17], v[60:61], v[32:33], v[16:17] op_sel_hi:[0,1,1]
	v_mov_b32_e32 v32, v48
	s_delay_alu instid0(VALU_DEP_2) | instskip(SKIP_1) | instid1(VALU_DEP_3)
	v_pk_fma_f32 v[16:17], v[60:61], v[34:35], v[16:17] op_sel:[1,0,0]
	v_mov_b32_e32 v35, v48
	v_pk_fma_f32 v[20:21], v[52:53], v[32:33], v[20:21] op_sel_hi:[0,1,1]
	v_mov_b32_e32 v32, v49
	s_delay_alu instid0(VALU_DEP_2) | instskip(SKIP_1) | instid1(VALU_DEP_2)
	v_pk_fma_f32 v[20:21], v[52:53], v[34:35], v[20:21] op_sel:[1,0,0]
	v_mov_b32_e32 v35, v49
	v_pk_fma_f32 v[20:21], v[54:55], v[32:33], v[20:21] op_sel_hi:[0,1,1]
	v_mov_b32_e32 v32, v50
	s_delay_alu instid0(VALU_DEP_2) | instskip(SKIP_1) | instid1(VALU_DEP_2)
	v_pk_fma_f32 v[20:21], v[120:121], v[34:35], v[20:21] op_sel_hi:[0,1,1]
	v_mov_b32_e32 v35, v50
	v_pk_fma_f32 v[20:21], v[56:57], v[32:33], v[20:21] op_sel_hi:[0,1,1]
	v_mov_b32_e32 v32, v51
	s_delay_alu instid0(VALU_DEP_2) | instskip(SKIP_4) | instid1(VALU_DEP_2)
	v_pk_fma_f32 v[20:21], v[56:57], v[34:35], v[20:21] op_sel:[1,0,0]
	v_mov_b32_e32 v35, v51
	global_load_b128 v[48:51], v[26:27], off offset:560
	v_pk_fma_f32 v[20:21], v[58:59], v[32:33], v[20:21] op_sel_hi:[0,1,1]
	v_mov_b32_e32 v32, v36
	v_pk_fma_f32 v[20:21], v[122:123], v[34:35], v[20:21] op_sel_hi:[0,1,1]
	v_dual_mov_b32 v35, v36 :: v_dual_mov_b32 v36, v63
	s_delay_alu instid0(VALU_DEP_2) | instskip(SKIP_1) | instid1(VALU_DEP_2)
	v_pk_fma_f32 v[20:21], v[60:61], v[32:33], v[20:21] op_sel_hi:[0,1,1]
	v_mov_b32_e32 v32, v64
	v_pk_fma_f32 v[20:21], v[60:61], v[34:35], v[20:21] op_sel:[1,0,0]
	v_mov_b32_e32 v35, v64
	s_delay_alu instid0(VALU_DEP_3) | instskip(SKIP_2) | instid1(VALU_DEP_2)
	v_pk_fma_f32 v[18:19], v[52:53], v[32:33], v[18:19] op_sel_hi:[0,1,1]
	s_wait_loadcnt 0x6
	v_dual_mov_b32 v32, v65 :: v_dual_mov_b32 v64, v103
	v_pk_fma_f32 v[18:19], v[52:53], v[34:35], v[18:19] op_sel:[1,0,0]
	v_mov_b32_e32 v35, v65
	s_delay_alu instid0(VALU_DEP_2) | instskip(SKIP_1) | instid1(VALU_DEP_2)
	v_pk_fma_f32 v[18:19], v[54:55], v[32:33], v[18:19] op_sel_hi:[0,1,1]
	v_mov_b32_e32 v32, v66
	v_pk_fma_f32 v[18:19], v[120:121], v[34:35], v[18:19] op_sel_hi:[0,1,1]
	s_wait_loadcnt 0x4
	v_dual_mov_b32 v35, v66 :: v_dual_mov_b32 v66, v111
	s_delay_alu instid0(VALU_DEP_2) | instskip(SKIP_1) | instid1(VALU_DEP_2)
	v_pk_fma_f32 v[18:19], v[56:57], v[32:33], v[18:19] op_sel_hi:[0,1,1]
	v_mov_b32_e32 v32, v67
	v_pk_fma_f32 v[18:19], v[56:57], v[34:35], v[18:19] op_sel:[1,0,0]
	v_mov_b32_e32 v35, v67
	s_delay_alu instid0(VALU_DEP_2) | instskip(SKIP_1) | instid1(VALU_DEP_2)
	v_pk_fma_f32 v[18:19], v[58:59], v[32:33], v[18:19] op_sel_hi:[0,1,1]
	v_mov_b32_e32 v32, v72
	v_pk_fma_f32 v[18:19], v[122:123], v[34:35], v[18:19] op_sel_hi:[0,1,1]
	v_mov_b32_e32 v35, v72
	s_delay_alu instid0(VALU_DEP_2) | instskip(SKIP_1) | instid1(VALU_DEP_2)
	v_pk_fma_f32 v[18:19], v[60:61], v[32:33], v[18:19] op_sel_hi:[0,1,1]
	v_mov_b32_e32 v32, v68
	v_pk_fma_f32 v[18:19], v[60:61], v[34:35], v[18:19] op_sel:[1,0,0]
	v_mov_b32_e32 v35, v68
	s_delay_alu instid0(VALU_DEP_3) | instskip(SKIP_1) | instid1(VALU_DEP_2)
	v_pk_fma_f32 v[22:23], v[52:53], v[32:33], v[22:23] op_sel_hi:[0,1,1]
	v_mov_b32_e32 v32, v69
	v_pk_fma_f32 v[22:23], v[52:53], v[34:35], v[22:23] op_sel:[1,0,0]
	v_mov_b32_e32 v35, v69
	s_delay_alu instid0(VALU_DEP_2)
	v_pk_fma_f32 v[22:23], v[54:55], v[32:33], v[22:23] op_sel_hi:[0,1,1]
	v_mov_b32_e32 v32, v70
	global_load_b128 v[52:55], v[26:27], off offset:816
	s_wait_xcnt 0x0
	v_add_nc_u64_e32 v[26:27], 0x400, v[26:27]
	v_pk_fma_f32 v[22:23], v[120:121], v[34:35], v[22:23] op_sel_hi:[0,1,1]
	v_mov_b32_e32 v35, v70
	s_delay_alu instid0(VALU_DEP_2) | instskip(SKIP_1) | instid1(VALU_DEP_2)
	v_pk_fma_f32 v[22:23], v[56:57], v[32:33], v[22:23] op_sel_hi:[0,1,1]
	v_mov_b32_e32 v32, v71
	v_pk_fma_f32 v[22:23], v[56:57], v[34:35], v[22:23] op_sel:[1,0,0]
	v_dual_mov_b32 v35, v71 :: v_dual_mov_b32 v56, v99
	s_delay_alu instid0(VALU_DEP_2) | instskip(SKIP_1) | instid1(VALU_DEP_2)
	v_pk_fma_f32 v[22:23], v[58:59], v[32:33], v[22:23] op_sel_hi:[0,1,1]
	v_dual_mov_b32 v32, v76 :: v_dual_mov_b32 v58, v107
	v_pk_fma_f32 v[22:23], v[122:123], v[34:35], v[22:23] op_sel_hi:[0,1,1]
	v_mov_b32_e32 v35, v76
	s_delay_alu instid0(VALU_DEP_2) | instskip(SKIP_1) | instid1(VALU_DEP_2)
	v_pk_fma_f32 v[22:23], v[60:61], v[32:33], v[22:23] op_sel_hi:[0,1,1]
	v_mov_b32_e32 v32, v41
	v_pk_fma_f32 v[22:23], v[60:61], v[34:35], v[22:23] op_sel:[1,0,0]
	v_mov_b32_e32 v35, v41
	s_delay_alu instid0(VALU_DEP_3) | instskip(SKIP_1) | instid1(VALU_DEP_2)
	v_pk_fma_f32 v[16:17], v[62:63], v[32:33], v[16:17] op_sel_hi:[0,1,1]
	v_mov_b32_e32 v32, v42
	v_pk_fma_f32 v[16:17], v[36:37], v[34:35], v[16:17] op_sel_hi:[0,1,1]
	v_mov_b32_e32 v35, v42
	s_delay_alu instid0(VALU_DEP_2) | instskip(SKIP_1) | instid1(VALU_DEP_2)
	v_pk_fma_f32 v[16:17], v[92:93], v[32:33], v[16:17] op_sel_hi:[0,1,1]
	v_mov_b32_e32 v32, v43
	v_pk_fma_f32 v[16:17], v[92:93], v[34:35], v[16:17] op_sel:[1,0,0]
	v_mov_b32_e32 v35, v43
	s_delay_alu instid0(VALU_DEP_2) | instskip(SKIP_1) | instid1(VALU_DEP_2)
	v_pk_fma_f32 v[16:17], v[94:95], v[32:33], v[16:17] op_sel_hi:[0,1,1]
	v_mov_b32_e32 v32, v84
	v_pk_fma_f32 v[16:17], v[40:41], v[34:35], v[16:17] op_sel_hi:[0,1,1]
	v_mov_b32_e32 v35, v84
	s_delay_alu instid0(VALU_DEP_2) | instskip(SKIP_1) | instid1(VALU_DEP_2)
	v_pk_fma_f32 v[16:17], v[96:97], v[32:33], v[16:17] op_sel_hi:[0,1,1]
	v_mov_b32_e32 v32, v85
	v_pk_fma_f32 v[16:17], v[96:97], v[34:35], v[16:17] op_sel:[1,0,0]
	v_mov_b32_e32 v35, v85
	s_delay_alu instid0(VALU_DEP_2) | instskip(SKIP_1) | instid1(VALU_DEP_2)
	;; [unrolled: 10-line block ×5, first 2 shown]
	v_pk_fma_f32 v[16:17], v[110:111], v[32:33], v[16:17] op_sel_hi:[0,1,1]
	v_mov_b32_e32 v32, v37
	v_pk_fma_f32 v[16:17], v[66:67], v[34:35], v[16:17] op_sel_hi:[0,1,1]
	v_mov_b32_e32 v35, v37
	s_delay_alu instid0(VALU_DEP_3) | instskip(SKIP_1) | instid1(VALU_DEP_2)
	v_pk_fma_f32 v[20:21], v[62:63], v[32:33], v[20:21] op_sel_hi:[0,1,1]
	v_mov_b32_e32 v32, v38
	v_pk_fma_f32 v[20:21], v[36:37], v[34:35], v[20:21] op_sel_hi:[0,1,1]
	v_mov_b32_e32 v35, v38
	s_delay_alu instid0(VALU_DEP_2) | instskip(SKIP_1) | instid1(VALU_DEP_2)
	v_pk_fma_f32 v[20:21], v[92:93], v[32:33], v[20:21] op_sel_hi:[0,1,1]
	v_mov_b32_e32 v32, v39
	v_pk_fma_f32 v[20:21], v[92:93], v[34:35], v[20:21] op_sel:[1,0,0]
	v_mov_b32_e32 v35, v39
	s_delay_alu instid0(VALU_DEP_2) | instskip(SKIP_1) | instid1(VALU_DEP_2)
	v_pk_fma_f32 v[20:21], v[94:95], v[32:33], v[20:21] op_sel_hi:[0,1,1]
	v_mov_b32_e32 v32, v80
	v_pk_fma_f32 v[20:21], v[40:41], v[34:35], v[20:21] op_sel_hi:[0,1,1]
	v_mov_b32_e32 v35, v80
	s_delay_alu instid0(VALU_DEP_2) | instskip(SKIP_1) | instid1(VALU_DEP_2)
	v_pk_fma_f32 v[20:21], v[96:97], v[32:33], v[20:21] op_sel_hi:[0,1,1]
	v_mov_b32_e32 v32, v81
	v_pk_fma_f32 v[20:21], v[96:97], v[34:35], v[20:21] op_sel:[1,0,0]
	v_mov_b32_e32 v35, v81
	s_delay_alu instid0(VALU_DEP_2) | instskip(SKIP_1) | instid1(VALU_DEP_2)
	v_pk_fma_f32 v[20:21], v[98:99], v[32:33], v[20:21] op_sel_hi:[0,1,1]
	v_mov_b32_e32 v32, v82
	v_pk_fma_f32 v[20:21], v[56:57], v[34:35], v[20:21] op_sel_hi:[0,1,1]
	v_mov_b32_e32 v35, v82
	s_delay_alu instid0(VALU_DEP_2) | instskip(SKIP_1) | instid1(VALU_DEP_2)
	v_pk_fma_f32 v[20:21], v[32:33], v[100:101], v[20:21] op_sel_hi:[1,0,1]
	v_mov_b32_e32 v32, v83
	v_pk_fma_f32 v[20:21], v[100:101], v[34:35], v[20:21] op_sel:[1,0,0]
	v_mov_b32_e32 v35, v83
	s_delay_alu instid0(VALU_DEP_2) | instskip(SKIP_2) | instid1(VALU_DEP_2)
	v_pk_fma_f32 v[20:21], v[102:103], v[32:33], v[20:21] op_sel_hi:[0,1,1]
	s_wait_loadcnt 0x4
	v_mov_b32_e32 v32, v112
	v_pk_fma_f32 v[20:21], v[64:65], v[34:35], v[20:21] op_sel_hi:[0,1,1]
	v_mov_b32_e32 v35, v112
	s_delay_alu instid0(VALU_DEP_2) | instskip(SKIP_1) | instid1(VALU_DEP_2)
	v_pk_fma_f32 v[20:21], v[104:105], v[32:33], v[20:21] op_sel_hi:[0,1,1]
	v_mov_b32_e32 v32, v113
	v_pk_fma_f32 v[20:21], v[104:105], v[34:35], v[20:21] op_sel:[1,0,0]
	v_mov_b32_e32 v35, v113
	s_delay_alu instid0(VALU_DEP_2) | instskip(SKIP_1) | instid1(VALU_DEP_2)
	v_pk_fma_f32 v[20:21], v[106:107], v[32:33], v[20:21] op_sel_hi:[0,1,1]
	v_mov_b32_e32 v32, v114
	v_pk_fma_f32 v[20:21], v[58:59], v[34:35], v[20:21] op_sel_hi:[0,1,1]
	v_mov_b32_e32 v35, v114
	s_delay_alu instid0(VALU_DEP_2) | instskip(SKIP_1) | instid1(VALU_DEP_2)
	v_pk_fma_f32 v[20:21], v[108:109], v[32:33], v[20:21] op_sel_hi:[0,1,1]
	v_mov_b32_e32 v32, v115
	v_pk_fma_f32 v[20:21], v[108:109], v[34:35], v[20:21] op_sel:[1,0,0]
	v_mov_b32_e32 v35, v115
	s_delay_alu instid0(VALU_DEP_2) | instskip(SKIP_1) | instid1(VALU_DEP_2)
	v_pk_fma_f32 v[20:21], v[110:111], v[32:33], v[20:21] op_sel_hi:[0,1,1]
	v_mov_b32_e32 v32, v73
	v_pk_fma_f32 v[20:21], v[66:67], v[34:35], v[20:21] op_sel_hi:[0,1,1]
	v_mov_b32_e32 v35, v73
	s_delay_alu instid0(VALU_DEP_3) | instskip(SKIP_1) | instid1(VALU_DEP_2)
	v_pk_fma_f32 v[18:19], v[62:63], v[32:33], v[18:19] op_sel_hi:[0,1,1]
	v_mov_b32_e32 v32, v74
	v_pk_fma_f32 v[18:19], v[36:37], v[34:35], v[18:19] op_sel_hi:[0,1,1]
	v_mov_b32_e32 v35, v74
	s_delay_alu instid0(VALU_DEP_2) | instskip(SKIP_1) | instid1(VALU_DEP_2)
	v_pk_fma_f32 v[18:19], v[92:93], v[32:33], v[18:19] op_sel_hi:[0,1,1]
	v_mov_b32_e32 v32, v75
	v_pk_fma_f32 v[18:19], v[92:93], v[34:35], v[18:19] op_sel:[1,0,0]
	v_mov_b32_e32 v35, v75
	s_delay_alu instid0(VALU_DEP_2) | instskip(SKIP_2) | instid1(VALU_DEP_2)
	v_pk_fma_f32 v[18:19], v[94:95], v[32:33], v[18:19] op_sel_hi:[0,1,1]
	s_wait_loadcnt 0x3
	v_mov_b32_e32 v32, v116
	v_pk_fma_f32 v[18:19], v[40:41], v[34:35], v[18:19] op_sel_hi:[0,1,1]
	v_mov_b32_e32 v35, v116
	s_delay_alu instid0(VALU_DEP_2) | instskip(SKIP_1) | instid1(VALU_DEP_2)
	v_pk_fma_f32 v[18:19], v[96:97], v[32:33], v[18:19] op_sel_hi:[0,1,1]
	v_mov_b32_e32 v32, v117
	v_pk_fma_f32 v[18:19], v[96:97], v[34:35], v[18:19] op_sel:[1,0,0]
	v_mov_b32_e32 v35, v117
	s_delay_alu instid0(VALU_DEP_2) | instskip(SKIP_1) | instid1(VALU_DEP_2)
	v_pk_fma_f32 v[18:19], v[98:99], v[32:33], v[18:19] op_sel_hi:[0,1,1]
	v_mov_b32_e32 v32, v118
	v_pk_fma_f32 v[18:19], v[56:57], v[34:35], v[18:19] op_sel_hi:[0,1,1]
	v_mov_b32_e32 v35, v118
	s_delay_alu instid0(VALU_DEP_2) | instskip(SKIP_1) | instid1(VALU_DEP_2)
	v_pk_fma_f32 v[18:19], v[32:33], v[100:101], v[18:19] op_sel_hi:[1,0,1]
	v_mov_b32_e32 v32, v119
	v_pk_fma_f32 v[18:19], v[100:101], v[34:35], v[18:19] op_sel:[1,0,0]
	v_mov_b32_e32 v35, v119
	s_delay_alu instid0(VALU_DEP_2) | instskip(SKIP_2) | instid1(VALU_DEP_2)
	v_pk_fma_f32 v[18:19], v[102:103], v[32:33], v[18:19] op_sel_hi:[0,1,1]
	s_wait_loadcnt 0x2
	v_mov_b32_e32 v32, v44
	v_pk_fma_f32 v[18:19], v[64:65], v[34:35], v[18:19] op_sel_hi:[0,1,1]
	v_mov_b32_e32 v35, v44
	s_delay_alu instid0(VALU_DEP_2) | instskip(SKIP_1) | instid1(VALU_DEP_2)
	v_pk_fma_f32 v[18:19], v[104:105], v[32:33], v[18:19] op_sel_hi:[0,1,1]
	v_mov_b32_e32 v32, v45
	v_pk_fma_f32 v[18:19], v[104:105], v[34:35], v[18:19] op_sel:[1,0,0]
	v_mov_b32_e32 v35, v45
	s_delay_alu instid0(VALU_DEP_2) | instskip(SKIP_1) | instid1(VALU_DEP_2)
	v_pk_fma_f32 v[18:19], v[106:107], v[32:33], v[18:19] op_sel_hi:[0,1,1]
	v_mov_b32_e32 v32, v46
	v_pk_fma_f32 v[18:19], v[58:59], v[34:35], v[18:19] op_sel_hi:[0,1,1]
	v_mov_b32_e32 v35, v46
	s_delay_alu instid0(VALU_DEP_2) | instskip(SKIP_1) | instid1(VALU_DEP_2)
	v_pk_fma_f32 v[18:19], v[108:109], v[32:33], v[18:19] op_sel_hi:[0,1,1]
	v_mov_b32_e32 v32, v47
	v_pk_fma_f32 v[18:19], v[108:109], v[34:35], v[18:19] op_sel:[1,0,0]
	v_mov_b32_e32 v35, v47
	s_delay_alu instid0(VALU_DEP_2) | instskip(SKIP_1) | instid1(VALU_DEP_2)
	v_pk_fma_f32 v[18:19], v[110:111], v[32:33], v[18:19] op_sel_hi:[0,1,1]
	v_mov_b32_e32 v32, v77
	v_pk_fma_f32 v[18:19], v[66:67], v[34:35], v[18:19] op_sel_hi:[0,1,1]
	v_mov_b32_e32 v35, v77
	s_delay_alu instid0(VALU_DEP_3) | instskip(SKIP_1) | instid1(VALU_DEP_2)
	v_pk_fma_f32 v[22:23], v[62:63], v[32:33], v[22:23] op_sel_hi:[0,1,1]
	v_mov_b32_e32 v32, v78
	v_pk_fma_f32 v[22:23], v[36:37], v[34:35], v[22:23] op_sel_hi:[0,1,1]
	v_mov_b32_e32 v35, v78
	s_delay_alu instid0(VALU_DEP_2) | instskip(SKIP_1) | instid1(VALU_DEP_2)
	v_pk_fma_f32 v[22:23], v[92:93], v[32:33], v[22:23] op_sel_hi:[0,1,1]
	v_mov_b32_e32 v32, v79
	v_pk_fma_f32 v[22:23], v[92:93], v[34:35], v[22:23] op_sel:[1,0,0]
	v_mov_b32_e32 v35, v79
	s_delay_alu instid0(VALU_DEP_2) | instskip(SKIP_2) | instid1(VALU_DEP_2)
	v_pk_fma_f32 v[22:23], v[94:95], v[32:33], v[22:23] op_sel_hi:[0,1,1]
	s_wait_loadcnt 0x1
	v_mov_b32_e32 v32, v48
	v_pk_fma_f32 v[22:23], v[40:41], v[34:35], v[22:23] op_sel_hi:[0,1,1]
	v_mov_b32_e32 v35, v48
	s_delay_alu instid0(VALU_DEP_2) | instskip(SKIP_1) | instid1(VALU_DEP_2)
	v_pk_fma_f32 v[22:23], v[96:97], v[32:33], v[22:23] op_sel_hi:[0,1,1]
	v_mov_b32_e32 v32, v49
	v_pk_fma_f32 v[22:23], v[96:97], v[34:35], v[22:23] op_sel:[1,0,0]
	v_mov_b32_e32 v35, v49
	s_delay_alu instid0(VALU_DEP_2) | instskip(SKIP_1) | instid1(VALU_DEP_2)
	v_pk_fma_f32 v[22:23], v[98:99], v[32:33], v[22:23] op_sel_hi:[0,1,1]
	v_mov_b32_e32 v32, v50
	v_pk_fma_f32 v[22:23], v[56:57], v[34:35], v[22:23] op_sel_hi:[0,1,1]
	v_mov_b32_e32 v35, v50
	s_delay_alu instid0(VALU_DEP_2) | instskip(SKIP_1) | instid1(VALU_DEP_2)
	v_pk_fma_f32 v[22:23], v[32:33], v[100:101], v[22:23] op_sel_hi:[1,0,1]
	v_mov_b32_e32 v32, v51
	v_pk_fma_f32 v[22:23], v[100:101], v[34:35], v[22:23] op_sel:[1,0,0]
	v_mov_b32_e32 v35, v51
	s_delay_alu instid0(VALU_DEP_2) | instskip(SKIP_2) | instid1(VALU_DEP_2)
	v_pk_fma_f32 v[22:23], v[102:103], v[32:33], v[22:23] op_sel_hi:[0,1,1]
	s_wait_loadcnt 0x0
	v_mov_b32_e32 v32, v52
	v_pk_fma_f32 v[22:23], v[64:65], v[34:35], v[22:23] op_sel_hi:[0,1,1]
	v_mov_b32_e32 v35, v52
	s_delay_alu instid0(VALU_DEP_2) | instskip(SKIP_1) | instid1(VALU_DEP_2)
	v_pk_fma_f32 v[22:23], v[104:105], v[32:33], v[22:23] op_sel_hi:[0,1,1]
	v_mov_b32_e32 v32, v53
	v_pk_fma_f32 v[22:23], v[104:105], v[34:35], v[22:23] op_sel:[1,0,0]
	v_mov_b32_e32 v35, v53
	s_delay_alu instid0(VALU_DEP_2) | instskip(SKIP_1) | instid1(VALU_DEP_2)
	v_pk_fma_f32 v[22:23], v[106:107], v[32:33], v[22:23] op_sel_hi:[0,1,1]
	v_mov_b32_e32 v32, v54
	v_pk_fma_f32 v[22:23], v[58:59], v[34:35], v[22:23] op_sel_hi:[0,1,1]
	v_mov_b32_e32 v35, v54
	s_delay_alu instid0(VALU_DEP_2) | instskip(SKIP_1) | instid1(VALU_DEP_2)
	v_pk_fma_f32 v[22:23], v[108:109], v[32:33], v[22:23] op_sel_hi:[0,1,1]
	v_mov_b32_e32 v32, v55
	v_pk_fma_f32 v[22:23], v[108:109], v[34:35], v[22:23] op_sel:[1,0,0]
	v_mov_b32_e32 v35, v55
	s_delay_alu instid0(VALU_DEP_2) | instskip(NEXT) | instid1(VALU_DEP_1)
	v_pk_fma_f32 v[22:23], v[110:111], v[32:33], v[22:23] op_sel_hi:[0,1,1]
	v_pk_fma_f32 v[22:23], v[66:67], v[34:35], v[22:23] op_sel_hi:[0,1,1]
	s_and_not1_b32 exec_lo, exec_lo, s10
	s_cbranch_execnz .LBB130_19
; %bb.20:
	s_or_b32 exec_lo, exec_lo, s10
.LBB130_21:
	s_delay_alu instid0(SALU_CYCLE_1)
	s_or_b32 exec_lo, exec_lo, s7
.LBB130_22:
	s_delay_alu instid0(SALU_CYCLE_1)
	s_or_b32 exec_lo, exec_lo, s6
	s_cbranch_execz .LBB130_24
	s_branch .LBB130_35
.LBB130_23:
                                        ; implicit-def: $vgpr17
                                        ; implicit-def: $vgpr21
                                        ; implicit-def: $vgpr19
                                        ; implicit-def: $vgpr23
.LBB130_24:
	v_dual_mov_b32 v17, 0 :: v_dual_mov_b32 v16, 0
	v_dual_mov_b32 v21, 0 :: v_dual_mov_b32 v20, 0
	;; [unrolled: 1-line block ×4, first 2 shown]
	s_and_saveexec_b32 s6, s3
	s_cbranch_execz .LBB130_34
; %bb.25:
	v_dual_mov_b32 v17, v1 :: v_dual_bitop2_b32 v16, 4, v0 bitop3:0x54
	v_sub_nc_u64_e32 v[18:19], v[8:9], v[0:1]
	v_not_b32_e32 v21, v25
	v_not_b32_e32 v20, v24
	s_delay_alu instid0(VALU_DEP_4) | instskip(NEXT) | instid1(VALU_DEP_2)
	v_sub_nc_u64_e32 v[16:17], v[16:17], v[8:9]
	v_add_nc_u64_e32 v[18:19], v[18:19], v[20:21]
	s_delay_alu instid0(VALU_DEP_2) | instskip(NEXT) | instid1(VALU_DEP_1)
	v_add_nc_u64_e32 v[16:17], v[16:17], v[24:25]
	v_max_i64 v[16:17], v[16:17], v[12:13]
	s_delay_alu instid0(VALU_DEP_1) | instskip(NEXT) | instid1(VALU_DEP_1)
	v_add_nc_u64_e32 v[24:25], v[18:19], v[16:17]
	v_dual_mov_b32 v23, 0 :: v_dual_bitop2_b32 v22, 12, v24 bitop3:0x40
	s_delay_alu instid0(VALU_DEP_1) | instskip(SKIP_2) | instid1(VALU_DEP_4)
	v_dual_mov_b32 v18, v23 :: v_dual_mov_b32 v19, v23
	v_dual_mov_b32 v20, v23 :: v_dual_mov_b32 v21, v23
	v_mov_b32_e32 v16, v23
	v_cmp_ne_u64_e32 vcc_lo, 12, v[22:23]
	v_dual_mov_b32 v22, v23 :: v_dual_mov_b32 v17, v23
	s_and_saveexec_b32 s3, vcc_lo
	s_cbranch_execz .LBB130_29
; %bb.26:
	v_dual_lshrrev_b32 v1, 2, v24 :: v_dual_mov_b32 v27, 0
	v_lshl_add_u64 v[28:29], v[10:11], 3, s[8:9]
	v_bfrev_b32_e32 v30, 1
	s_mov_b32 s7, 0
	s_delay_alu instid0(VALU_DEP_3) | instskip(SKIP_2) | instid1(VALU_DEP_3)
	v_dual_mov_b32 v22, v27 :: v_dual_add_nc_u32 v1, 1, v1
	v_dual_mov_b32 v18, v27 :: v_dual_mov_b32 v19, v27
	v_dual_mov_b32 v20, v27 :: v_dual_mov_b32 v21, v27
	v_dual_mov_b32 v23, v27 :: v_dual_bitop2_b32 v26, 3, v1 bitop3:0x40
	v_dual_mov_b32 v16, v27 :: v_dual_mov_b32 v17, v27
	s_delay_alu instid0(VALU_DEP_2)
	v_sub_nc_u64_e32 v[32:33], 0, v[26:27]
.LBB130_27:                             ; =>This Inner Loop Header: Depth=1
	global_load_b64 v[42:43], v[28:29], off
	s_clause 0x1
	global_load_b128 v[34:37], v[14:15], off offset:16
	global_load_b128 v[38:41], v[14:15], off
	v_add_nc_u64_e32 v[32:33], 1, v[32:33]
	v_add_nc_u64_e32 v[10:11], 4, v[10:11]
	s_wait_xcnt 0x2
	v_add_nc_u64_e32 v[28:29], 32, v[28:29]
	s_delay_alu instid0(VALU_DEP_3)
	v_cmp_eq_u64_e32 vcc_lo, 0, v[32:33]
	s_or_b32 s7, vcc_lo, s7
	s_wait_loadcnt 0x2
	v_sub_nc_u64_e32 v[42:43], v[42:43], v[8:9]
	s_wait_loadcnt 0x0
	v_dual_mov_b32 v26, v38 :: v_dual_mov_b32 v31, v38
	s_delay_alu instid0(VALU_DEP_2) | instskip(NEXT) | instid1(VALU_DEP_1)
	v_lshlrev_b64_e32 v[42:43], 5, v[42:43]
	v_add_nc_u64_e32 v[58:59], s[4:5], v[42:43]
	s_clause 0x1
	global_load_b128 v[42:45], v[58:59], off
	global_load_b128 v[46:49], v[58:59], off offset:16
	s_clause 0x1
	global_load_b128 v[50:53], v[14:15], off offset:32
	global_load_b128 v[54:57], v[14:15], off offset:48
	s_wait_xcnt 0x0
	v_add_nc_u64_e32 v[14:15], 0x100, v[14:15]
	s_wait_loadcnt 0x3
	v_pk_fma_f32 v[16:17], v[42:43], v[26:27], v[16:17] op_sel_hi:[0,1,1]
	v_dual_mov_b32 v26, v34 :: v_dual_mov_b32 v38, v45
	s_wait_loadcnt 0x2
	v_mov_b32_e32 v58, v49
	s_delay_alu instid0(VALU_DEP_3) | instskip(SKIP_1) | instid1(VALU_DEP_2)
	v_pk_fma_f32 v[16:17], v[42:43], v[30:31], v[16:17] op_sel:[1,0,0]
	v_mov_b32_e32 v31, v34
	v_pk_fma_f32 v[16:17], v[44:45], v[26:27], v[16:17] op_sel_hi:[0,1,1]
	s_wait_loadcnt 0x1
	v_mov_b32_e32 v26, v50
	s_delay_alu instid0(VALU_DEP_2) | instskip(SKIP_1) | instid1(VALU_DEP_2)
	v_pk_fma_f32 v[16:17], v[38:39], v[30:31], v[16:17] op_sel_hi:[0,1,1]
	v_mov_b32_e32 v31, v50
	v_pk_fma_f32 v[16:17], v[46:47], v[26:27], v[16:17] op_sel_hi:[0,1,1]
	s_wait_loadcnt 0x0
	v_mov_b32_e32 v26, v54
	s_delay_alu instid0(VALU_DEP_2) | instskip(SKIP_1) | instid1(VALU_DEP_2)
	v_pk_fma_f32 v[16:17], v[46:47], v[30:31], v[16:17] op_sel:[1,0,0]
	v_mov_b32_e32 v31, v54
	v_pk_fma_f32 v[16:17], v[48:49], v[26:27], v[16:17] op_sel_hi:[0,1,1]
	v_mov_b32_e32 v26, v39
	s_delay_alu instid0(VALU_DEP_2) | instskip(SKIP_1) | instid1(VALU_DEP_3)
	v_pk_fma_f32 v[16:17], v[58:59], v[30:31], v[16:17] op_sel_hi:[0,1,1]
	v_mov_b32_e32 v31, v39
	v_pk_fma_f32 v[20:21], v[42:43], v[26:27], v[20:21] op_sel_hi:[0,1,1]
	v_mov_b32_e32 v26, v35
	s_delay_alu instid0(VALU_DEP_2) | instskip(SKIP_1) | instid1(VALU_DEP_2)
	v_pk_fma_f32 v[20:21], v[42:43], v[30:31], v[20:21] op_sel:[1,0,0]
	v_mov_b32_e32 v31, v35
	v_pk_fma_f32 v[20:21], v[44:45], v[26:27], v[20:21] op_sel_hi:[0,1,1]
	v_mov_b32_e32 v26, v51
	s_delay_alu instid0(VALU_DEP_2) | instskip(SKIP_1) | instid1(VALU_DEP_2)
	v_pk_fma_f32 v[20:21], v[38:39], v[30:31], v[20:21] op_sel_hi:[0,1,1]
	v_mov_b32_e32 v31, v51
	v_pk_fma_f32 v[20:21], v[46:47], v[26:27], v[20:21] op_sel_hi:[0,1,1]
	v_mov_b32_e32 v26, v55
	s_delay_alu instid0(VALU_DEP_2) | instskip(SKIP_1) | instid1(VALU_DEP_2)
	v_pk_fma_f32 v[20:21], v[46:47], v[30:31], v[20:21] op_sel:[1,0,0]
	v_mov_b32_e32 v31, v55
	v_pk_fma_f32 v[20:21], v[48:49], v[26:27], v[20:21] op_sel_hi:[0,1,1]
	v_mov_b32_e32 v26, v40
	s_delay_alu instid0(VALU_DEP_2) | instskip(SKIP_1) | instid1(VALU_DEP_3)
	v_pk_fma_f32 v[20:21], v[58:59], v[30:31], v[20:21] op_sel_hi:[0,1,1]
	v_mov_b32_e32 v31, v40
	v_pk_fma_f32 v[18:19], v[42:43], v[26:27], v[18:19] op_sel_hi:[0,1,1]
	v_mov_b32_e32 v26, v36
	s_delay_alu instid0(VALU_DEP_2) | instskip(SKIP_1) | instid1(VALU_DEP_2)
	v_pk_fma_f32 v[18:19], v[42:43], v[30:31], v[18:19] op_sel:[1,0,0]
	v_mov_b32_e32 v31, v36
	v_pk_fma_f32 v[18:19], v[44:45], v[26:27], v[18:19] op_sel_hi:[0,1,1]
	v_mov_b32_e32 v26, v52
	s_delay_alu instid0(VALU_DEP_2) | instskip(SKIP_1) | instid1(VALU_DEP_2)
	v_pk_fma_f32 v[18:19], v[38:39], v[30:31], v[18:19] op_sel_hi:[0,1,1]
	v_mov_b32_e32 v31, v52
	v_pk_fma_f32 v[18:19], v[46:47], v[26:27], v[18:19] op_sel_hi:[0,1,1]
	;; [unrolled: 20-line block ×3, first 2 shown]
	v_mov_b32_e32 v26, v57
	s_delay_alu instid0(VALU_DEP_2) | instskip(SKIP_1) | instid1(VALU_DEP_2)
	v_pk_fma_f32 v[22:23], v[46:47], v[30:31], v[22:23] op_sel:[1,0,0]
	v_mov_b32_e32 v31, v57
	v_pk_fma_f32 v[22:23], v[48:49], v[26:27], v[22:23] op_sel_hi:[0,1,1]
	s_delay_alu instid0(VALU_DEP_1)
	v_pk_fma_f32 v[22:23], v[58:59], v[30:31], v[22:23] op_sel_hi:[0,1,1]
	s_and_not1_b32 exec_lo, exec_lo, s7
	s_cbranch_execnz .LBB130_27
; %bb.28:
	s_or_b32 exec_lo, exec_lo, s7
.LBB130_29:
	s_delay_alu instid0(SALU_CYCLE_1) | instskip(NEXT) | instid1(SALU_CYCLE_1)
	s_or_b32 exec_lo, exec_lo, s3
	s_mov_b32 s3, exec_lo
	v_cmpx_lt_u64_e32 11, v[24:25]
	s_cbranch_execz .LBB130_33
; %bb.30:
	v_lshl_add_u64 v[24:25], v[10:11], 3, s[8:9]
	v_mov_b32_e32 v27, 0
	v_bfrev_b32_e32 v28, 1
	s_mov_b32 s7, 0
	s_delay_alu instid0(VALU_DEP_3)
	v_add_nc_u64_e32 v[24:25], 64, v[24:25]
.LBB130_31:                             ; =>This Inner Loop Header: Depth=1
	s_clause 0x1
	global_load_b64 v[90:91], v[24:25], off offset:-64
	global_load_b64 v[92:93], v[24:25], off offset:-32
	global_load_b128 v[30:33], v[14:15], off
	s_clause 0x1
	global_load_b64 v[94:95], v[24:25], off
	global_load_b64 v[96:97], v[24:25], off offset:32
	s_clause 0xd
	global_load_b128 v[34:37], v[14:15], off offset:16
	global_load_b128 v[38:41], v[14:15], off offset:48
	;; [unrolled: 1-line block ×14, first 2 shown]
	v_add_nc_u64_e32 v[10:11], 16, v[10:11]
	s_wait_xcnt 0xe
	v_add_nc_u64_e32 v[24:25], 0x80, v[24:25]
	s_delay_alu instid0(VALU_DEP_2)
	v_cmp_ge_i64_e32 vcc_lo, v[10:11], v[12:13]
	s_or_b32 s7, vcc_lo, s7
	s_wait_loadcnt 0x12
	v_sub_nc_u64_e32 v[90:91], v[90:91], v[8:9]
	s_wait_loadcnt 0x11
	v_sub_nc_u64_e32 v[92:93], v[92:93], v[8:9]
	s_wait_loadcnt 0x10
	v_dual_mov_b32 v26, v30 :: v_dual_mov_b32 v29, v30
	s_wait_loadcnt 0xf
	v_sub_nc_u64_e32 v[94:95], v[94:95], v[8:9]
	s_wait_loadcnt 0xe
	v_sub_nc_u64_e32 v[96:97], v[96:97], v[8:9]
	v_lshlrev_b64_e32 v[90:91], 5, v[90:91]
	v_lshlrev_b64_e32 v[92:93], 5, v[92:93]
	s_delay_alu instid0(VALU_DEP_4) | instskip(NEXT) | instid1(VALU_DEP_4)
	v_lshlrev_b64_e32 v[94:95], 5, v[94:95]
	v_lshlrev_b64_e32 v[96:97], 5, v[96:97]
	s_delay_alu instid0(VALU_DEP_4) | instskip(NEXT) | instid1(VALU_DEP_4)
	v_add_nc_u64_e32 v[106:107], s[4:5], v[90:91]
	v_add_nc_u64_e32 v[108:109], s[4:5], v[92:93]
	s_delay_alu instid0(VALU_DEP_4) | instskip(NEXT) | instid1(VALU_DEP_4)
	v_add_nc_u64_e32 v[110:111], s[4:5], v[94:95]
	v_add_nc_u64_e32 v[112:113], s[4:5], v[96:97]
	s_clause 0x3
	global_load_b128 v[90:93], v[106:107], off
	global_load_b128 v[94:97], v[106:107], off offset:16
	global_load_b128 v[98:101], v[108:109], off
	global_load_b128 v[102:105], v[108:109], off offset:16
	s_wait_loadcnt 0x3
	v_pk_fma_f32 v[16:17], v[90:91], v[26:27], v[16:17] op_sel_hi:[0,1,1]
	s_wait_xcnt 0x2
	v_dual_mov_b32 v26, v34 :: v_dual_mov_b32 v106, v93
	s_wait_loadcnt 0x2
	s_wait_xcnt 0x0
	v_mov_b32_e32 v108, v97
	v_pk_fma_f32 v[16:17], v[90:91], v[28:29], v[16:17] op_sel:[1,0,0]
	v_mov_b32_e32 v29, v34
	s_delay_alu instid0(VALU_DEP_2) | instskip(SKIP_1) | instid1(VALU_DEP_2)
	v_pk_fma_f32 v[16:17], v[92:93], v[26:27], v[16:17] op_sel_hi:[0,1,1]
	v_mov_b32_e32 v26, v42
	v_pk_fma_f32 v[16:17], v[106:107], v[28:29], v[16:17] op_sel_hi:[0,1,1]
	v_mov_b32_e32 v29, v42
	s_delay_alu instid0(VALU_DEP_2) | instskip(SKIP_1) | instid1(VALU_DEP_2)
	v_pk_fma_f32 v[16:17], v[94:95], v[26:27], v[16:17] op_sel_hi:[0,1,1]
	v_mov_b32_e32 v26, v38
	v_pk_fma_f32 v[16:17], v[94:95], v[28:29], v[16:17] op_sel:[1,0,0]
	v_mov_b32_e32 v29, v38
	s_delay_alu instid0(VALU_DEP_2) | instskip(SKIP_1) | instid1(VALU_DEP_2)
	v_pk_fma_f32 v[16:17], v[96:97], v[26:27], v[16:17] op_sel_hi:[0,1,1]
	v_mov_b32_e32 v26, v58
	v_pk_fma_f32 v[16:17], v[108:109], v[28:29], v[16:17] op_sel_hi:[0,1,1]
	v_mov_b32_e32 v29, v58
	s_wait_loadcnt 0x1
	s_delay_alu instid0(VALU_DEP_2) | instskip(SKIP_1) | instid1(VALU_DEP_2)
	v_pk_fma_f32 v[16:17], v[98:99], v[26:27], v[16:17] op_sel_hi:[0,1,1]
	v_mov_b32_e32 v26, v31
	v_pk_fma_f32 v[114:115], v[98:99], v[28:29], v[16:17] op_sel:[1,0,0]
	v_mov_b32_e32 v29, v31
	s_delay_alu instid0(VALU_DEP_3) | instskip(SKIP_1) | instid1(VALU_DEP_2)
	v_pk_fma_f32 v[16:17], v[90:91], v[26:27], v[20:21] op_sel_hi:[0,1,1]
	v_mov_b32_e32 v26, v35
	v_pk_fma_f32 v[16:17], v[90:91], v[28:29], v[16:17] op_sel:[1,0,0]
	v_mov_b32_e32 v29, v35
	s_delay_alu instid0(VALU_DEP_2) | instskip(SKIP_1) | instid1(VALU_DEP_2)
	v_pk_fma_f32 v[16:17], v[92:93], v[26:27], v[16:17] op_sel_hi:[0,1,1]
	v_mov_b32_e32 v26, v43
	v_pk_fma_f32 v[16:17], v[106:107], v[28:29], v[16:17] op_sel_hi:[0,1,1]
	v_mov_b32_e32 v29, v43
	s_delay_alu instid0(VALU_DEP_2) | instskip(SKIP_1) | instid1(VALU_DEP_2)
	v_pk_fma_f32 v[16:17], v[94:95], v[26:27], v[16:17] op_sel_hi:[0,1,1]
	v_mov_b32_e32 v26, v39
	v_pk_fma_f32 v[16:17], v[94:95], v[28:29], v[16:17] op_sel:[1,0,0]
	v_mov_b32_e32 v29, v39
	s_delay_alu instid0(VALU_DEP_2) | instskip(SKIP_1) | instid1(VALU_DEP_2)
	v_pk_fma_f32 v[16:17], v[96:97], v[26:27], v[16:17] op_sel_hi:[0,1,1]
	v_mov_b32_e32 v26, v59
	v_pk_fma_f32 v[16:17], v[108:109], v[28:29], v[16:17] op_sel_hi:[0,1,1]
	v_mov_b32_e32 v29, v59
	s_delay_alu instid0(VALU_DEP_2) | instskip(SKIP_1) | instid1(VALU_DEP_2)
	v_pk_fma_f32 v[16:17], v[98:99], v[26:27], v[16:17] op_sel_hi:[0,1,1]
	v_mov_b32_e32 v26, v32
	v_pk_fma_f32 v[38:39], v[98:99], v[28:29], v[16:17] op_sel:[1,0,0]
	v_mov_b32_e32 v29, v32
	s_delay_alu instid0(VALU_DEP_3) | instskip(SKIP_1) | instid1(VALU_DEP_2)
	v_pk_fma_f32 v[16:17], v[90:91], v[26:27], v[18:19] op_sel_hi:[0,1,1]
	v_mov_b32_e32 v26, v36
	v_pk_fma_f32 v[16:17], v[90:91], v[28:29], v[16:17] op_sel:[1,0,0]
	v_mov_b32_e32 v29, v36
	s_delay_alu instid0(VALU_DEP_2) | instskip(SKIP_1) | instid1(VALU_DEP_2)
	v_pk_fma_f32 v[16:17], v[92:93], v[26:27], v[16:17] op_sel_hi:[0,1,1]
	v_mov_b32_e32 v26, v44
	v_pk_fma_f32 v[16:17], v[106:107], v[28:29], v[16:17] op_sel_hi:[0,1,1]
	s_wait_loadcnt 0x0
	v_dual_mov_b32 v29, v44 :: v_dual_mov_b32 v44, v105
	s_delay_alu instid0(VALU_DEP_2) | instskip(SKIP_1) | instid1(VALU_DEP_2)
	v_pk_fma_f32 v[16:17], v[94:95], v[26:27], v[16:17] op_sel_hi:[0,1,1]
	v_mov_b32_e32 v26, v40
	v_pk_fma_f32 v[16:17], v[94:95], v[28:29], v[16:17] op_sel:[1,0,0]
	v_dual_mov_b32 v29, v40 :: v_dual_mov_b32 v40, v101
	s_delay_alu instid0(VALU_DEP_2) | instskip(SKIP_1) | instid1(VALU_DEP_2)
	v_pk_fma_f32 v[16:17], v[96:97], v[26:27], v[16:17] op_sel_hi:[0,1,1]
	v_mov_b32_e32 v26, v60
	v_pk_fma_f32 v[16:17], v[108:109], v[28:29], v[16:17] op_sel_hi:[0,1,1]
	v_mov_b32_e32 v29, v60
	s_delay_alu instid0(VALU_DEP_2) | instskip(SKIP_1) | instid1(VALU_DEP_2)
	v_pk_fma_f32 v[16:17], v[98:99], v[26:27], v[16:17] op_sel_hi:[0,1,1]
	v_mov_b32_e32 v26, v33
	v_pk_fma_f32 v[42:43], v[98:99], v[28:29], v[16:17] op_sel:[1,0,0]
	v_mov_b32_e32 v29, v33
	s_clause 0x1
	global_load_b128 v[16:19], v[110:111], off
	global_load_b128 v[30:33], v[110:111], off offset:16
	v_pk_fma_f32 v[20:21], v[90:91], v[26:27], v[22:23] op_sel_hi:[0,1,1]
	v_mov_b32_e32 v26, v37
	s_delay_alu instid0(VALU_DEP_2)
	v_pk_fma_f32 v[20:21], v[90:91], v[28:29], v[20:21] op_sel:[1,0,0]
	v_mov_b32_e32 v29, v37
	global_load_b128 v[34:37], v[112:113], off
	v_pk_fma_f32 v[20:21], v[92:93], v[26:27], v[20:21] op_sel_hi:[0,1,1]
	global_load_b128 v[90:93], v[112:113], off offset:16
	v_mov_b32_e32 v26, v45
	v_pk_fma_f32 v[58:59], v[106:107], v[28:29], v[20:21] op_sel_hi:[0,1,1]
	global_load_b128 v[20:23], v[14:15], off offset:816
	v_mov_b32_e32 v29, v45
	s_wait_xcnt 0x0
	v_add_nc_u64_e32 v[14:15], 0x400, v[14:15]
	v_pk_fma_f32 v[58:59], v[94:95], v[26:27], v[58:59] op_sel_hi:[0,1,1]
	v_mov_b32_e32 v26, v41
	s_delay_alu instid0(VALU_DEP_2) | instskip(SKIP_1) | instid1(VALU_DEP_2)
	v_pk_fma_f32 v[58:59], v[94:95], v[28:29], v[58:59] op_sel:[1,0,0]
	v_mov_b32_e32 v29, v41
	v_pk_fma_f32 v[58:59], v[96:97], v[26:27], v[58:59] op_sel_hi:[0,1,1]
	v_mov_b32_e32 v26, v61
	s_delay_alu instid0(VALU_DEP_2) | instskip(SKIP_1) | instid1(VALU_DEP_2)
	v_pk_fma_f32 v[58:59], v[108:109], v[28:29], v[58:59] op_sel_hi:[0,1,1]
	v_mov_b32_e32 v29, v61
	v_pk_fma_f32 v[58:59], v[98:99], v[26:27], v[58:59] op_sel_hi:[0,1,1]
	v_mov_b32_e32 v26, v54
	s_delay_alu instid0(VALU_DEP_2) | instskip(SKIP_1) | instid1(VALU_DEP_3)
	v_pk_fma_f32 v[58:59], v[98:99], v[28:29], v[58:59] op_sel:[1,0,0]
	v_mov_b32_e32 v29, v54
	v_pk_fma_f32 v[98:99], v[100:101], v[26:27], v[114:115] op_sel_hi:[0,1,1]
	v_mov_b32_e32 v26, v50
	s_delay_alu instid0(VALU_DEP_2) | instskip(SKIP_1) | instid1(VALU_DEP_2)
	v_pk_fma_f32 v[98:99], v[40:41], v[28:29], v[98:99] op_sel_hi:[0,1,1]
	v_mov_b32_e32 v29, v50
	v_pk_fma_f32 v[98:99], v[102:103], v[26:27], v[98:99] op_sel_hi:[0,1,1]
	v_mov_b32_e32 v26, v46
	s_delay_alu instid0(VALU_DEP_2) | instskip(SKIP_1) | instid1(VALU_DEP_2)
	v_pk_fma_f32 v[98:99], v[102:103], v[28:29], v[98:99] op_sel:[1,0,0]
	v_mov_b32_e32 v29, v46
	v_pk_fma_f32 v[98:99], v[104:105], v[26:27], v[98:99] op_sel_hi:[0,1,1]
	v_mov_b32_e32 v26, v74
	s_delay_alu instid0(VALU_DEP_2) | instskip(SKIP_2) | instid1(VALU_DEP_2)
	v_pk_fma_f32 v[98:99], v[44:45], v[28:29], v[98:99] op_sel_hi:[0,1,1]
	v_mov_b32_e32 v29, v74
	s_wait_loadcnt 0x4
	v_pk_fma_f32 v[98:99], v[16:17], v[26:27], v[98:99] op_sel_hi:[0,1,1]
	v_dual_mov_b32 v26, v70 :: v_dual_mov_b32 v60, v19
	s_wait_loadcnt 0x3
	v_mov_b32_e32 v94, v33
	s_delay_alu instid0(VALU_DEP_3) | instskip(SKIP_2) | instid1(VALU_DEP_2)
	v_pk_fma_f32 v[98:99], v[16:17], v[28:29], v[98:99] op_sel:[1,0,0]
	s_wait_loadcnt 0x2
	v_dual_mov_b32 v29, v70 :: v_dual_mov_b32 v96, v37
	v_pk_fma_f32 v[98:99], v[18:19], v[26:27], v[98:99] op_sel_hi:[0,1,1]
	s_wait_loadcnt 0x1
	v_dual_mov_b32 v26, v66 :: v_dual_mov_b32 v106, v93
	s_delay_alu instid0(VALU_DEP_2) | instskip(SKIP_1) | instid1(VALU_DEP_2)
	v_pk_fma_f32 v[98:99], v[60:61], v[28:29], v[98:99] op_sel_hi:[0,1,1]
	v_mov_b32_e32 v29, v55
	v_pk_fma_f32 v[98:99], v[30:31], v[26:27], v[98:99] op_sel_hi:[0,1,1]
	v_mov_b32_e32 v26, v55
	s_delay_alu instid0(VALU_DEP_1) | instskip(SKIP_1) | instid1(VALU_DEP_2)
	v_pk_fma_f32 v[38:39], v[100:101], v[26:27], v[38:39] op_sel_hi:[0,1,1]
	v_mov_b32_e32 v26, v51
	v_pk_fma_f32 v[38:39], v[40:41], v[28:29], v[38:39] op_sel_hi:[0,1,1]
	v_mov_b32_e32 v29, v51
	s_delay_alu instid0(VALU_DEP_2) | instskip(SKIP_1) | instid1(VALU_DEP_2)
	v_pk_fma_f32 v[38:39], v[102:103], v[26:27], v[38:39] op_sel_hi:[0,1,1]
	v_mov_b32_e32 v26, v47
	v_pk_fma_f32 v[38:39], v[102:103], v[28:29], v[38:39] op_sel:[1,0,0]
	v_mov_b32_e32 v29, v47
	s_delay_alu instid0(VALU_DEP_2) | instskip(SKIP_1) | instid1(VALU_DEP_2)
	v_pk_fma_f32 v[38:39], v[104:105], v[26:27], v[38:39] op_sel_hi:[0,1,1]
	v_mov_b32_e32 v26, v75
	v_pk_fma_f32 v[38:39], v[44:45], v[28:29], v[38:39] op_sel_hi:[0,1,1]
	v_mov_b32_e32 v29, v75
	s_delay_alu instid0(VALU_DEP_2) | instskip(SKIP_1) | instid1(VALU_DEP_2)
	v_pk_fma_f32 v[38:39], v[16:17], v[26:27], v[38:39] op_sel_hi:[0,1,1]
	v_mov_b32_e32 v26, v71
	v_pk_fma_f32 v[38:39], v[16:17], v[28:29], v[38:39] op_sel:[1,0,0]
	v_mov_b32_e32 v29, v71
	s_delay_alu instid0(VALU_DEP_2) | instskip(SKIP_1) | instid1(VALU_DEP_2)
	v_pk_fma_f32 v[38:39], v[18:19], v[26:27], v[38:39] op_sel_hi:[0,1,1]
	v_mov_b32_e32 v26, v67
	v_pk_fma_f32 v[38:39], v[60:61], v[28:29], v[38:39] op_sel_hi:[0,1,1]
	v_mov_b32_e32 v29, v56
	s_delay_alu instid0(VALU_DEP_2) | instskip(SKIP_1) | instid1(VALU_DEP_1)
	v_pk_fma_f32 v[38:39], v[30:31], v[26:27], v[38:39] op_sel_hi:[0,1,1]
	v_mov_b32_e32 v26, v56
	v_pk_fma_f32 v[42:43], v[100:101], v[26:27], v[42:43] op_sel_hi:[0,1,1]
	v_mov_b32_e32 v26, v52
	s_delay_alu instid0(VALU_DEP_2) | instskip(SKIP_1) | instid1(VALU_DEP_2)
	v_pk_fma_f32 v[42:43], v[40:41], v[28:29], v[42:43] op_sel_hi:[0,1,1]
	v_mov_b32_e32 v29, v52
	v_pk_fma_f32 v[42:43], v[102:103], v[26:27], v[42:43] op_sel_hi:[0,1,1]
	v_mov_b32_e32 v26, v48
	s_delay_alu instid0(VALU_DEP_2) | instskip(SKIP_1) | instid1(VALU_DEP_2)
	v_pk_fma_f32 v[42:43], v[102:103], v[28:29], v[42:43] op_sel:[1,0,0]
	v_mov_b32_e32 v29, v48
	v_pk_fma_f32 v[42:43], v[104:105], v[26:27], v[42:43] op_sel_hi:[0,1,1]
	v_mov_b32_e32 v26, v76
	s_delay_alu instid0(VALU_DEP_2) | instskip(SKIP_1) | instid1(VALU_DEP_2)
	v_pk_fma_f32 v[42:43], v[44:45], v[28:29], v[42:43] op_sel_hi:[0,1,1]
	v_mov_b32_e32 v29, v76
	v_pk_fma_f32 v[42:43], v[16:17], v[26:27], v[42:43] op_sel_hi:[0,1,1]
	v_mov_b32_e32 v26, v72
	s_delay_alu instid0(VALU_DEP_2) | instskip(SKIP_1) | instid1(VALU_DEP_2)
	v_pk_fma_f32 v[42:43], v[16:17], v[28:29], v[42:43] op_sel:[1,0,0]
	v_mov_b32_e32 v29, v72
	v_pk_fma_f32 v[42:43], v[18:19], v[26:27], v[42:43] op_sel_hi:[0,1,1]
	v_mov_b32_e32 v26, v68
	s_delay_alu instid0(VALU_DEP_2) | instskip(SKIP_1) | instid1(VALU_DEP_2)
	v_pk_fma_f32 v[42:43], v[60:61], v[28:29], v[42:43] op_sel_hi:[0,1,1]
	v_mov_b32_e32 v29, v57
	v_pk_fma_f32 v[42:43], v[30:31], v[26:27], v[42:43] op_sel_hi:[0,1,1]
	v_mov_b32_e32 v26, v57
	s_delay_alu instid0(VALU_DEP_1) | instskip(SKIP_1) | instid1(VALU_DEP_2)
	v_pk_fma_f32 v[46:47], v[100:101], v[26:27], v[58:59] op_sel_hi:[0,1,1]
	v_mov_b32_e32 v26, v53
	v_pk_fma_f32 v[40:41], v[40:41], v[28:29], v[46:47] op_sel_hi:[0,1,1]
	v_mov_b32_e32 v29, v53
	s_delay_alu instid0(VALU_DEP_2) | instskip(SKIP_1) | instid1(VALU_DEP_2)
	v_pk_fma_f32 v[40:41], v[102:103], v[26:27], v[40:41] op_sel_hi:[0,1,1]
	v_mov_b32_e32 v26, v49
	v_pk_fma_f32 v[40:41], v[102:103], v[28:29], v[40:41] op_sel:[1,0,0]
	v_mov_b32_e32 v29, v49
	s_delay_alu instid0(VALU_DEP_2) | instskip(SKIP_1) | instid1(VALU_DEP_2)
	v_pk_fma_f32 v[40:41], v[104:105], v[26:27], v[40:41] op_sel_hi:[0,1,1]
	v_mov_b32_e32 v26, v77
	v_pk_fma_f32 v[40:41], v[44:45], v[28:29], v[40:41] op_sel_hi:[0,1,1]
	v_mov_b32_e32 v29, v77
	s_delay_alu instid0(VALU_DEP_2) | instskip(SKIP_1) | instid1(VALU_DEP_2)
	v_pk_fma_f32 v[40:41], v[16:17], v[26:27], v[40:41] op_sel_hi:[0,1,1]
	v_mov_b32_e32 v26, v73
	v_pk_fma_f32 v[16:17], v[16:17], v[28:29], v[40:41] op_sel:[1,0,0]
	v_mov_b32_e32 v29, v73
	s_delay_alu instid0(VALU_DEP_2) | instskip(SKIP_1) | instid1(VALU_DEP_2)
	v_pk_fma_f32 v[16:17], v[18:19], v[26:27], v[16:17] op_sel_hi:[0,1,1]
	v_mov_b32_e32 v26, v69
	v_pk_fma_f32 v[16:17], v[60:61], v[28:29], v[16:17] op_sel_hi:[0,1,1]
	v_mov_b32_e32 v29, v66
	s_delay_alu instid0(VALU_DEP_2) | instskip(NEXT) | instid1(VALU_DEP_2)
	v_pk_fma_f32 v[40:41], v[30:31], v[26:27], v[16:17] op_sel_hi:[0,1,1]
	v_pk_fma_f32 v[16:17], v[30:31], v[28:29], v[98:99] op_sel:[1,0,0]
	v_dual_mov_b32 v26, v62 :: v_dual_mov_b32 v29, v62
	s_delay_alu instid0(VALU_DEP_1) | instskip(SKIP_1) | instid1(VALU_DEP_2)
	v_pk_fma_f32 v[16:17], v[32:33], v[26:27], v[16:17] op_sel_hi:[0,1,1]
	v_mov_b32_e32 v26, v82
	v_pk_fma_f32 v[16:17], v[94:95], v[28:29], v[16:17] op_sel_hi:[0,1,1]
	v_mov_b32_e32 v29, v82
	s_delay_alu instid0(VALU_DEP_2) | instskip(SKIP_1) | instid1(VALU_DEP_2)
	v_pk_fma_f32 v[16:17], v[34:35], v[26:27], v[16:17] op_sel_hi:[0,1,1]
	v_mov_b32_e32 v26, v78
	v_pk_fma_f32 v[16:17], v[34:35], v[28:29], v[16:17] op_sel:[1,0,0]
	v_mov_b32_e32 v29, v78
	s_delay_alu instid0(VALU_DEP_2) | instskip(SKIP_1) | instid1(VALU_DEP_2)
	v_pk_fma_f32 v[16:17], v[36:37], v[26:27], v[16:17] op_sel_hi:[0,1,1]
	v_mov_b32_e32 v26, v86
	v_pk_fma_f32 v[16:17], v[96:97], v[28:29], v[16:17] op_sel_hi:[0,1,1]
	v_mov_b32_e32 v29, v86
	s_delay_alu instid0(VALU_DEP_2) | instskip(SKIP_2) | instid1(VALU_DEP_2)
	v_pk_fma_f32 v[16:17], v[90:91], v[26:27], v[16:17] op_sel_hi:[0,1,1]
	s_wait_loadcnt 0x0
	v_mov_b32_e32 v26, v20
	v_pk_fma_f32 v[16:17], v[90:91], v[28:29], v[16:17] op_sel:[1,0,0]
	v_mov_b32_e32 v29, v20
	s_delay_alu instid0(VALU_DEP_2) | instskip(SKIP_1) | instid1(VALU_DEP_2)
	v_pk_fma_f32 v[16:17], v[92:93], v[26:27], v[16:17] op_sel_hi:[0,1,1]
	v_mov_b32_e32 v26, v63
	v_pk_fma_f32 v[16:17], v[106:107], v[28:29], v[16:17] op_sel_hi:[0,1,1]
	v_mov_b32_e32 v29, v67
	s_delay_alu instid0(VALU_DEP_1) | instskip(SKIP_1) | instid1(VALU_DEP_2)
	v_pk_fma_f32 v[18:19], v[30:31], v[28:29], v[38:39] op_sel:[1,0,0]
	v_mov_b32_e32 v29, v63
	v_pk_fma_f32 v[18:19], v[32:33], v[26:27], v[18:19] op_sel_hi:[0,1,1]
	v_mov_b32_e32 v26, v83
	s_delay_alu instid0(VALU_DEP_2) | instskip(SKIP_1) | instid1(VALU_DEP_2)
	v_pk_fma_f32 v[18:19], v[94:95], v[28:29], v[18:19] op_sel_hi:[0,1,1]
	v_mov_b32_e32 v29, v83
	v_pk_fma_f32 v[18:19], v[34:35], v[26:27], v[18:19] op_sel_hi:[0,1,1]
	v_mov_b32_e32 v26, v79
	s_delay_alu instid0(VALU_DEP_2) | instskip(SKIP_1) | instid1(VALU_DEP_2)
	v_pk_fma_f32 v[18:19], v[34:35], v[28:29], v[18:19] op_sel:[1,0,0]
	v_mov_b32_e32 v29, v79
	v_pk_fma_f32 v[18:19], v[36:37], v[26:27], v[18:19] op_sel_hi:[0,1,1]
	v_mov_b32_e32 v26, v87
	s_delay_alu instid0(VALU_DEP_2) | instskip(SKIP_1) | instid1(VALU_DEP_2)
	v_pk_fma_f32 v[18:19], v[96:97], v[28:29], v[18:19] op_sel_hi:[0,1,1]
	v_mov_b32_e32 v29, v87
	v_pk_fma_f32 v[18:19], v[90:91], v[26:27], v[18:19] op_sel_hi:[0,1,1]
	v_mov_b32_e32 v26, v21
	s_delay_alu instid0(VALU_DEP_2) | instskip(SKIP_1) | instid1(VALU_DEP_2)
	v_pk_fma_f32 v[18:19], v[90:91], v[28:29], v[18:19] op_sel:[1,0,0]
	v_mov_b32_e32 v29, v21
	v_pk_fma_f32 v[18:19], v[92:93], v[26:27], v[18:19] op_sel_hi:[0,1,1]
	v_mov_b32_e32 v26, v64
	s_delay_alu instid0(VALU_DEP_2) | instskip(SKIP_1) | instid1(VALU_DEP_1)
	v_pk_fma_f32 v[20:21], v[106:107], v[28:29], v[18:19] op_sel_hi:[0,1,1]
	v_mov_b32_e32 v29, v68
	v_pk_fma_f32 v[18:19], v[30:31], v[28:29], v[42:43] op_sel:[1,0,0]
	v_mov_b32_e32 v29, v64
	s_delay_alu instid0(VALU_DEP_2) | instskip(SKIP_1) | instid1(VALU_DEP_2)
	v_pk_fma_f32 v[18:19], v[32:33], v[26:27], v[18:19] op_sel_hi:[0,1,1]
	v_mov_b32_e32 v26, v84
	v_pk_fma_f32 v[18:19], v[94:95], v[28:29], v[18:19] op_sel_hi:[0,1,1]
	v_mov_b32_e32 v29, v84
	s_delay_alu instid0(VALU_DEP_2) | instskip(SKIP_1) | instid1(VALU_DEP_2)
	v_pk_fma_f32 v[18:19], v[34:35], v[26:27], v[18:19] op_sel_hi:[0,1,1]
	v_mov_b32_e32 v26, v80
	v_pk_fma_f32 v[18:19], v[34:35], v[28:29], v[18:19] op_sel:[1,0,0]
	v_mov_b32_e32 v29, v80
	s_delay_alu instid0(VALU_DEP_2) | instskip(SKIP_1) | instid1(VALU_DEP_2)
	v_pk_fma_f32 v[18:19], v[36:37], v[26:27], v[18:19] op_sel_hi:[0,1,1]
	v_mov_b32_e32 v26, v88
	v_pk_fma_f32 v[18:19], v[96:97], v[28:29], v[18:19] op_sel_hi:[0,1,1]
	v_mov_b32_e32 v29, v88
	s_delay_alu instid0(VALU_DEP_2) | instskip(SKIP_1) | instid1(VALU_DEP_2)
	v_pk_fma_f32 v[18:19], v[90:91], v[26:27], v[18:19] op_sel_hi:[0,1,1]
	v_mov_b32_e32 v26, v22
	v_pk_fma_f32 v[18:19], v[90:91], v[28:29], v[18:19] op_sel:[1,0,0]
	v_mov_b32_e32 v29, v22
	s_delay_alu instid0(VALU_DEP_2) | instskip(SKIP_1) | instid1(VALU_DEP_2)
	v_pk_fma_f32 v[18:19], v[92:93], v[26:27], v[18:19] op_sel_hi:[0,1,1]
	v_mov_b32_e32 v26, v65
	v_pk_fma_f32 v[18:19], v[106:107], v[28:29], v[18:19] op_sel_hi:[0,1,1]
	v_mov_b32_e32 v29, v69
	s_delay_alu instid0(VALU_DEP_1) | instskip(SKIP_1) | instid1(VALU_DEP_2)
	v_pk_fma_f32 v[30:31], v[30:31], v[28:29], v[40:41] op_sel:[1,0,0]
	v_mov_b32_e32 v29, v65
	v_pk_fma_f32 v[30:31], v[32:33], v[26:27], v[30:31] op_sel_hi:[0,1,1]
	v_mov_b32_e32 v26, v85
	s_delay_alu instid0(VALU_DEP_2) | instskip(SKIP_1) | instid1(VALU_DEP_2)
	v_pk_fma_f32 v[30:31], v[94:95], v[28:29], v[30:31] op_sel_hi:[0,1,1]
	v_mov_b32_e32 v29, v85
	v_pk_fma_f32 v[30:31], v[34:35], v[26:27], v[30:31] op_sel_hi:[0,1,1]
	v_mov_b32_e32 v26, v81
	s_delay_alu instid0(VALU_DEP_2) | instskip(SKIP_1) | instid1(VALU_DEP_2)
	v_pk_fma_f32 v[30:31], v[34:35], v[28:29], v[30:31] op_sel:[1,0,0]
	v_mov_b32_e32 v29, v81
	v_pk_fma_f32 v[30:31], v[36:37], v[26:27], v[30:31] op_sel_hi:[0,1,1]
	v_mov_b32_e32 v26, v89
	s_delay_alu instid0(VALU_DEP_2) | instskip(SKIP_1) | instid1(VALU_DEP_2)
	v_pk_fma_f32 v[30:31], v[96:97], v[28:29], v[30:31] op_sel_hi:[0,1,1]
	v_mov_b32_e32 v29, v89
	v_pk_fma_f32 v[30:31], v[90:91], v[26:27], v[30:31] op_sel_hi:[0,1,1]
	v_mov_b32_e32 v26, v23
	s_delay_alu instid0(VALU_DEP_2) | instskip(SKIP_1) | instid1(VALU_DEP_2)
	v_pk_fma_f32 v[30:31], v[90:91], v[28:29], v[30:31] op_sel:[1,0,0]
	v_mov_b32_e32 v29, v23
	v_pk_fma_f32 v[22:23], v[92:93], v[26:27], v[30:31] op_sel_hi:[0,1,1]
	s_delay_alu instid0(VALU_DEP_1)
	v_pk_fma_f32 v[22:23], v[106:107], v[28:29], v[22:23] op_sel_hi:[0,1,1]
	s_and_not1_b32 exec_lo, exec_lo, s7
	s_cbranch_execnz .LBB130_31
; %bb.32:
	s_or_b32 exec_lo, exec_lo, s7
.LBB130_33:
	s_delay_alu instid0(SALU_CYCLE_1)
	s_or_b32 exec_lo, exec_lo, s3
.LBB130_34:
	s_delay_alu instid0(SALU_CYCLE_1)
	s_or_b32 exec_lo, exec_lo, s6
.LBB130_35:
	v_mbcnt_lo_u32_b32 v1, -1, 0
	s_delay_alu instid0(VALU_DEP_1) | instskip(NEXT) | instid1(VALU_DEP_1)
	v_xor_b32_e32 v8, 2, v1
	v_cmp_gt_i32_e32 vcc_lo, 32, v8
	v_cndmask_b32_e32 v8, v1, v8, vcc_lo
	s_delay_alu instid0(VALU_DEP_1)
	v_lshlrev_b32_e32 v8, 2, v8
	ds_bpermute_b32 v9, v8, v16
	ds_bpermute_b32 v10, v8, v17
	;; [unrolled: 1-line block ×8, first 2 shown]
	v_xor_b32_e32 v8, 1, v1
	s_delay_alu instid0(VALU_DEP_1)
	v_cmp_gt_i32_e32 vcc_lo, 32, v8
	v_cndmask_b32_e32 v1, v1, v8, vcc_lo
	v_cmp_eq_u32_e32 vcc_lo, 3, v0
	s_wait_dscnt 0x6
	v_dual_add_f32 v8, v16, v9 :: v_dual_add_f32 v9, v17, v10
	s_wait_dscnt 0x5
	v_dual_add_f32 v10, v20, v11 :: v_dual_lshlrev_b32 v25, 2, v1
	s_wait_dscnt 0x3
	v_dual_add_f32 v11, v21, v12 :: v_dual_add_f32 v12, v18, v13
	s_wait_dscnt 0x1
	v_dual_add_f32 v13, v19, v14 :: v_dual_add_f32 v15, v22, v15
	s_wait_dscnt 0x0
	v_add_f32_e32 v1, v23, v24
	ds_bpermute_b32 v14, v25, v8
	ds_bpermute_b32 v17, v25, v9
	;; [unrolled: 1-line block ×8, first 2 shown]
	s_and_b32 exec_lo, exec_lo, vcc_lo
	s_cbranch_execz .LBB130_6
; %bb.36:
	s_load_b64 s[0:1], s[0:1], 0x58
	s_wait_dscnt 0x6
	v_dual_add_f32 v0, v8, v14 :: v_dual_add_f32 v20, v9, v17
	s_wait_dscnt 0x4
	v_dual_add_f32 v8, v10, v18 :: v_dual_add_f32 v18, v11, v19
	;; [unrolled: 2-line block ×3, first 2 shown]
	s_wait_dscnt 0x1
	v_add_f32_e32 v12, v15, v23
	v_cmp_eq_f32_e32 vcc_lo, 0, v4
	v_lshlrev_b64_e32 v[22:23], 5, v[6:7]
	s_wait_dscnt 0x0
	v_add_f32_e32 v6, v1, v16
	v_xor_b32_e32 v16, 0x80000000, v3
	s_xor_b32 s2, s2, -1
	s_delay_alu instid0(SALU_CYCLE_1) | instskip(NEXT) | instid1(SALU_CYCLE_1)
	s_and_b32 s2, vcc_lo, s2
	s_and_saveexec_b32 s3, s2
	s_delay_alu instid0(SALU_CYCLE_1)
	s_xor_b32 s2, exec_lo, s3
	s_cbranch_execz .LBB130_38
; %bb.37:
	v_mov_b32_e32 v17, v2
	s_delay_alu instid0(VALU_DEP_1)
	v_pk_mul_f32 v[4:5], v[20:21], v[16:17] op_sel_hi:[0,1]
	v_pk_mul_f32 v[18:19], v[18:19], v[16:17] op_sel_hi:[0,1]
	;; [unrolled: 1-line block ×4, first 2 shown]
	s_wait_kmcnt 0x0
	v_add_nc_u64_e32 v[20:21], s[0:1], v[22:23]
	v_pk_fma_f32 v[4:5], v[2:3], v[0:1], v[4:5] op_sel_hi:[1,0,1]
	v_pk_fma_f32 v[6:7], v[2:3], v[8:9], v[18:19] op_sel_hi:[1,0,1]
	;; [unrolled: 1-line block ×4, first 2 shown]
                                        ; implicit-def: $vgpr8
                                        ; implicit-def: $vgpr18
                                        ; implicit-def: $vgpr10
                                        ; implicit-def: $vgpr14
                                        ; implicit-def: $vgpr12
                                        ; implicit-def: $vgpr16
                                        ; implicit-def: $vgpr22_vgpr23
	s_clause 0x1
	global_store_b128 v[20:21], v[4:7], off
	global_store_b128 v[20:21], v[0:3], off offset:16
                                        ; implicit-def: $vgpr0
                                        ; implicit-def: $vgpr20
                                        ; implicit-def: $vgpr6
                                        ; implicit-def: $vgpr2_vgpr3
                                        ; implicit-def: $vgpr4_vgpr5
.LBB130_38:
	s_wait_xcnt 0x0
	s_and_not1_saveexec_b32 s2, s2
	s_cbranch_execz .LBB130_6
; %bb.39:
	s_wait_kmcnt 0x0
	v_add_nc_u64_e32 v[30:31], s[0:1], v[22:23]
	v_dual_mov_b32 v17, v2 :: v_dual_mov_b32 v33, v4
	v_xor_b32_e32 v32, 0x80000000, v5
	s_clause 0x1
	global_load_b128 v[22:25], v[30:31], off
	global_load_b128 v[26:29], v[30:31], off offset:16
	v_pk_mul_f32 v[20:21], v[20:21], v[16:17] op_sel_hi:[0,1]
	v_pk_mul_f32 v[18:19], v[18:19], v[16:17] op_sel_hi:[0,1]
	;; [unrolled: 1-line block ×4, first 2 shown]
	s_delay_alu instid0(VALU_DEP_4) | instskip(NEXT) | instid1(VALU_DEP_4)
	v_pk_fma_f32 v[0:1], v[2:3], v[0:1], v[20:21] op_sel_hi:[1,0,1]
	v_pk_fma_f32 v[8:9], v[2:3], v[8:9], v[18:19] op_sel_hi:[1,0,1]
	s_delay_alu instid0(VALU_DEP_4) | instskip(NEXT) | instid1(VALU_DEP_4)
	v_pk_fma_f32 v[10:11], v[2:3], v[10:11], v[14:15] op_sel_hi:[1,0,1]
	v_pk_fma_f32 v[2:3], v[2:3], v[12:13], v[6:7] op_sel_hi:[1,0,1]
	s_wait_loadcnt 0x1
	v_pk_fma_f32 v[0:1], v[4:5], v[22:23], v[0:1] op_sel_hi:[1,0,1]
	v_pk_fma_f32 v[6:7], v[4:5], v[24:25], v[8:9] op_sel_hi:[1,0,1]
	s_wait_loadcnt 0x0
	v_dual_mov_b32 v8, v25 :: v_dual_mov_b32 v14, v29
	v_pk_fma_f32 v[10:11], v[4:5], v[26:27], v[10:11] op_sel_hi:[1,0,1]
	v_pk_fma_f32 v[12:13], v[4:5], v[28:29], v[2:3] op_sel_hi:[1,0,1]
	v_pk_fma_f32 v[0:1], v[32:33], v[22:23], v[0:1] op_sel:[0,1,0]
	s_delay_alu instid0(VALU_DEP_4) | instskip(NEXT) | instid1(VALU_DEP_4)
	v_pk_fma_f32 v[2:3], v[32:33], v[8:9], v[6:7] op_sel_hi:[1,0,1]
	v_pk_fma_f32 v[4:5], v[32:33], v[26:27], v[10:11] op_sel:[0,1,0]
	s_delay_alu instid0(VALU_DEP_4)
	v_pk_fma_f32 v[6:7], v[32:33], v[14:15], v[12:13] op_sel_hi:[1,0,1]
	s_clause 0x1
	global_store_b128 v[30:31], v[0:3], off
	global_store_b128 v[30:31], v[4:7], off offset:16
	s_sendmsg sendmsg(MSG_DEALLOC_VGPRS)
	s_endpgm
	.section	.rodata,"a",@progbits
	.p2align	6, 0x0
	.amdhsa_kernel _ZN9rocsparseL18bsrxmvn_4x4_kernelILj128ELj4E21rocsparse_complex_numIfEllfS2_S2_EEvT3_20rocsparse_direction_NS_24const_host_device_scalarIT1_EES3_PKS3_PKT2_SC_S9_PKT4_PKT5_S7_PT6_21rocsparse_index_base_b
		.amdhsa_group_segment_fixed_size 0
		.amdhsa_private_segment_fixed_size 0
		.amdhsa_kernarg_size 104
		.amdhsa_user_sgpr_count 2
		.amdhsa_user_sgpr_dispatch_ptr 0
		.amdhsa_user_sgpr_queue_ptr 0
		.amdhsa_user_sgpr_kernarg_segment_ptr 1
		.amdhsa_user_sgpr_dispatch_id 0
		.amdhsa_user_sgpr_kernarg_preload_length 0
		.amdhsa_user_sgpr_kernarg_preload_offset 0
		.amdhsa_user_sgpr_private_segment_size 0
		.amdhsa_wavefront_size32 1
		.amdhsa_uses_dynamic_stack 0
		.amdhsa_enable_private_segment 0
		.amdhsa_system_sgpr_workgroup_id_x 1
		.amdhsa_system_sgpr_workgroup_id_y 0
		.amdhsa_system_sgpr_workgroup_id_z 0
		.amdhsa_system_sgpr_workgroup_info 0
		.amdhsa_system_vgpr_workitem_id 0
		.amdhsa_next_free_vgpr 126
		.amdhsa_next_free_sgpr 14
		.amdhsa_named_barrier_count 0
		.amdhsa_reserve_vcc 1
		.amdhsa_float_round_mode_32 0
		.amdhsa_float_round_mode_16_64 0
		.amdhsa_float_denorm_mode_32 3
		.amdhsa_float_denorm_mode_16_64 3
		.amdhsa_fp16_overflow 0
		.amdhsa_memory_ordered 1
		.amdhsa_forward_progress 1
		.amdhsa_inst_pref_size 63
		.amdhsa_round_robin_scheduling 0
		.amdhsa_exception_fp_ieee_invalid_op 0
		.amdhsa_exception_fp_denorm_src 0
		.amdhsa_exception_fp_ieee_div_zero 0
		.amdhsa_exception_fp_ieee_overflow 0
		.amdhsa_exception_fp_ieee_underflow 0
		.amdhsa_exception_fp_ieee_inexact 0
		.amdhsa_exception_int_div_zero 0
	.end_amdhsa_kernel
	.section	.text._ZN9rocsparseL18bsrxmvn_4x4_kernelILj128ELj4E21rocsparse_complex_numIfEllfS2_S2_EEvT3_20rocsparse_direction_NS_24const_host_device_scalarIT1_EES3_PKS3_PKT2_SC_S9_PKT4_PKT5_S7_PT6_21rocsparse_index_base_b,"axG",@progbits,_ZN9rocsparseL18bsrxmvn_4x4_kernelILj128ELj4E21rocsparse_complex_numIfEllfS2_S2_EEvT3_20rocsparse_direction_NS_24const_host_device_scalarIT1_EES3_PKS3_PKT2_SC_S9_PKT4_PKT5_S7_PT6_21rocsparse_index_base_b,comdat
.Lfunc_end130:
	.size	_ZN9rocsparseL18bsrxmvn_4x4_kernelILj128ELj4E21rocsparse_complex_numIfEllfS2_S2_EEvT3_20rocsparse_direction_NS_24const_host_device_scalarIT1_EES3_PKS3_PKT2_SC_S9_PKT4_PKT5_S7_PT6_21rocsparse_index_base_b, .Lfunc_end130-_ZN9rocsparseL18bsrxmvn_4x4_kernelILj128ELj4E21rocsparse_complex_numIfEllfS2_S2_EEvT3_20rocsparse_direction_NS_24const_host_device_scalarIT1_EES3_PKS3_PKT2_SC_S9_PKT4_PKT5_S7_PT6_21rocsparse_index_base_b
                                        ; -- End function
	.set _ZN9rocsparseL18bsrxmvn_4x4_kernelILj128ELj4E21rocsparse_complex_numIfEllfS2_S2_EEvT3_20rocsparse_direction_NS_24const_host_device_scalarIT1_EES3_PKS3_PKT2_SC_S9_PKT4_PKT5_S7_PT6_21rocsparse_index_base_b.num_vgpr, 126
	.set _ZN9rocsparseL18bsrxmvn_4x4_kernelILj128ELj4E21rocsparse_complex_numIfEllfS2_S2_EEvT3_20rocsparse_direction_NS_24const_host_device_scalarIT1_EES3_PKS3_PKT2_SC_S9_PKT4_PKT5_S7_PT6_21rocsparse_index_base_b.num_agpr, 0
	.set _ZN9rocsparseL18bsrxmvn_4x4_kernelILj128ELj4E21rocsparse_complex_numIfEllfS2_S2_EEvT3_20rocsparse_direction_NS_24const_host_device_scalarIT1_EES3_PKS3_PKT2_SC_S9_PKT4_PKT5_S7_PT6_21rocsparse_index_base_b.numbered_sgpr, 14
	.set _ZN9rocsparseL18bsrxmvn_4x4_kernelILj128ELj4E21rocsparse_complex_numIfEllfS2_S2_EEvT3_20rocsparse_direction_NS_24const_host_device_scalarIT1_EES3_PKS3_PKT2_SC_S9_PKT4_PKT5_S7_PT6_21rocsparse_index_base_b.num_named_barrier, 0
	.set _ZN9rocsparseL18bsrxmvn_4x4_kernelILj128ELj4E21rocsparse_complex_numIfEllfS2_S2_EEvT3_20rocsparse_direction_NS_24const_host_device_scalarIT1_EES3_PKS3_PKT2_SC_S9_PKT4_PKT5_S7_PT6_21rocsparse_index_base_b.private_seg_size, 0
	.set _ZN9rocsparseL18bsrxmvn_4x4_kernelILj128ELj4E21rocsparse_complex_numIfEllfS2_S2_EEvT3_20rocsparse_direction_NS_24const_host_device_scalarIT1_EES3_PKS3_PKT2_SC_S9_PKT4_PKT5_S7_PT6_21rocsparse_index_base_b.uses_vcc, 1
	.set _ZN9rocsparseL18bsrxmvn_4x4_kernelILj128ELj4E21rocsparse_complex_numIfEllfS2_S2_EEvT3_20rocsparse_direction_NS_24const_host_device_scalarIT1_EES3_PKS3_PKT2_SC_S9_PKT4_PKT5_S7_PT6_21rocsparse_index_base_b.uses_flat_scratch, 1
	.set _ZN9rocsparseL18bsrxmvn_4x4_kernelILj128ELj4E21rocsparse_complex_numIfEllfS2_S2_EEvT3_20rocsparse_direction_NS_24const_host_device_scalarIT1_EES3_PKS3_PKT2_SC_S9_PKT4_PKT5_S7_PT6_21rocsparse_index_base_b.has_dyn_sized_stack, 0
	.set _ZN9rocsparseL18bsrxmvn_4x4_kernelILj128ELj4E21rocsparse_complex_numIfEllfS2_S2_EEvT3_20rocsparse_direction_NS_24const_host_device_scalarIT1_EES3_PKS3_PKT2_SC_S9_PKT4_PKT5_S7_PT6_21rocsparse_index_base_b.has_recursion, 0
	.set _ZN9rocsparseL18bsrxmvn_4x4_kernelILj128ELj4E21rocsparse_complex_numIfEllfS2_S2_EEvT3_20rocsparse_direction_NS_24const_host_device_scalarIT1_EES3_PKS3_PKT2_SC_S9_PKT4_PKT5_S7_PT6_21rocsparse_index_base_b.has_indirect_call, 0
	.section	.AMDGPU.csdata,"",@progbits
; Kernel info:
; codeLenInByte = 7956
; TotalNumSgprs: 16
; NumVgprs: 126
; ScratchSize: 0
; MemoryBound: 0
; FloatMode: 240
; IeeeMode: 1
; LDSByteSize: 0 bytes/workgroup (compile time only)
; SGPRBlocks: 0
; VGPRBlocks: 7
; NumSGPRsForWavesPerEU: 16
; NumVGPRsForWavesPerEU: 126
; NamedBarCnt: 0
; Occupancy: 8
; WaveLimiterHint : 1
; COMPUTE_PGM_RSRC2:SCRATCH_EN: 0
; COMPUTE_PGM_RSRC2:USER_SGPR: 2
; COMPUTE_PGM_RSRC2:TRAP_HANDLER: 0
; COMPUTE_PGM_RSRC2:TGID_X_EN: 1
; COMPUTE_PGM_RSRC2:TGID_Y_EN: 0
; COMPUTE_PGM_RSRC2:TGID_Z_EN: 0
; COMPUTE_PGM_RSRC2:TIDIG_COMP_CNT: 0
	.section	.text._ZN9rocsparseL18bsrxmvn_4x4_kernelILj128ELj8E21rocsparse_complex_numIfEllfS2_S2_EEvT3_20rocsparse_direction_NS_24const_host_device_scalarIT1_EES3_PKS3_PKT2_SC_S9_PKT4_PKT5_S7_PT6_21rocsparse_index_base_b,"axG",@progbits,_ZN9rocsparseL18bsrxmvn_4x4_kernelILj128ELj8E21rocsparse_complex_numIfEllfS2_S2_EEvT3_20rocsparse_direction_NS_24const_host_device_scalarIT1_EES3_PKS3_PKT2_SC_S9_PKT4_PKT5_S7_PT6_21rocsparse_index_base_b,comdat
	.globl	_ZN9rocsparseL18bsrxmvn_4x4_kernelILj128ELj8E21rocsparse_complex_numIfEllfS2_S2_EEvT3_20rocsparse_direction_NS_24const_host_device_scalarIT1_EES3_PKS3_PKT2_SC_S9_PKT4_PKT5_S7_PT6_21rocsparse_index_base_b ; -- Begin function _ZN9rocsparseL18bsrxmvn_4x4_kernelILj128ELj8E21rocsparse_complex_numIfEllfS2_S2_EEvT3_20rocsparse_direction_NS_24const_host_device_scalarIT1_EES3_PKS3_PKT2_SC_S9_PKT4_PKT5_S7_PT6_21rocsparse_index_base_b
	.p2align	8
	.type	_ZN9rocsparseL18bsrxmvn_4x4_kernelILj128ELj8E21rocsparse_complex_numIfEllfS2_S2_EEvT3_20rocsparse_direction_NS_24const_host_device_scalarIT1_EES3_PKS3_PKT2_SC_S9_PKT4_PKT5_S7_PT6_21rocsparse_index_base_b,@function
_ZN9rocsparseL18bsrxmvn_4x4_kernelILj128ELj8E21rocsparse_complex_numIfEllfS2_S2_EEvT3_20rocsparse_direction_NS_24const_host_device_scalarIT1_EES3_PKS3_PKT2_SC_S9_PKT4_PKT5_S7_PT6_21rocsparse_index_base_b: ; @_ZN9rocsparseL18bsrxmvn_4x4_kernelILj128ELj8E21rocsparse_complex_numIfEllfS2_S2_EEvT3_20rocsparse_direction_NS_24const_host_device_scalarIT1_EES3_PKS3_PKT2_SC_S9_PKT4_PKT5_S7_PT6_21rocsparse_index_base_b
; %bb.0:
	s_clause 0x2
	s_load_b64 s[8:9], s[0:1], 0x60
	s_load_b128 s[4:7], s[0:1], 0x10
	s_load_b64 s[2:3], s[0:1], 0x50
	v_mov_b32_e32 v11, 0
	s_add_nc_u64 s[10:11], s[0:1], 16
	s_add_nc_u64 s[12:13], s[0:1], 0x50
	s_wait_kmcnt 0x0
	s_bitcmp1_b32 s9, 0
	s_cselect_b32 s5, s11, s5
	s_cselect_b32 s4, s10, s4
	;; [unrolled: 1-line block ×4, first 2 shown]
	s_clause 0x1
	flat_load_b64 v[2:3], v11, s[4:5]
	flat_load_b64 v[4:5], v11, s[2:3]
	s_wait_loadcnt_dscnt 0x101
	v_cmp_neq_f32_e32 vcc_lo, 0, v2
	s_wait_xcnt 0x0
	v_cmp_neq_f32_e64 s3, 0, v3
	s_wait_loadcnt_dscnt 0x0
	v_cmp_neq_f32_e64 s4, 1.0, v4
	v_cmp_neq_f32_e64 s2, 0, v5
	s_or_b32 s5, vcc_lo, s3
	s_mov_b32 s3, 0
	s_or_b32 s4, s4, s2
	s_delay_alu instid0(SALU_CYCLE_1) | instskip(NEXT) | instid1(SALU_CYCLE_1)
	s_or_b32 s4, s5, s4
	s_and_saveexec_b32 s5, s4
	s_cbranch_execz .LBB131_6
; %bb.1:
	s_load_b64 s[4:5], s[0:1], 0x20
	s_bfe_u32 s9, ttmp6, 0x4000c
	s_and_b32 s10, ttmp6, 15
	s_add_co_i32 s9, s9, 1
	s_getreg_b32 s11, hwreg(HW_REG_IB_STS2, 6, 4)
	s_mul_i32 s9, ttmp9, s9
	v_lshrrev_b32_e32 v1, 3, v0
	s_add_co_i32 s10, s10, s9
	s_cmp_eq_u32 s11, 0
	s_cselect_b32 s9, ttmp9, s10
	s_delay_alu instid0(VALU_DEP_1) | instid1(SALU_CYCLE_1)
	v_lshl_or_b32 v10, s9, 4, v1
	s_wait_kmcnt 0x0
	s_cmp_lg_u64 s[4:5], 0
	s_cbranch_scc0 .LBB131_7
; %bb.2:
	s_delay_alu instid0(VALU_DEP_1) | instskip(SKIP_2) | instid1(SALU_CYCLE_1)
	v_cmp_gt_i64_e32 vcc_lo, s[6:7], v[10:11]
	s_mov_b32 s6, 0
                                        ; implicit-def: $vgpr6_vgpr7
                                        ; implicit-def: $vgpr8_vgpr9
	s_and_saveexec_b32 s7, vcc_lo
	s_xor_b32 s7, exec_lo, s7
	s_cbranch_execz .LBB131_4
; %bb.3:
	v_lshl_add_u64 v[6:7], v[10:11], 3, s[4:5]
	s_mov_b32 s9, 0
	s_mov_b32 s3, exec_lo
	v_mov_b64_e32 v[8:9], s[8:9]
	global_load_b64 v[6:7], v[6:7], off
	s_wait_loadcnt 0x0
	v_sub_nc_u64_e64 v[6:7], v[6:7], s[8:9]
.LBB131_4:
	s_or_b32 exec_lo, exec_lo, s7
	s_delay_alu instid0(SALU_CYCLE_1)
	s_and_b32 vcc_lo, exec_lo, s6
	s_cbranch_vccnz .LBB131_8
.LBB131_5:
	s_and_b32 exec_lo, exec_lo, s3
	s_cbranch_execnz .LBB131_11
.LBB131_6:
	s_sendmsg sendmsg(MSG_DEALLOC_VGPRS)
	s_endpgm
.LBB131_7:
                                        ; implicit-def: $vgpr6_vgpr7
                                        ; implicit-def: $vgpr8_vgpr9
	s_cbranch_execz .LBB131_5
.LBB131_8:
	s_load_b64 s[4:5], s[0:1], 0x0
	s_wait_kmcnt 0x0
	v_cmp_gt_i64_e32 vcc_lo, s[4:5], v[10:11]
	s_and_saveexec_b32 s4, vcc_lo
; %bb.9:
	s_mov_b32 s9, 0
	s_or_b32 s3, s3, exec_lo
; %bb.10:
	s_or_b32 exec_lo, exec_lo, s4
	v_mov_b64_e32 v[8:9], s[8:9]
	v_mov_b64_e32 v[6:7], v[10:11]
	s_and_b32 exec_lo, exec_lo, s3
	s_cbranch_execz .LBB131_6
.LBB131_11:
	s_load_b256 s[4:11], s[0:1], 0x28
	s_delay_alu instid0(VALU_DEP_1) | instskip(SKIP_2) | instid1(VALU_DEP_2)
	v_lshlrev_b64_e32 v[10:11], 3, v[6:7]
	v_dual_mov_b32 v1, 0 :: v_dual_bitop2_b32 v0, 7, v0 bitop3:0x40
	s_wait_kmcnt 0x0
	v_add_nc_u64_e32 v[12:13], s[4:5], v[10:11]
	v_add_nc_u64_e32 v[10:11], s[6:7], v[10:11]
	s_cmp_eq_u64 s[6:7], 0
	s_clause 0x1
	s_load_b32 s6, s[0:1], 0x8
	s_load_b64 s[4:5], s[0:1], 0x48
	s_cselect_b32 vcc_lo, -1, 0
	global_load_b64 v[24:25], v[12:13], off
	s_wait_xcnt 0x0
	v_add_nc_u64_e32 v[12:13], 8, v[12:13]
	s_delay_alu instid0(VALU_DEP_1)
	v_dual_cndmask_b32 v11, v11, v13 :: v_dual_cndmask_b32 v10, v10, v12
	global_load_b64 v[12:13], v[10:11], off
	s_wait_kmcnt 0x0
	s_cmp_eq_u32 s6, 1
	s_wait_loadcnt 0x1
	s_wait_xcnt 0x0
	v_sub_nc_u64_e32 v[10:11], v[24:25], v[8:9]
	s_delay_alu instid0(VALU_DEP_1) | instskip(SKIP_2) | instid1(VALU_DEP_2)
	v_add_nc_u64_e32 v[10:11], v[10:11], v[0:1]
	s_wait_loadcnt 0x0
	v_sub_nc_u64_e32 v[12:13], v[12:13], v[8:9]
	v_lshlrev_b64_e32 v[14:15], 6, v[10:11]
	s_delay_alu instid0(VALU_DEP_2) | instskip(NEXT) | instid1(VALU_DEP_2)
	v_cmp_lt_i64_e64 s3, v[10:11], v[12:13]
	v_add_nc_u64_e32 v[14:15], s[10:11], v[14:15]
	s_cbranch_scc1 .LBB131_23
; %bb.12:
	v_dual_mov_b32 v17, v1 :: v_dual_mov_b32 v16, v1
	v_dual_mov_b32 v21, v1 :: v_dual_mov_b32 v20, v1
	;; [unrolled: 1-line block ×4, first 2 shown]
	s_and_saveexec_b32 s6, s3
	s_cbranch_execz .LBB131_22
; %bb.13:
	v_dual_mov_b32 v17, v1 :: v_dual_bitop2_b32 v16, 8, v0 bitop3:0x54
	v_sub_nc_u64_e32 v[18:19], v[8:9], v[0:1]
	v_not_b32_e32 v21, v25
	v_not_b32_e32 v20, v24
	v_mov_b64_e32 v[26:27], v[14:15]
	v_sub_nc_u64_e32 v[16:17], v[16:17], v[8:9]
	v_mov_b64_e32 v[28:29], v[10:11]
	s_delay_alu instid0(VALU_DEP_4) | instskip(NEXT) | instid1(VALU_DEP_3)
	v_add_nc_u64_e32 v[18:19], v[18:19], v[20:21]
	v_add_nc_u64_e32 v[16:17], v[16:17], v[24:25]
	s_delay_alu instid0(VALU_DEP_1) | instskip(NEXT) | instid1(VALU_DEP_1)
	v_max_i64 v[16:17], v[16:17], v[12:13]
	v_add_nc_u64_e32 v[30:31], v[18:19], v[16:17]
	s_delay_alu instid0(VALU_DEP_1) | instskip(NEXT) | instid1(VALU_DEP_1)
	v_dual_mov_b32 v23, 0 :: v_dual_bitop2_b32 v22, 24, v30 bitop3:0x40
	v_dual_mov_b32 v18, v23 :: v_dual_mov_b32 v19, v23
	v_dual_mov_b32 v20, v23 :: v_dual_mov_b32 v21, v23
	s_delay_alu instid0(VALU_DEP_3)
	v_cmp_ne_u64_e32 vcc_lo, 24, v[22:23]
	v_dual_mov_b32 v16, v23 :: v_dual_mov_b32 v22, v23
	v_mov_b32_e32 v17, v23
	s_and_saveexec_b32 s7, vcc_lo
	s_cbranch_execz .LBB131_17
; %bb.14:
	v_dual_mov_b32 v33, 0 :: v_dual_lshrrev_b32 v16, 3, v30
	v_mov_b64_e32 v[28:29], v[10:11]
	v_mov_b64_e32 v[26:27], v[14:15]
	v_lshl_add_u64 v[34:35], v[10:11], 3, s[8:9]
	s_delay_alu instid0(VALU_DEP_4) | instskip(SKIP_2) | instid1(VALU_DEP_3)
	v_dual_add_nc_u32 v16, 1, v16 :: v_dual_mov_b32 v22, v33
	v_bfrev_b32_e32 v36, 1
	v_dual_mov_b32 v18, v33 :: v_dual_mov_b32 v19, v33
	v_dual_mov_b32 v23, v33 :: v_dual_bitop2_b32 v32, 3, v16 bitop3:0x40
	v_dual_mov_b32 v20, v33 :: v_dual_mov_b32 v21, v33
	v_dual_mov_b32 v16, v33 :: v_dual_mov_b32 v17, v33
	s_delay_alu instid0(VALU_DEP_3)
	v_sub_nc_u64_e32 v[38:39], 0, v[32:33]
	s_mov_b32 s10, 0
.LBB131_15:                             ; =>This Inner Loop Header: Depth=1
	global_load_b64 v[48:49], v[34:35], off
	s_clause 0x1
	global_load_b128 v[40:43], v[26:27], off offset:16
	global_load_b128 v[44:47], v[26:27], off
	v_add_nc_u64_e32 v[38:39], 1, v[38:39]
	v_add_nc_u64_e32 v[28:29], 8, v[28:29]
	s_wait_xcnt 0x2
	v_add_nc_u64_e32 v[34:35], 64, v[34:35]
	s_delay_alu instid0(VALU_DEP_3)
	v_cmp_eq_u64_e32 vcc_lo, 0, v[38:39]
	s_or_b32 s10, vcc_lo, s10
	s_wait_loadcnt 0x2
	v_sub_nc_u64_e32 v[48:49], v[48:49], v[8:9]
	s_wait_loadcnt 0x0
	v_dual_mov_b32 v32, v44 :: v_dual_mov_b32 v37, v44
	s_delay_alu instid0(VALU_DEP_2) | instskip(NEXT) | instid1(VALU_DEP_1)
	v_lshlrev_b64_e32 v[48:49], 5, v[48:49]
	v_add_nc_u64_e32 v[64:65], s[4:5], v[48:49]
	s_clause 0x1
	global_load_b128 v[48:51], v[64:65], off
	global_load_b128 v[52:55], v[64:65], off offset:16
	s_clause 0x1
	global_load_b128 v[56:59], v[26:27], off offset:32
	global_load_b128 v[60:63], v[26:27], off offset:48
	s_wait_xcnt 0x0
	v_add_nc_u64_e32 v[26:27], 0x200, v[26:27]
	s_wait_loadcnt 0x3
	v_pk_fma_f32 v[16:17], v[48:49], v[32:33], v[16:17] op_sel_hi:[0,1,1]
	v_dual_mov_b32 v32, v45 :: v_dual_mov_b32 v44, v51
	s_wait_loadcnt 0x2
	v_mov_b32_e32 v64, v55
	s_delay_alu instid0(VALU_DEP_3) | instskip(SKIP_1) | instid1(VALU_DEP_2)
	v_pk_fma_f32 v[16:17], v[48:49], v[36:37], v[16:17] op_sel:[1,0,0]
	v_mov_b32_e32 v37, v45
	v_pk_fma_f32 v[16:17], v[50:51], v[32:33], v[16:17] op_sel_hi:[0,1,1]
	v_mov_b32_e32 v32, v46
	s_delay_alu instid0(VALU_DEP_2) | instskip(SKIP_1) | instid1(VALU_DEP_2)
	v_pk_fma_f32 v[16:17], v[44:45], v[36:37], v[16:17] op_sel_hi:[0,1,1]
	v_mov_b32_e32 v37, v46
	v_pk_fma_f32 v[16:17], v[52:53], v[32:33], v[16:17] op_sel_hi:[0,1,1]
	v_mov_b32_e32 v32, v47
	s_delay_alu instid0(VALU_DEP_2) | instskip(SKIP_1) | instid1(VALU_DEP_2)
	v_pk_fma_f32 v[16:17], v[52:53], v[36:37], v[16:17] op_sel:[1,0,0]
	v_mov_b32_e32 v37, v47
	v_pk_fma_f32 v[16:17], v[54:55], v[32:33], v[16:17] op_sel_hi:[0,1,1]
	v_mov_b32_e32 v32, v40
	s_delay_alu instid0(VALU_DEP_2) | instskip(SKIP_1) | instid1(VALU_DEP_3)
	v_pk_fma_f32 v[16:17], v[64:65], v[36:37], v[16:17] op_sel_hi:[0,1,1]
	v_mov_b32_e32 v37, v40
	v_pk_fma_f32 v[20:21], v[48:49], v[32:33], v[20:21] op_sel_hi:[0,1,1]
	v_mov_b32_e32 v32, v41
	s_delay_alu instid0(VALU_DEP_2) | instskip(SKIP_1) | instid1(VALU_DEP_2)
	v_pk_fma_f32 v[20:21], v[48:49], v[36:37], v[20:21] op_sel:[1,0,0]
	v_mov_b32_e32 v37, v41
	v_pk_fma_f32 v[20:21], v[50:51], v[32:33], v[20:21] op_sel_hi:[0,1,1]
	v_mov_b32_e32 v32, v42
	s_delay_alu instid0(VALU_DEP_2) | instskip(SKIP_1) | instid1(VALU_DEP_2)
	v_pk_fma_f32 v[20:21], v[44:45], v[36:37], v[20:21] op_sel_hi:[0,1,1]
	v_mov_b32_e32 v37, v42
	v_pk_fma_f32 v[20:21], v[52:53], v[32:33], v[20:21] op_sel_hi:[0,1,1]
	v_mov_b32_e32 v32, v43
	s_delay_alu instid0(VALU_DEP_2) | instskip(SKIP_1) | instid1(VALU_DEP_2)
	v_pk_fma_f32 v[20:21], v[52:53], v[36:37], v[20:21] op_sel:[1,0,0]
	v_mov_b32_e32 v37, v43
	v_pk_fma_f32 v[20:21], v[54:55], v[32:33], v[20:21] op_sel_hi:[0,1,1]
	s_wait_loadcnt 0x1
	v_mov_b32_e32 v32, v56
	s_delay_alu instid0(VALU_DEP_2) | instskip(SKIP_1) | instid1(VALU_DEP_3)
	v_pk_fma_f32 v[20:21], v[64:65], v[36:37], v[20:21] op_sel_hi:[0,1,1]
	v_mov_b32_e32 v37, v56
	v_pk_fma_f32 v[18:19], v[48:49], v[32:33], v[18:19] op_sel_hi:[0,1,1]
	v_mov_b32_e32 v32, v57
	s_delay_alu instid0(VALU_DEP_2) | instskip(SKIP_1) | instid1(VALU_DEP_2)
	v_pk_fma_f32 v[18:19], v[48:49], v[36:37], v[18:19] op_sel:[1,0,0]
	v_mov_b32_e32 v37, v57
	v_pk_fma_f32 v[18:19], v[50:51], v[32:33], v[18:19] op_sel_hi:[0,1,1]
	v_mov_b32_e32 v32, v58
	s_delay_alu instid0(VALU_DEP_2) | instskip(SKIP_1) | instid1(VALU_DEP_2)
	v_pk_fma_f32 v[18:19], v[44:45], v[36:37], v[18:19] op_sel_hi:[0,1,1]
	v_mov_b32_e32 v37, v58
	v_pk_fma_f32 v[18:19], v[52:53], v[32:33], v[18:19] op_sel_hi:[0,1,1]
	v_mov_b32_e32 v32, v59
	s_delay_alu instid0(VALU_DEP_2) | instskip(SKIP_1) | instid1(VALU_DEP_2)
	v_pk_fma_f32 v[18:19], v[52:53], v[36:37], v[18:19] op_sel:[1,0,0]
	v_mov_b32_e32 v37, v59
	v_pk_fma_f32 v[18:19], v[54:55], v[32:33], v[18:19] op_sel_hi:[0,1,1]
	s_wait_loadcnt 0x0
	v_mov_b32_e32 v32, v60
	s_delay_alu instid0(VALU_DEP_2) | instskip(SKIP_1) | instid1(VALU_DEP_3)
	v_pk_fma_f32 v[18:19], v[64:65], v[36:37], v[18:19] op_sel_hi:[0,1,1]
	v_mov_b32_e32 v37, v60
	v_pk_fma_f32 v[22:23], v[48:49], v[32:33], v[22:23] op_sel_hi:[0,1,1]
	v_mov_b32_e32 v32, v61
	s_delay_alu instid0(VALU_DEP_2) | instskip(SKIP_1) | instid1(VALU_DEP_2)
	v_pk_fma_f32 v[22:23], v[48:49], v[36:37], v[22:23] op_sel:[1,0,0]
	v_mov_b32_e32 v37, v61
	v_pk_fma_f32 v[22:23], v[50:51], v[32:33], v[22:23] op_sel_hi:[0,1,1]
	v_mov_b32_e32 v32, v62
	s_delay_alu instid0(VALU_DEP_2) | instskip(SKIP_1) | instid1(VALU_DEP_2)
	v_pk_fma_f32 v[22:23], v[44:45], v[36:37], v[22:23] op_sel_hi:[0,1,1]
	v_mov_b32_e32 v37, v62
	v_pk_fma_f32 v[22:23], v[52:53], v[32:33], v[22:23] op_sel_hi:[0,1,1]
	v_mov_b32_e32 v32, v63
	s_delay_alu instid0(VALU_DEP_2) | instskip(SKIP_1) | instid1(VALU_DEP_2)
	v_pk_fma_f32 v[22:23], v[52:53], v[36:37], v[22:23] op_sel:[1,0,0]
	v_mov_b32_e32 v37, v63
	v_pk_fma_f32 v[22:23], v[54:55], v[32:33], v[22:23] op_sel_hi:[0,1,1]
	s_delay_alu instid0(VALU_DEP_1)
	v_pk_fma_f32 v[22:23], v[64:65], v[36:37], v[22:23] op_sel_hi:[0,1,1]
	s_and_not1_b32 exec_lo, exec_lo, s10
	s_cbranch_execnz .LBB131_15
; %bb.16:
	s_or_b32 exec_lo, exec_lo, s10
.LBB131_17:
	s_delay_alu instid0(SALU_CYCLE_1) | instskip(NEXT) | instid1(SALU_CYCLE_1)
	s_or_b32 exec_lo, exec_lo, s7
	s_mov_b32 s7, exec_lo
	v_cmpx_lt_u64_e32 23, v[30:31]
	s_cbranch_execz .LBB131_21
; %bb.18:
	v_lshl_add_u64 v[30:31], v[28:29], 3, s[8:9]
	v_mov_b32_e32 v33, 0
	v_bfrev_b32_e32 v34, 1
	s_mov_b32 s10, 0
	s_delay_alu instid0(VALU_DEP_3)
	v_add_nc_u64_e32 v[30:31], 0x80, v[30:31]
.LBB131_19:                             ; =>This Inner Loop Header: Depth=1
	s_clause 0x3
	global_load_b64 v[52:53], v[30:31], off offset:-128
	global_load_b64 v[54:55], v[30:31], off offset:-64
	global_load_b64 v[92:93], v[30:31], off
	global_load_b64 v[94:95], v[30:31], off offset:64
	s_clause 0x3
	global_load_b128 v[36:39], v[26:27], off offset:528
	global_load_b128 v[40:43], v[26:27], off offset:512
	global_load_b128 v[44:47], v[26:27], off
	global_load_b128 v[48:51], v[26:27], off offset:16
	v_add_nc_u64_e32 v[28:29], 32, v[28:29]
	s_wait_xcnt 0x4
	v_add_nc_u64_e32 v[30:31], 0x100, v[30:31]
	s_delay_alu instid0(VALU_DEP_2)
	v_cmp_ge_i64_e32 vcc_lo, v[28:29], v[12:13]
	s_or_b32 s10, vcc_lo, s10
	s_wait_loadcnt 0x7
	v_sub_nc_u64_e32 v[52:53], v[52:53], v[8:9]
	s_wait_loadcnt 0x6
	v_sub_nc_u64_e32 v[54:55], v[54:55], v[8:9]
	;; [unrolled: 2-line block ×4, first 2 shown]
	s_wait_loadcnt 0x1
	v_dual_mov_b32 v32, v44 :: v_dual_mov_b32 v35, v44
	v_lshlrev_b64_e32 v[52:53], 5, v[52:53]
	v_lshlrev_b64_e32 v[54:55], 5, v[54:55]
	;; [unrolled: 1-line block ×4, first 2 shown]
	s_delay_alu instid0(VALU_DEP_4) | instskip(NEXT) | instid1(VALU_DEP_4)
	v_add_nc_u64_e32 v[96:97], s[4:5], v[52:53]
	v_add_nc_u64_e32 v[120:121], s[4:5], v[54:55]
	s_delay_alu instid0(VALU_DEP_4) | instskip(NEXT) | instid1(VALU_DEP_4)
	v_add_nc_u64_e32 v[122:123], s[4:5], v[92:93]
	v_add_nc_u64_e32 v[124:125], s[4:5], v[94:95]
	s_clause 0x2
	global_load_b128 v[52:55], v[96:97], off
	global_load_b128 v[56:59], v[96:97], off offset:16
	global_load_b128 v[60:63], v[120:121], off
	s_clause 0x6
	global_load_b128 v[64:67], v[26:27], off offset:32
	global_load_b128 v[68:71], v[26:27], off offset:48
	;; [unrolled: 1-line block ×7, first 2 shown]
	s_clause 0x4
	global_load_b128 v[92:95], v[120:121], off offset:16
	global_load_b128 v[96:99], v[122:123], off
	global_load_b128 v[100:103], v[122:123], off offset:16
	global_load_b128 v[104:107], v[124:125], off
	global_load_b128 v[108:111], v[124:125], off offset:16
	s_clause 0x1
	global_load_b128 v[112:115], v[26:27], off offset:1552
	global_load_b128 v[116:119], v[26:27], off offset:1056
	s_wait_loadcnt 0x10
	v_pk_fma_f32 v[16:17], v[52:53], v[32:33], v[16:17] op_sel_hi:[0,1,1]
	s_wait_xcnt 0x6
	v_dual_mov_b32 v32, v45 :: v_dual_mov_b32 v120, v55
	s_wait_loadcnt 0xf
	s_wait_xcnt 0x4
	v_mov_b32_e32 v122, v59
	v_pk_fma_f32 v[16:17], v[52:53], v[34:35], v[16:17] op_sel:[1,0,0]
	v_mov_b32_e32 v35, v45
	s_delay_alu instid0(VALU_DEP_2) | instskip(SKIP_1) | instid1(VALU_DEP_2)
	v_pk_fma_f32 v[16:17], v[54:55], v[32:33], v[16:17] op_sel_hi:[0,1,1]
	v_mov_b32_e32 v32, v46
	v_pk_fma_f32 v[16:17], v[120:121], v[34:35], v[16:17] op_sel_hi:[0,1,1]
	v_mov_b32_e32 v35, v46
	s_delay_alu instid0(VALU_DEP_2) | instskip(SKIP_1) | instid1(VALU_DEP_2)
	v_pk_fma_f32 v[16:17], v[56:57], v[32:33], v[16:17] op_sel_hi:[0,1,1]
	v_mov_b32_e32 v32, v47
	v_pk_fma_f32 v[16:17], v[56:57], v[34:35], v[16:17] op_sel:[1,0,0]
	v_mov_b32_e32 v35, v47
	global_load_b128 v[44:47], v[26:27], off offset:1568
	v_pk_fma_f32 v[16:17], v[58:59], v[32:33], v[16:17] op_sel_hi:[0,1,1]
	v_mov_b32_e32 v32, v40
	s_delay_alu instid0(VALU_DEP_2) | instskip(SKIP_2) | instid1(VALU_DEP_2)
	v_pk_fma_f32 v[16:17], v[122:123], v[34:35], v[16:17] op_sel_hi:[0,1,1]
	s_wait_loadcnt 0x7
	v_dual_mov_b32 v35, v40 :: v_dual_mov_b32 v40, v95
	v_pk_fma_f32 v[16:17], v[60:61], v[32:33], v[16:17] op_sel_hi:[0,1,1]
	v_mov_b32_e32 v32, v48
	s_delay_alu instid0(VALU_DEP_2) | instskip(SKIP_1) | instid1(VALU_DEP_3)
	v_pk_fma_f32 v[16:17], v[60:61], v[34:35], v[16:17] op_sel:[1,0,0]
	v_mov_b32_e32 v35, v48
	v_pk_fma_f32 v[20:21], v[52:53], v[32:33], v[20:21] op_sel_hi:[0,1,1]
	v_mov_b32_e32 v32, v49
	s_delay_alu instid0(VALU_DEP_2) | instskip(SKIP_1) | instid1(VALU_DEP_2)
	v_pk_fma_f32 v[20:21], v[52:53], v[34:35], v[20:21] op_sel:[1,0,0]
	v_mov_b32_e32 v35, v49
	v_pk_fma_f32 v[20:21], v[54:55], v[32:33], v[20:21] op_sel_hi:[0,1,1]
	v_mov_b32_e32 v32, v50
	s_delay_alu instid0(VALU_DEP_2) | instskip(SKIP_1) | instid1(VALU_DEP_2)
	v_pk_fma_f32 v[20:21], v[120:121], v[34:35], v[20:21] op_sel_hi:[0,1,1]
	v_mov_b32_e32 v35, v50
	v_pk_fma_f32 v[20:21], v[56:57], v[32:33], v[20:21] op_sel_hi:[0,1,1]
	v_mov_b32_e32 v32, v51
	s_delay_alu instid0(VALU_DEP_2) | instskip(SKIP_4) | instid1(VALU_DEP_2)
	v_pk_fma_f32 v[20:21], v[56:57], v[34:35], v[20:21] op_sel:[1,0,0]
	v_mov_b32_e32 v35, v51
	global_load_b128 v[48:51], v[26:27], off offset:1072
	v_pk_fma_f32 v[20:21], v[58:59], v[32:33], v[20:21] op_sel_hi:[0,1,1]
	v_mov_b32_e32 v32, v36
	v_pk_fma_f32 v[20:21], v[122:123], v[34:35], v[20:21] op_sel_hi:[0,1,1]
	v_dual_mov_b32 v35, v36 :: v_dual_mov_b32 v36, v63
	s_delay_alu instid0(VALU_DEP_2) | instskip(SKIP_1) | instid1(VALU_DEP_2)
	v_pk_fma_f32 v[20:21], v[60:61], v[32:33], v[20:21] op_sel_hi:[0,1,1]
	v_mov_b32_e32 v32, v64
	v_pk_fma_f32 v[20:21], v[60:61], v[34:35], v[20:21] op_sel:[1,0,0]
	v_mov_b32_e32 v35, v64
	s_delay_alu instid0(VALU_DEP_3) | instskip(SKIP_2) | instid1(VALU_DEP_2)
	v_pk_fma_f32 v[18:19], v[52:53], v[32:33], v[18:19] op_sel_hi:[0,1,1]
	s_wait_loadcnt 0x6
	v_dual_mov_b32 v32, v65 :: v_dual_mov_b32 v64, v103
	v_pk_fma_f32 v[18:19], v[52:53], v[34:35], v[18:19] op_sel:[1,0,0]
	v_mov_b32_e32 v35, v65
	s_delay_alu instid0(VALU_DEP_2) | instskip(SKIP_1) | instid1(VALU_DEP_2)
	v_pk_fma_f32 v[18:19], v[54:55], v[32:33], v[18:19] op_sel_hi:[0,1,1]
	v_mov_b32_e32 v32, v66
	v_pk_fma_f32 v[18:19], v[120:121], v[34:35], v[18:19] op_sel_hi:[0,1,1]
	s_wait_loadcnt 0x4
	v_dual_mov_b32 v35, v66 :: v_dual_mov_b32 v66, v111
	s_delay_alu instid0(VALU_DEP_2) | instskip(SKIP_1) | instid1(VALU_DEP_2)
	v_pk_fma_f32 v[18:19], v[56:57], v[32:33], v[18:19] op_sel_hi:[0,1,1]
	v_mov_b32_e32 v32, v67
	v_pk_fma_f32 v[18:19], v[56:57], v[34:35], v[18:19] op_sel:[1,0,0]
	v_mov_b32_e32 v35, v67
	s_delay_alu instid0(VALU_DEP_2) | instskip(SKIP_1) | instid1(VALU_DEP_2)
	v_pk_fma_f32 v[18:19], v[58:59], v[32:33], v[18:19] op_sel_hi:[0,1,1]
	v_mov_b32_e32 v32, v72
	v_pk_fma_f32 v[18:19], v[122:123], v[34:35], v[18:19] op_sel_hi:[0,1,1]
	v_mov_b32_e32 v35, v72
	s_delay_alu instid0(VALU_DEP_2) | instskip(SKIP_1) | instid1(VALU_DEP_2)
	v_pk_fma_f32 v[18:19], v[60:61], v[32:33], v[18:19] op_sel_hi:[0,1,1]
	v_mov_b32_e32 v32, v68
	v_pk_fma_f32 v[18:19], v[60:61], v[34:35], v[18:19] op_sel:[1,0,0]
	v_mov_b32_e32 v35, v68
	s_delay_alu instid0(VALU_DEP_3) | instskip(SKIP_1) | instid1(VALU_DEP_2)
	v_pk_fma_f32 v[22:23], v[52:53], v[32:33], v[22:23] op_sel_hi:[0,1,1]
	v_mov_b32_e32 v32, v69
	v_pk_fma_f32 v[22:23], v[52:53], v[34:35], v[22:23] op_sel:[1,0,0]
	v_mov_b32_e32 v35, v69
	s_delay_alu instid0(VALU_DEP_2)
	v_pk_fma_f32 v[22:23], v[54:55], v[32:33], v[22:23] op_sel_hi:[0,1,1]
	v_mov_b32_e32 v32, v70
	global_load_b128 v[52:55], v[26:27], off offset:1584
	s_wait_xcnt 0x0
	v_add_nc_u64_e32 v[26:27], 0x800, v[26:27]
	v_pk_fma_f32 v[22:23], v[120:121], v[34:35], v[22:23] op_sel_hi:[0,1,1]
	v_mov_b32_e32 v35, v70
	s_delay_alu instid0(VALU_DEP_2) | instskip(SKIP_1) | instid1(VALU_DEP_2)
	v_pk_fma_f32 v[22:23], v[56:57], v[32:33], v[22:23] op_sel_hi:[0,1,1]
	v_mov_b32_e32 v32, v71
	v_pk_fma_f32 v[22:23], v[56:57], v[34:35], v[22:23] op_sel:[1,0,0]
	v_dual_mov_b32 v35, v71 :: v_dual_mov_b32 v56, v99
	s_delay_alu instid0(VALU_DEP_2) | instskip(SKIP_1) | instid1(VALU_DEP_2)
	v_pk_fma_f32 v[22:23], v[58:59], v[32:33], v[22:23] op_sel_hi:[0,1,1]
	v_dual_mov_b32 v32, v76 :: v_dual_mov_b32 v58, v107
	v_pk_fma_f32 v[22:23], v[122:123], v[34:35], v[22:23] op_sel_hi:[0,1,1]
	v_mov_b32_e32 v35, v76
	s_delay_alu instid0(VALU_DEP_2) | instskip(SKIP_1) | instid1(VALU_DEP_2)
	v_pk_fma_f32 v[22:23], v[60:61], v[32:33], v[22:23] op_sel_hi:[0,1,1]
	v_mov_b32_e32 v32, v41
	v_pk_fma_f32 v[22:23], v[60:61], v[34:35], v[22:23] op_sel:[1,0,0]
	v_mov_b32_e32 v35, v41
	s_delay_alu instid0(VALU_DEP_3) | instskip(SKIP_1) | instid1(VALU_DEP_2)
	v_pk_fma_f32 v[16:17], v[62:63], v[32:33], v[16:17] op_sel_hi:[0,1,1]
	v_mov_b32_e32 v32, v42
	v_pk_fma_f32 v[16:17], v[36:37], v[34:35], v[16:17] op_sel_hi:[0,1,1]
	v_mov_b32_e32 v35, v42
	s_delay_alu instid0(VALU_DEP_2) | instskip(SKIP_1) | instid1(VALU_DEP_2)
	v_pk_fma_f32 v[16:17], v[92:93], v[32:33], v[16:17] op_sel_hi:[0,1,1]
	v_mov_b32_e32 v32, v43
	v_pk_fma_f32 v[16:17], v[92:93], v[34:35], v[16:17] op_sel:[1,0,0]
	v_mov_b32_e32 v35, v43
	s_delay_alu instid0(VALU_DEP_2) | instskip(SKIP_1) | instid1(VALU_DEP_2)
	v_pk_fma_f32 v[16:17], v[94:95], v[32:33], v[16:17] op_sel_hi:[0,1,1]
	v_mov_b32_e32 v32, v84
	v_pk_fma_f32 v[16:17], v[40:41], v[34:35], v[16:17] op_sel_hi:[0,1,1]
	v_mov_b32_e32 v35, v84
	s_delay_alu instid0(VALU_DEP_2) | instskip(SKIP_1) | instid1(VALU_DEP_2)
	v_pk_fma_f32 v[16:17], v[96:97], v[32:33], v[16:17] op_sel_hi:[0,1,1]
	v_mov_b32_e32 v32, v85
	v_pk_fma_f32 v[16:17], v[96:97], v[34:35], v[16:17] op_sel:[1,0,0]
	v_mov_b32_e32 v35, v85
	s_delay_alu instid0(VALU_DEP_2) | instskip(SKIP_1) | instid1(VALU_DEP_2)
	;; [unrolled: 10-line block ×5, first 2 shown]
	v_pk_fma_f32 v[16:17], v[110:111], v[32:33], v[16:17] op_sel_hi:[0,1,1]
	v_mov_b32_e32 v32, v37
	v_pk_fma_f32 v[16:17], v[66:67], v[34:35], v[16:17] op_sel_hi:[0,1,1]
	v_mov_b32_e32 v35, v37
	s_delay_alu instid0(VALU_DEP_3) | instskip(SKIP_1) | instid1(VALU_DEP_2)
	v_pk_fma_f32 v[20:21], v[62:63], v[32:33], v[20:21] op_sel_hi:[0,1,1]
	v_mov_b32_e32 v32, v38
	v_pk_fma_f32 v[20:21], v[36:37], v[34:35], v[20:21] op_sel_hi:[0,1,1]
	v_mov_b32_e32 v35, v38
	s_delay_alu instid0(VALU_DEP_2) | instskip(SKIP_1) | instid1(VALU_DEP_2)
	v_pk_fma_f32 v[20:21], v[92:93], v[32:33], v[20:21] op_sel_hi:[0,1,1]
	v_mov_b32_e32 v32, v39
	v_pk_fma_f32 v[20:21], v[92:93], v[34:35], v[20:21] op_sel:[1,0,0]
	v_mov_b32_e32 v35, v39
	s_delay_alu instid0(VALU_DEP_2) | instskip(SKIP_1) | instid1(VALU_DEP_2)
	v_pk_fma_f32 v[20:21], v[94:95], v[32:33], v[20:21] op_sel_hi:[0,1,1]
	v_mov_b32_e32 v32, v80
	v_pk_fma_f32 v[20:21], v[40:41], v[34:35], v[20:21] op_sel_hi:[0,1,1]
	v_mov_b32_e32 v35, v80
	s_delay_alu instid0(VALU_DEP_2) | instskip(SKIP_1) | instid1(VALU_DEP_2)
	v_pk_fma_f32 v[20:21], v[96:97], v[32:33], v[20:21] op_sel_hi:[0,1,1]
	v_mov_b32_e32 v32, v81
	v_pk_fma_f32 v[20:21], v[96:97], v[34:35], v[20:21] op_sel:[1,0,0]
	v_mov_b32_e32 v35, v81
	s_delay_alu instid0(VALU_DEP_2) | instskip(SKIP_1) | instid1(VALU_DEP_2)
	v_pk_fma_f32 v[20:21], v[98:99], v[32:33], v[20:21] op_sel_hi:[0,1,1]
	v_mov_b32_e32 v32, v82
	v_pk_fma_f32 v[20:21], v[56:57], v[34:35], v[20:21] op_sel_hi:[0,1,1]
	v_mov_b32_e32 v35, v82
	s_delay_alu instid0(VALU_DEP_2) | instskip(SKIP_1) | instid1(VALU_DEP_2)
	v_pk_fma_f32 v[20:21], v[32:33], v[100:101], v[20:21] op_sel_hi:[1,0,1]
	v_mov_b32_e32 v32, v83
	v_pk_fma_f32 v[20:21], v[100:101], v[34:35], v[20:21] op_sel:[1,0,0]
	v_mov_b32_e32 v35, v83
	s_delay_alu instid0(VALU_DEP_2) | instskip(SKIP_2) | instid1(VALU_DEP_2)
	v_pk_fma_f32 v[20:21], v[102:103], v[32:33], v[20:21] op_sel_hi:[0,1,1]
	s_wait_loadcnt 0x4
	v_mov_b32_e32 v32, v112
	v_pk_fma_f32 v[20:21], v[64:65], v[34:35], v[20:21] op_sel_hi:[0,1,1]
	v_mov_b32_e32 v35, v112
	s_delay_alu instid0(VALU_DEP_2) | instskip(SKIP_1) | instid1(VALU_DEP_2)
	v_pk_fma_f32 v[20:21], v[104:105], v[32:33], v[20:21] op_sel_hi:[0,1,1]
	v_mov_b32_e32 v32, v113
	v_pk_fma_f32 v[20:21], v[104:105], v[34:35], v[20:21] op_sel:[1,0,0]
	v_mov_b32_e32 v35, v113
	s_delay_alu instid0(VALU_DEP_2) | instskip(SKIP_1) | instid1(VALU_DEP_2)
	v_pk_fma_f32 v[20:21], v[106:107], v[32:33], v[20:21] op_sel_hi:[0,1,1]
	v_mov_b32_e32 v32, v114
	v_pk_fma_f32 v[20:21], v[58:59], v[34:35], v[20:21] op_sel_hi:[0,1,1]
	v_mov_b32_e32 v35, v114
	s_delay_alu instid0(VALU_DEP_2) | instskip(SKIP_1) | instid1(VALU_DEP_2)
	v_pk_fma_f32 v[20:21], v[108:109], v[32:33], v[20:21] op_sel_hi:[0,1,1]
	v_mov_b32_e32 v32, v115
	v_pk_fma_f32 v[20:21], v[108:109], v[34:35], v[20:21] op_sel:[1,0,0]
	v_mov_b32_e32 v35, v115
	s_delay_alu instid0(VALU_DEP_2) | instskip(SKIP_1) | instid1(VALU_DEP_2)
	v_pk_fma_f32 v[20:21], v[110:111], v[32:33], v[20:21] op_sel_hi:[0,1,1]
	v_mov_b32_e32 v32, v73
	v_pk_fma_f32 v[20:21], v[66:67], v[34:35], v[20:21] op_sel_hi:[0,1,1]
	v_mov_b32_e32 v35, v73
	s_delay_alu instid0(VALU_DEP_3) | instskip(SKIP_1) | instid1(VALU_DEP_2)
	v_pk_fma_f32 v[18:19], v[62:63], v[32:33], v[18:19] op_sel_hi:[0,1,1]
	v_mov_b32_e32 v32, v74
	v_pk_fma_f32 v[18:19], v[36:37], v[34:35], v[18:19] op_sel_hi:[0,1,1]
	v_mov_b32_e32 v35, v74
	s_delay_alu instid0(VALU_DEP_2) | instskip(SKIP_1) | instid1(VALU_DEP_2)
	v_pk_fma_f32 v[18:19], v[92:93], v[32:33], v[18:19] op_sel_hi:[0,1,1]
	v_mov_b32_e32 v32, v75
	v_pk_fma_f32 v[18:19], v[92:93], v[34:35], v[18:19] op_sel:[1,0,0]
	v_mov_b32_e32 v35, v75
	s_delay_alu instid0(VALU_DEP_2) | instskip(SKIP_2) | instid1(VALU_DEP_2)
	v_pk_fma_f32 v[18:19], v[94:95], v[32:33], v[18:19] op_sel_hi:[0,1,1]
	s_wait_loadcnt 0x3
	v_mov_b32_e32 v32, v116
	v_pk_fma_f32 v[18:19], v[40:41], v[34:35], v[18:19] op_sel_hi:[0,1,1]
	v_mov_b32_e32 v35, v116
	s_delay_alu instid0(VALU_DEP_2) | instskip(SKIP_1) | instid1(VALU_DEP_2)
	v_pk_fma_f32 v[18:19], v[96:97], v[32:33], v[18:19] op_sel_hi:[0,1,1]
	v_mov_b32_e32 v32, v117
	v_pk_fma_f32 v[18:19], v[96:97], v[34:35], v[18:19] op_sel:[1,0,0]
	v_mov_b32_e32 v35, v117
	s_delay_alu instid0(VALU_DEP_2) | instskip(SKIP_1) | instid1(VALU_DEP_2)
	v_pk_fma_f32 v[18:19], v[98:99], v[32:33], v[18:19] op_sel_hi:[0,1,1]
	v_mov_b32_e32 v32, v118
	v_pk_fma_f32 v[18:19], v[56:57], v[34:35], v[18:19] op_sel_hi:[0,1,1]
	v_mov_b32_e32 v35, v118
	s_delay_alu instid0(VALU_DEP_2) | instskip(SKIP_1) | instid1(VALU_DEP_2)
	v_pk_fma_f32 v[18:19], v[32:33], v[100:101], v[18:19] op_sel_hi:[1,0,1]
	v_mov_b32_e32 v32, v119
	v_pk_fma_f32 v[18:19], v[100:101], v[34:35], v[18:19] op_sel:[1,0,0]
	v_mov_b32_e32 v35, v119
	s_delay_alu instid0(VALU_DEP_2) | instskip(SKIP_2) | instid1(VALU_DEP_2)
	v_pk_fma_f32 v[18:19], v[102:103], v[32:33], v[18:19] op_sel_hi:[0,1,1]
	s_wait_loadcnt 0x2
	v_mov_b32_e32 v32, v44
	v_pk_fma_f32 v[18:19], v[64:65], v[34:35], v[18:19] op_sel_hi:[0,1,1]
	v_mov_b32_e32 v35, v44
	s_delay_alu instid0(VALU_DEP_2) | instskip(SKIP_1) | instid1(VALU_DEP_2)
	v_pk_fma_f32 v[18:19], v[104:105], v[32:33], v[18:19] op_sel_hi:[0,1,1]
	v_mov_b32_e32 v32, v45
	v_pk_fma_f32 v[18:19], v[104:105], v[34:35], v[18:19] op_sel:[1,0,0]
	v_mov_b32_e32 v35, v45
	s_delay_alu instid0(VALU_DEP_2) | instskip(SKIP_1) | instid1(VALU_DEP_2)
	v_pk_fma_f32 v[18:19], v[106:107], v[32:33], v[18:19] op_sel_hi:[0,1,1]
	v_mov_b32_e32 v32, v46
	v_pk_fma_f32 v[18:19], v[58:59], v[34:35], v[18:19] op_sel_hi:[0,1,1]
	v_mov_b32_e32 v35, v46
	s_delay_alu instid0(VALU_DEP_2) | instskip(SKIP_1) | instid1(VALU_DEP_2)
	v_pk_fma_f32 v[18:19], v[108:109], v[32:33], v[18:19] op_sel_hi:[0,1,1]
	v_mov_b32_e32 v32, v47
	v_pk_fma_f32 v[18:19], v[108:109], v[34:35], v[18:19] op_sel:[1,0,0]
	v_mov_b32_e32 v35, v47
	s_delay_alu instid0(VALU_DEP_2) | instskip(SKIP_1) | instid1(VALU_DEP_2)
	v_pk_fma_f32 v[18:19], v[110:111], v[32:33], v[18:19] op_sel_hi:[0,1,1]
	v_mov_b32_e32 v32, v77
	v_pk_fma_f32 v[18:19], v[66:67], v[34:35], v[18:19] op_sel_hi:[0,1,1]
	v_mov_b32_e32 v35, v77
	s_delay_alu instid0(VALU_DEP_3) | instskip(SKIP_1) | instid1(VALU_DEP_2)
	v_pk_fma_f32 v[22:23], v[62:63], v[32:33], v[22:23] op_sel_hi:[0,1,1]
	v_mov_b32_e32 v32, v78
	v_pk_fma_f32 v[22:23], v[36:37], v[34:35], v[22:23] op_sel_hi:[0,1,1]
	v_mov_b32_e32 v35, v78
	s_delay_alu instid0(VALU_DEP_2) | instskip(SKIP_1) | instid1(VALU_DEP_2)
	v_pk_fma_f32 v[22:23], v[92:93], v[32:33], v[22:23] op_sel_hi:[0,1,1]
	v_mov_b32_e32 v32, v79
	v_pk_fma_f32 v[22:23], v[92:93], v[34:35], v[22:23] op_sel:[1,0,0]
	v_mov_b32_e32 v35, v79
	s_delay_alu instid0(VALU_DEP_2) | instskip(SKIP_2) | instid1(VALU_DEP_2)
	v_pk_fma_f32 v[22:23], v[94:95], v[32:33], v[22:23] op_sel_hi:[0,1,1]
	s_wait_loadcnt 0x1
	v_mov_b32_e32 v32, v48
	v_pk_fma_f32 v[22:23], v[40:41], v[34:35], v[22:23] op_sel_hi:[0,1,1]
	v_mov_b32_e32 v35, v48
	s_delay_alu instid0(VALU_DEP_2) | instskip(SKIP_1) | instid1(VALU_DEP_2)
	v_pk_fma_f32 v[22:23], v[96:97], v[32:33], v[22:23] op_sel_hi:[0,1,1]
	v_mov_b32_e32 v32, v49
	v_pk_fma_f32 v[22:23], v[96:97], v[34:35], v[22:23] op_sel:[1,0,0]
	v_mov_b32_e32 v35, v49
	s_delay_alu instid0(VALU_DEP_2) | instskip(SKIP_1) | instid1(VALU_DEP_2)
	v_pk_fma_f32 v[22:23], v[98:99], v[32:33], v[22:23] op_sel_hi:[0,1,1]
	v_mov_b32_e32 v32, v50
	v_pk_fma_f32 v[22:23], v[56:57], v[34:35], v[22:23] op_sel_hi:[0,1,1]
	v_mov_b32_e32 v35, v50
	s_delay_alu instid0(VALU_DEP_2) | instskip(SKIP_1) | instid1(VALU_DEP_2)
	v_pk_fma_f32 v[22:23], v[32:33], v[100:101], v[22:23] op_sel_hi:[1,0,1]
	v_mov_b32_e32 v32, v51
	v_pk_fma_f32 v[22:23], v[100:101], v[34:35], v[22:23] op_sel:[1,0,0]
	v_mov_b32_e32 v35, v51
	s_delay_alu instid0(VALU_DEP_2) | instskip(SKIP_2) | instid1(VALU_DEP_2)
	v_pk_fma_f32 v[22:23], v[102:103], v[32:33], v[22:23] op_sel_hi:[0,1,1]
	s_wait_loadcnt 0x0
	v_mov_b32_e32 v32, v52
	v_pk_fma_f32 v[22:23], v[64:65], v[34:35], v[22:23] op_sel_hi:[0,1,1]
	v_mov_b32_e32 v35, v52
	s_delay_alu instid0(VALU_DEP_2) | instskip(SKIP_1) | instid1(VALU_DEP_2)
	v_pk_fma_f32 v[22:23], v[104:105], v[32:33], v[22:23] op_sel_hi:[0,1,1]
	v_mov_b32_e32 v32, v53
	v_pk_fma_f32 v[22:23], v[104:105], v[34:35], v[22:23] op_sel:[1,0,0]
	v_mov_b32_e32 v35, v53
	s_delay_alu instid0(VALU_DEP_2) | instskip(SKIP_1) | instid1(VALU_DEP_2)
	v_pk_fma_f32 v[22:23], v[106:107], v[32:33], v[22:23] op_sel_hi:[0,1,1]
	v_mov_b32_e32 v32, v54
	v_pk_fma_f32 v[22:23], v[58:59], v[34:35], v[22:23] op_sel_hi:[0,1,1]
	v_mov_b32_e32 v35, v54
	s_delay_alu instid0(VALU_DEP_2) | instskip(SKIP_1) | instid1(VALU_DEP_2)
	v_pk_fma_f32 v[22:23], v[108:109], v[32:33], v[22:23] op_sel_hi:[0,1,1]
	v_mov_b32_e32 v32, v55
	v_pk_fma_f32 v[22:23], v[108:109], v[34:35], v[22:23] op_sel:[1,0,0]
	v_mov_b32_e32 v35, v55
	s_delay_alu instid0(VALU_DEP_2) | instskip(NEXT) | instid1(VALU_DEP_1)
	v_pk_fma_f32 v[22:23], v[110:111], v[32:33], v[22:23] op_sel_hi:[0,1,1]
	v_pk_fma_f32 v[22:23], v[66:67], v[34:35], v[22:23] op_sel_hi:[0,1,1]
	s_and_not1_b32 exec_lo, exec_lo, s10
	s_cbranch_execnz .LBB131_19
; %bb.20:
	s_or_b32 exec_lo, exec_lo, s10
.LBB131_21:
	s_delay_alu instid0(SALU_CYCLE_1)
	s_or_b32 exec_lo, exec_lo, s7
.LBB131_22:
	s_delay_alu instid0(SALU_CYCLE_1)
	s_or_b32 exec_lo, exec_lo, s6
	s_cbranch_execz .LBB131_24
	s_branch .LBB131_35
.LBB131_23:
                                        ; implicit-def: $vgpr17
                                        ; implicit-def: $vgpr21
                                        ; implicit-def: $vgpr19
                                        ; implicit-def: $vgpr23
.LBB131_24:
	v_dual_mov_b32 v17, 0 :: v_dual_mov_b32 v16, 0
	v_dual_mov_b32 v21, 0 :: v_dual_mov_b32 v20, 0
	;; [unrolled: 1-line block ×4, first 2 shown]
	s_and_saveexec_b32 s6, s3
	s_cbranch_execz .LBB131_34
; %bb.25:
	v_dual_mov_b32 v17, v1 :: v_dual_bitop2_b32 v16, 8, v0 bitop3:0x54
	v_sub_nc_u64_e32 v[18:19], v[8:9], v[0:1]
	v_not_b32_e32 v21, v25
	v_not_b32_e32 v20, v24
	s_delay_alu instid0(VALU_DEP_4) | instskip(NEXT) | instid1(VALU_DEP_2)
	v_sub_nc_u64_e32 v[16:17], v[16:17], v[8:9]
	v_add_nc_u64_e32 v[18:19], v[18:19], v[20:21]
	s_delay_alu instid0(VALU_DEP_2) | instskip(NEXT) | instid1(VALU_DEP_1)
	v_add_nc_u64_e32 v[16:17], v[16:17], v[24:25]
	v_max_i64 v[16:17], v[16:17], v[12:13]
	s_delay_alu instid0(VALU_DEP_1) | instskip(NEXT) | instid1(VALU_DEP_1)
	v_add_nc_u64_e32 v[24:25], v[18:19], v[16:17]
	v_dual_mov_b32 v23, 0 :: v_dual_bitop2_b32 v22, 24, v24 bitop3:0x40
	s_delay_alu instid0(VALU_DEP_1) | instskip(SKIP_2) | instid1(VALU_DEP_4)
	v_dual_mov_b32 v18, v23 :: v_dual_mov_b32 v19, v23
	v_dual_mov_b32 v20, v23 :: v_dual_mov_b32 v21, v23
	v_mov_b32_e32 v16, v23
	v_cmp_ne_u64_e32 vcc_lo, 24, v[22:23]
	v_dual_mov_b32 v22, v23 :: v_dual_mov_b32 v17, v23
	s_and_saveexec_b32 s3, vcc_lo
	s_cbranch_execz .LBB131_29
; %bb.26:
	v_dual_lshrrev_b32 v1, 3, v24 :: v_dual_mov_b32 v27, 0
	v_lshl_add_u64 v[28:29], v[10:11], 3, s[8:9]
	v_bfrev_b32_e32 v30, 1
	s_mov_b32 s7, 0
	s_delay_alu instid0(VALU_DEP_3) | instskip(SKIP_2) | instid1(VALU_DEP_3)
	v_dual_mov_b32 v22, v27 :: v_dual_add_nc_u32 v1, 1, v1
	v_dual_mov_b32 v18, v27 :: v_dual_mov_b32 v19, v27
	v_dual_mov_b32 v20, v27 :: v_dual_mov_b32 v21, v27
	v_dual_mov_b32 v23, v27 :: v_dual_bitop2_b32 v26, 3, v1 bitop3:0x40
	v_dual_mov_b32 v16, v27 :: v_dual_mov_b32 v17, v27
	s_delay_alu instid0(VALU_DEP_2)
	v_sub_nc_u64_e32 v[32:33], 0, v[26:27]
.LBB131_27:                             ; =>This Inner Loop Header: Depth=1
	global_load_b64 v[42:43], v[28:29], off
	s_clause 0x1
	global_load_b128 v[34:37], v[14:15], off offset:16
	global_load_b128 v[38:41], v[14:15], off
	v_add_nc_u64_e32 v[32:33], 1, v[32:33]
	v_add_nc_u64_e32 v[10:11], 8, v[10:11]
	s_wait_xcnt 0x2
	v_add_nc_u64_e32 v[28:29], 64, v[28:29]
	s_delay_alu instid0(VALU_DEP_3)
	v_cmp_eq_u64_e32 vcc_lo, 0, v[32:33]
	s_or_b32 s7, vcc_lo, s7
	s_wait_loadcnt 0x2
	v_sub_nc_u64_e32 v[42:43], v[42:43], v[8:9]
	s_wait_loadcnt 0x0
	v_dual_mov_b32 v26, v38 :: v_dual_mov_b32 v31, v38
	s_delay_alu instid0(VALU_DEP_2) | instskip(NEXT) | instid1(VALU_DEP_1)
	v_lshlrev_b64_e32 v[42:43], 5, v[42:43]
	v_add_nc_u64_e32 v[58:59], s[4:5], v[42:43]
	s_clause 0x1
	global_load_b128 v[42:45], v[58:59], off
	global_load_b128 v[46:49], v[58:59], off offset:16
	s_clause 0x1
	global_load_b128 v[50:53], v[14:15], off offset:32
	global_load_b128 v[54:57], v[14:15], off offset:48
	s_wait_xcnt 0x0
	v_add_nc_u64_e32 v[14:15], 0x200, v[14:15]
	s_wait_loadcnt 0x3
	v_pk_fma_f32 v[16:17], v[42:43], v[26:27], v[16:17] op_sel_hi:[0,1,1]
	v_dual_mov_b32 v26, v34 :: v_dual_mov_b32 v38, v45
	s_wait_loadcnt 0x2
	v_mov_b32_e32 v58, v49
	s_delay_alu instid0(VALU_DEP_3) | instskip(SKIP_1) | instid1(VALU_DEP_2)
	v_pk_fma_f32 v[16:17], v[42:43], v[30:31], v[16:17] op_sel:[1,0,0]
	v_mov_b32_e32 v31, v34
	v_pk_fma_f32 v[16:17], v[44:45], v[26:27], v[16:17] op_sel_hi:[0,1,1]
	s_wait_loadcnt 0x1
	v_mov_b32_e32 v26, v50
	s_delay_alu instid0(VALU_DEP_2) | instskip(SKIP_1) | instid1(VALU_DEP_2)
	v_pk_fma_f32 v[16:17], v[38:39], v[30:31], v[16:17] op_sel_hi:[0,1,1]
	v_mov_b32_e32 v31, v50
	v_pk_fma_f32 v[16:17], v[46:47], v[26:27], v[16:17] op_sel_hi:[0,1,1]
	s_wait_loadcnt 0x0
	v_mov_b32_e32 v26, v54
	s_delay_alu instid0(VALU_DEP_2) | instskip(SKIP_1) | instid1(VALU_DEP_2)
	v_pk_fma_f32 v[16:17], v[46:47], v[30:31], v[16:17] op_sel:[1,0,0]
	v_mov_b32_e32 v31, v54
	v_pk_fma_f32 v[16:17], v[48:49], v[26:27], v[16:17] op_sel_hi:[0,1,1]
	v_mov_b32_e32 v26, v39
	s_delay_alu instid0(VALU_DEP_2) | instskip(SKIP_1) | instid1(VALU_DEP_3)
	v_pk_fma_f32 v[16:17], v[58:59], v[30:31], v[16:17] op_sel_hi:[0,1,1]
	v_mov_b32_e32 v31, v39
	v_pk_fma_f32 v[20:21], v[42:43], v[26:27], v[20:21] op_sel_hi:[0,1,1]
	v_mov_b32_e32 v26, v35
	s_delay_alu instid0(VALU_DEP_2) | instskip(SKIP_1) | instid1(VALU_DEP_2)
	v_pk_fma_f32 v[20:21], v[42:43], v[30:31], v[20:21] op_sel:[1,0,0]
	v_mov_b32_e32 v31, v35
	v_pk_fma_f32 v[20:21], v[44:45], v[26:27], v[20:21] op_sel_hi:[0,1,1]
	v_mov_b32_e32 v26, v51
	s_delay_alu instid0(VALU_DEP_2) | instskip(SKIP_1) | instid1(VALU_DEP_2)
	v_pk_fma_f32 v[20:21], v[38:39], v[30:31], v[20:21] op_sel_hi:[0,1,1]
	v_mov_b32_e32 v31, v51
	v_pk_fma_f32 v[20:21], v[46:47], v[26:27], v[20:21] op_sel_hi:[0,1,1]
	v_mov_b32_e32 v26, v55
	s_delay_alu instid0(VALU_DEP_2) | instskip(SKIP_1) | instid1(VALU_DEP_2)
	v_pk_fma_f32 v[20:21], v[46:47], v[30:31], v[20:21] op_sel:[1,0,0]
	v_mov_b32_e32 v31, v55
	v_pk_fma_f32 v[20:21], v[48:49], v[26:27], v[20:21] op_sel_hi:[0,1,1]
	v_mov_b32_e32 v26, v40
	s_delay_alu instid0(VALU_DEP_2) | instskip(SKIP_1) | instid1(VALU_DEP_3)
	v_pk_fma_f32 v[20:21], v[58:59], v[30:31], v[20:21] op_sel_hi:[0,1,1]
	v_mov_b32_e32 v31, v40
	v_pk_fma_f32 v[18:19], v[42:43], v[26:27], v[18:19] op_sel_hi:[0,1,1]
	v_mov_b32_e32 v26, v36
	s_delay_alu instid0(VALU_DEP_2) | instskip(SKIP_1) | instid1(VALU_DEP_2)
	v_pk_fma_f32 v[18:19], v[42:43], v[30:31], v[18:19] op_sel:[1,0,0]
	v_mov_b32_e32 v31, v36
	v_pk_fma_f32 v[18:19], v[44:45], v[26:27], v[18:19] op_sel_hi:[0,1,1]
	v_mov_b32_e32 v26, v52
	s_delay_alu instid0(VALU_DEP_2) | instskip(SKIP_1) | instid1(VALU_DEP_2)
	v_pk_fma_f32 v[18:19], v[38:39], v[30:31], v[18:19] op_sel_hi:[0,1,1]
	v_mov_b32_e32 v31, v52
	v_pk_fma_f32 v[18:19], v[46:47], v[26:27], v[18:19] op_sel_hi:[0,1,1]
	;; [unrolled: 20-line block ×3, first 2 shown]
	v_mov_b32_e32 v26, v57
	s_delay_alu instid0(VALU_DEP_2) | instskip(SKIP_1) | instid1(VALU_DEP_2)
	v_pk_fma_f32 v[22:23], v[46:47], v[30:31], v[22:23] op_sel:[1,0,0]
	v_mov_b32_e32 v31, v57
	v_pk_fma_f32 v[22:23], v[48:49], v[26:27], v[22:23] op_sel_hi:[0,1,1]
	s_delay_alu instid0(VALU_DEP_1)
	v_pk_fma_f32 v[22:23], v[58:59], v[30:31], v[22:23] op_sel_hi:[0,1,1]
	s_and_not1_b32 exec_lo, exec_lo, s7
	s_cbranch_execnz .LBB131_27
; %bb.28:
	s_or_b32 exec_lo, exec_lo, s7
.LBB131_29:
	s_delay_alu instid0(SALU_CYCLE_1) | instskip(NEXT) | instid1(SALU_CYCLE_1)
	s_or_b32 exec_lo, exec_lo, s3
	s_mov_b32 s3, exec_lo
	v_cmpx_lt_u64_e32 23, v[24:25]
	s_cbranch_execz .LBB131_33
; %bb.30:
	v_lshl_add_u64 v[24:25], v[10:11], 3, s[8:9]
	v_mov_b32_e32 v27, 0
	v_bfrev_b32_e32 v28, 1
	s_mov_b32 s7, 0
	s_delay_alu instid0(VALU_DEP_3)
	v_add_nc_u64_e32 v[24:25], 0x80, v[24:25]
.LBB131_31:                             ; =>This Inner Loop Header: Depth=1
	s_clause 0x1
	global_load_b64 v[90:91], v[24:25], off offset:-128
	global_load_b64 v[92:93], v[24:25], off offset:-64
	global_load_b128 v[30:33], v[14:15], off
	s_clause 0x1
	global_load_b64 v[94:95], v[24:25], off
	global_load_b64 v[96:97], v[24:25], off offset:64
	s_clause 0xd
	global_load_b128 v[34:37], v[14:15], off offset:16
	global_load_b128 v[38:41], v[14:15], off offset:48
	;; [unrolled: 1-line block ×14, first 2 shown]
	v_add_nc_u64_e32 v[10:11], 32, v[10:11]
	s_wait_xcnt 0xe
	v_add_nc_u64_e32 v[24:25], 0x100, v[24:25]
	s_delay_alu instid0(VALU_DEP_2)
	v_cmp_ge_i64_e32 vcc_lo, v[10:11], v[12:13]
	s_or_b32 s7, vcc_lo, s7
	s_wait_loadcnt 0x12
	v_sub_nc_u64_e32 v[90:91], v[90:91], v[8:9]
	s_wait_loadcnt 0x11
	v_sub_nc_u64_e32 v[92:93], v[92:93], v[8:9]
	s_wait_loadcnt 0x10
	v_dual_mov_b32 v26, v30 :: v_dual_mov_b32 v29, v30
	s_wait_loadcnt 0xf
	v_sub_nc_u64_e32 v[94:95], v[94:95], v[8:9]
	s_wait_loadcnt 0xe
	v_sub_nc_u64_e32 v[96:97], v[96:97], v[8:9]
	v_lshlrev_b64_e32 v[90:91], 5, v[90:91]
	v_lshlrev_b64_e32 v[92:93], 5, v[92:93]
	s_delay_alu instid0(VALU_DEP_4) | instskip(NEXT) | instid1(VALU_DEP_4)
	v_lshlrev_b64_e32 v[94:95], 5, v[94:95]
	v_lshlrev_b64_e32 v[96:97], 5, v[96:97]
	s_delay_alu instid0(VALU_DEP_4) | instskip(NEXT) | instid1(VALU_DEP_4)
	v_add_nc_u64_e32 v[106:107], s[4:5], v[90:91]
	v_add_nc_u64_e32 v[108:109], s[4:5], v[92:93]
	s_delay_alu instid0(VALU_DEP_4) | instskip(NEXT) | instid1(VALU_DEP_4)
	v_add_nc_u64_e32 v[110:111], s[4:5], v[94:95]
	v_add_nc_u64_e32 v[112:113], s[4:5], v[96:97]
	s_clause 0x3
	global_load_b128 v[90:93], v[106:107], off
	global_load_b128 v[94:97], v[106:107], off offset:16
	global_load_b128 v[98:101], v[108:109], off
	global_load_b128 v[102:105], v[108:109], off offset:16
	s_wait_loadcnt 0x3
	v_pk_fma_f32 v[16:17], v[90:91], v[26:27], v[16:17] op_sel_hi:[0,1,1]
	s_wait_xcnt 0x2
	v_dual_mov_b32 v26, v34 :: v_dual_mov_b32 v106, v93
	s_wait_loadcnt 0x2
	s_wait_xcnt 0x0
	v_mov_b32_e32 v108, v97
	v_pk_fma_f32 v[16:17], v[90:91], v[28:29], v[16:17] op_sel:[1,0,0]
	v_mov_b32_e32 v29, v34
	s_delay_alu instid0(VALU_DEP_2) | instskip(SKIP_1) | instid1(VALU_DEP_2)
	v_pk_fma_f32 v[16:17], v[92:93], v[26:27], v[16:17] op_sel_hi:[0,1,1]
	v_mov_b32_e32 v26, v42
	v_pk_fma_f32 v[16:17], v[106:107], v[28:29], v[16:17] op_sel_hi:[0,1,1]
	v_mov_b32_e32 v29, v42
	s_delay_alu instid0(VALU_DEP_2) | instskip(SKIP_1) | instid1(VALU_DEP_2)
	v_pk_fma_f32 v[16:17], v[94:95], v[26:27], v[16:17] op_sel_hi:[0,1,1]
	v_mov_b32_e32 v26, v38
	v_pk_fma_f32 v[16:17], v[94:95], v[28:29], v[16:17] op_sel:[1,0,0]
	v_mov_b32_e32 v29, v38
	s_delay_alu instid0(VALU_DEP_2) | instskip(SKIP_1) | instid1(VALU_DEP_2)
	v_pk_fma_f32 v[16:17], v[96:97], v[26:27], v[16:17] op_sel_hi:[0,1,1]
	v_mov_b32_e32 v26, v58
	v_pk_fma_f32 v[16:17], v[108:109], v[28:29], v[16:17] op_sel_hi:[0,1,1]
	v_mov_b32_e32 v29, v58
	s_wait_loadcnt 0x1
	s_delay_alu instid0(VALU_DEP_2) | instskip(SKIP_1) | instid1(VALU_DEP_2)
	v_pk_fma_f32 v[16:17], v[98:99], v[26:27], v[16:17] op_sel_hi:[0,1,1]
	v_mov_b32_e32 v26, v31
	v_pk_fma_f32 v[114:115], v[98:99], v[28:29], v[16:17] op_sel:[1,0,0]
	v_mov_b32_e32 v29, v31
	s_delay_alu instid0(VALU_DEP_3) | instskip(SKIP_1) | instid1(VALU_DEP_2)
	v_pk_fma_f32 v[16:17], v[90:91], v[26:27], v[20:21] op_sel_hi:[0,1,1]
	v_mov_b32_e32 v26, v35
	v_pk_fma_f32 v[16:17], v[90:91], v[28:29], v[16:17] op_sel:[1,0,0]
	v_mov_b32_e32 v29, v35
	s_delay_alu instid0(VALU_DEP_2) | instskip(SKIP_1) | instid1(VALU_DEP_2)
	v_pk_fma_f32 v[16:17], v[92:93], v[26:27], v[16:17] op_sel_hi:[0,1,1]
	v_mov_b32_e32 v26, v43
	v_pk_fma_f32 v[16:17], v[106:107], v[28:29], v[16:17] op_sel_hi:[0,1,1]
	v_mov_b32_e32 v29, v43
	s_delay_alu instid0(VALU_DEP_2) | instskip(SKIP_1) | instid1(VALU_DEP_2)
	v_pk_fma_f32 v[16:17], v[94:95], v[26:27], v[16:17] op_sel_hi:[0,1,1]
	v_mov_b32_e32 v26, v39
	v_pk_fma_f32 v[16:17], v[94:95], v[28:29], v[16:17] op_sel:[1,0,0]
	v_mov_b32_e32 v29, v39
	s_delay_alu instid0(VALU_DEP_2) | instskip(SKIP_1) | instid1(VALU_DEP_2)
	v_pk_fma_f32 v[16:17], v[96:97], v[26:27], v[16:17] op_sel_hi:[0,1,1]
	v_mov_b32_e32 v26, v59
	v_pk_fma_f32 v[16:17], v[108:109], v[28:29], v[16:17] op_sel_hi:[0,1,1]
	v_mov_b32_e32 v29, v59
	s_delay_alu instid0(VALU_DEP_2) | instskip(SKIP_1) | instid1(VALU_DEP_2)
	v_pk_fma_f32 v[16:17], v[98:99], v[26:27], v[16:17] op_sel_hi:[0,1,1]
	v_mov_b32_e32 v26, v32
	v_pk_fma_f32 v[38:39], v[98:99], v[28:29], v[16:17] op_sel:[1,0,0]
	v_mov_b32_e32 v29, v32
	s_delay_alu instid0(VALU_DEP_3) | instskip(SKIP_1) | instid1(VALU_DEP_2)
	v_pk_fma_f32 v[16:17], v[90:91], v[26:27], v[18:19] op_sel_hi:[0,1,1]
	v_mov_b32_e32 v26, v36
	v_pk_fma_f32 v[16:17], v[90:91], v[28:29], v[16:17] op_sel:[1,0,0]
	v_mov_b32_e32 v29, v36
	s_delay_alu instid0(VALU_DEP_2) | instskip(SKIP_1) | instid1(VALU_DEP_2)
	v_pk_fma_f32 v[16:17], v[92:93], v[26:27], v[16:17] op_sel_hi:[0,1,1]
	v_mov_b32_e32 v26, v44
	v_pk_fma_f32 v[16:17], v[106:107], v[28:29], v[16:17] op_sel_hi:[0,1,1]
	s_wait_loadcnt 0x0
	v_dual_mov_b32 v29, v44 :: v_dual_mov_b32 v44, v105
	s_delay_alu instid0(VALU_DEP_2) | instskip(SKIP_1) | instid1(VALU_DEP_2)
	v_pk_fma_f32 v[16:17], v[94:95], v[26:27], v[16:17] op_sel_hi:[0,1,1]
	v_mov_b32_e32 v26, v40
	v_pk_fma_f32 v[16:17], v[94:95], v[28:29], v[16:17] op_sel:[1,0,0]
	v_dual_mov_b32 v29, v40 :: v_dual_mov_b32 v40, v101
	s_delay_alu instid0(VALU_DEP_2) | instskip(SKIP_1) | instid1(VALU_DEP_2)
	v_pk_fma_f32 v[16:17], v[96:97], v[26:27], v[16:17] op_sel_hi:[0,1,1]
	v_mov_b32_e32 v26, v60
	v_pk_fma_f32 v[16:17], v[108:109], v[28:29], v[16:17] op_sel_hi:[0,1,1]
	v_mov_b32_e32 v29, v60
	s_delay_alu instid0(VALU_DEP_2) | instskip(SKIP_1) | instid1(VALU_DEP_2)
	v_pk_fma_f32 v[16:17], v[98:99], v[26:27], v[16:17] op_sel_hi:[0,1,1]
	v_mov_b32_e32 v26, v33
	v_pk_fma_f32 v[42:43], v[98:99], v[28:29], v[16:17] op_sel:[1,0,0]
	v_mov_b32_e32 v29, v33
	s_clause 0x1
	global_load_b128 v[16:19], v[110:111], off
	global_load_b128 v[30:33], v[110:111], off offset:16
	v_pk_fma_f32 v[20:21], v[90:91], v[26:27], v[22:23] op_sel_hi:[0,1,1]
	v_mov_b32_e32 v26, v37
	s_delay_alu instid0(VALU_DEP_2)
	v_pk_fma_f32 v[20:21], v[90:91], v[28:29], v[20:21] op_sel:[1,0,0]
	v_mov_b32_e32 v29, v37
	global_load_b128 v[34:37], v[112:113], off
	v_pk_fma_f32 v[20:21], v[92:93], v[26:27], v[20:21] op_sel_hi:[0,1,1]
	global_load_b128 v[90:93], v[112:113], off offset:16
	v_mov_b32_e32 v26, v45
	v_pk_fma_f32 v[58:59], v[106:107], v[28:29], v[20:21] op_sel_hi:[0,1,1]
	global_load_b128 v[20:23], v[14:15], off offset:1584
	v_mov_b32_e32 v29, v45
	s_wait_xcnt 0x0
	v_add_nc_u64_e32 v[14:15], 0x800, v[14:15]
	v_pk_fma_f32 v[58:59], v[94:95], v[26:27], v[58:59] op_sel_hi:[0,1,1]
	v_mov_b32_e32 v26, v41
	s_delay_alu instid0(VALU_DEP_2) | instskip(SKIP_1) | instid1(VALU_DEP_2)
	v_pk_fma_f32 v[58:59], v[94:95], v[28:29], v[58:59] op_sel:[1,0,0]
	v_mov_b32_e32 v29, v41
	v_pk_fma_f32 v[58:59], v[96:97], v[26:27], v[58:59] op_sel_hi:[0,1,1]
	v_mov_b32_e32 v26, v61
	s_delay_alu instid0(VALU_DEP_2) | instskip(SKIP_1) | instid1(VALU_DEP_2)
	v_pk_fma_f32 v[58:59], v[108:109], v[28:29], v[58:59] op_sel_hi:[0,1,1]
	v_mov_b32_e32 v29, v61
	v_pk_fma_f32 v[58:59], v[98:99], v[26:27], v[58:59] op_sel_hi:[0,1,1]
	v_mov_b32_e32 v26, v54
	s_delay_alu instid0(VALU_DEP_2) | instskip(SKIP_1) | instid1(VALU_DEP_3)
	v_pk_fma_f32 v[58:59], v[98:99], v[28:29], v[58:59] op_sel:[1,0,0]
	v_mov_b32_e32 v29, v54
	v_pk_fma_f32 v[98:99], v[100:101], v[26:27], v[114:115] op_sel_hi:[0,1,1]
	v_mov_b32_e32 v26, v50
	s_delay_alu instid0(VALU_DEP_2) | instskip(SKIP_1) | instid1(VALU_DEP_2)
	v_pk_fma_f32 v[98:99], v[40:41], v[28:29], v[98:99] op_sel_hi:[0,1,1]
	v_mov_b32_e32 v29, v50
	v_pk_fma_f32 v[98:99], v[102:103], v[26:27], v[98:99] op_sel_hi:[0,1,1]
	v_mov_b32_e32 v26, v46
	s_delay_alu instid0(VALU_DEP_2) | instskip(SKIP_1) | instid1(VALU_DEP_2)
	v_pk_fma_f32 v[98:99], v[102:103], v[28:29], v[98:99] op_sel:[1,0,0]
	v_mov_b32_e32 v29, v46
	v_pk_fma_f32 v[98:99], v[104:105], v[26:27], v[98:99] op_sel_hi:[0,1,1]
	v_mov_b32_e32 v26, v74
	s_delay_alu instid0(VALU_DEP_2) | instskip(SKIP_2) | instid1(VALU_DEP_2)
	v_pk_fma_f32 v[98:99], v[44:45], v[28:29], v[98:99] op_sel_hi:[0,1,1]
	v_mov_b32_e32 v29, v74
	s_wait_loadcnt 0x4
	v_pk_fma_f32 v[98:99], v[16:17], v[26:27], v[98:99] op_sel_hi:[0,1,1]
	v_dual_mov_b32 v26, v70 :: v_dual_mov_b32 v60, v19
	s_wait_loadcnt 0x3
	v_mov_b32_e32 v94, v33
	s_delay_alu instid0(VALU_DEP_3) | instskip(SKIP_2) | instid1(VALU_DEP_2)
	v_pk_fma_f32 v[98:99], v[16:17], v[28:29], v[98:99] op_sel:[1,0,0]
	s_wait_loadcnt 0x2
	v_dual_mov_b32 v29, v70 :: v_dual_mov_b32 v96, v37
	v_pk_fma_f32 v[98:99], v[18:19], v[26:27], v[98:99] op_sel_hi:[0,1,1]
	s_wait_loadcnt 0x1
	v_dual_mov_b32 v26, v66 :: v_dual_mov_b32 v106, v93
	s_delay_alu instid0(VALU_DEP_2) | instskip(SKIP_1) | instid1(VALU_DEP_2)
	v_pk_fma_f32 v[98:99], v[60:61], v[28:29], v[98:99] op_sel_hi:[0,1,1]
	v_mov_b32_e32 v29, v55
	v_pk_fma_f32 v[98:99], v[30:31], v[26:27], v[98:99] op_sel_hi:[0,1,1]
	v_mov_b32_e32 v26, v55
	s_delay_alu instid0(VALU_DEP_1) | instskip(SKIP_1) | instid1(VALU_DEP_2)
	v_pk_fma_f32 v[38:39], v[100:101], v[26:27], v[38:39] op_sel_hi:[0,1,1]
	v_mov_b32_e32 v26, v51
	v_pk_fma_f32 v[38:39], v[40:41], v[28:29], v[38:39] op_sel_hi:[0,1,1]
	v_mov_b32_e32 v29, v51
	s_delay_alu instid0(VALU_DEP_2) | instskip(SKIP_1) | instid1(VALU_DEP_2)
	v_pk_fma_f32 v[38:39], v[102:103], v[26:27], v[38:39] op_sel_hi:[0,1,1]
	v_mov_b32_e32 v26, v47
	v_pk_fma_f32 v[38:39], v[102:103], v[28:29], v[38:39] op_sel:[1,0,0]
	v_mov_b32_e32 v29, v47
	s_delay_alu instid0(VALU_DEP_2) | instskip(SKIP_1) | instid1(VALU_DEP_2)
	v_pk_fma_f32 v[38:39], v[104:105], v[26:27], v[38:39] op_sel_hi:[0,1,1]
	v_mov_b32_e32 v26, v75
	v_pk_fma_f32 v[38:39], v[44:45], v[28:29], v[38:39] op_sel_hi:[0,1,1]
	v_mov_b32_e32 v29, v75
	s_delay_alu instid0(VALU_DEP_2) | instskip(SKIP_1) | instid1(VALU_DEP_2)
	v_pk_fma_f32 v[38:39], v[16:17], v[26:27], v[38:39] op_sel_hi:[0,1,1]
	v_mov_b32_e32 v26, v71
	v_pk_fma_f32 v[38:39], v[16:17], v[28:29], v[38:39] op_sel:[1,0,0]
	v_mov_b32_e32 v29, v71
	s_delay_alu instid0(VALU_DEP_2) | instskip(SKIP_1) | instid1(VALU_DEP_2)
	v_pk_fma_f32 v[38:39], v[18:19], v[26:27], v[38:39] op_sel_hi:[0,1,1]
	v_mov_b32_e32 v26, v67
	v_pk_fma_f32 v[38:39], v[60:61], v[28:29], v[38:39] op_sel_hi:[0,1,1]
	v_mov_b32_e32 v29, v56
	s_delay_alu instid0(VALU_DEP_2) | instskip(SKIP_1) | instid1(VALU_DEP_1)
	v_pk_fma_f32 v[38:39], v[30:31], v[26:27], v[38:39] op_sel_hi:[0,1,1]
	v_mov_b32_e32 v26, v56
	v_pk_fma_f32 v[42:43], v[100:101], v[26:27], v[42:43] op_sel_hi:[0,1,1]
	v_mov_b32_e32 v26, v52
	s_delay_alu instid0(VALU_DEP_2) | instskip(SKIP_1) | instid1(VALU_DEP_2)
	v_pk_fma_f32 v[42:43], v[40:41], v[28:29], v[42:43] op_sel_hi:[0,1,1]
	v_mov_b32_e32 v29, v52
	v_pk_fma_f32 v[42:43], v[102:103], v[26:27], v[42:43] op_sel_hi:[0,1,1]
	v_mov_b32_e32 v26, v48
	s_delay_alu instid0(VALU_DEP_2) | instskip(SKIP_1) | instid1(VALU_DEP_2)
	v_pk_fma_f32 v[42:43], v[102:103], v[28:29], v[42:43] op_sel:[1,0,0]
	v_mov_b32_e32 v29, v48
	v_pk_fma_f32 v[42:43], v[104:105], v[26:27], v[42:43] op_sel_hi:[0,1,1]
	v_mov_b32_e32 v26, v76
	s_delay_alu instid0(VALU_DEP_2) | instskip(SKIP_1) | instid1(VALU_DEP_2)
	v_pk_fma_f32 v[42:43], v[44:45], v[28:29], v[42:43] op_sel_hi:[0,1,1]
	v_mov_b32_e32 v29, v76
	v_pk_fma_f32 v[42:43], v[16:17], v[26:27], v[42:43] op_sel_hi:[0,1,1]
	v_mov_b32_e32 v26, v72
	s_delay_alu instid0(VALU_DEP_2) | instskip(SKIP_1) | instid1(VALU_DEP_2)
	v_pk_fma_f32 v[42:43], v[16:17], v[28:29], v[42:43] op_sel:[1,0,0]
	v_mov_b32_e32 v29, v72
	v_pk_fma_f32 v[42:43], v[18:19], v[26:27], v[42:43] op_sel_hi:[0,1,1]
	v_mov_b32_e32 v26, v68
	s_delay_alu instid0(VALU_DEP_2) | instskip(SKIP_1) | instid1(VALU_DEP_2)
	v_pk_fma_f32 v[42:43], v[60:61], v[28:29], v[42:43] op_sel_hi:[0,1,1]
	v_mov_b32_e32 v29, v57
	v_pk_fma_f32 v[42:43], v[30:31], v[26:27], v[42:43] op_sel_hi:[0,1,1]
	v_mov_b32_e32 v26, v57
	s_delay_alu instid0(VALU_DEP_1) | instskip(SKIP_1) | instid1(VALU_DEP_2)
	v_pk_fma_f32 v[46:47], v[100:101], v[26:27], v[58:59] op_sel_hi:[0,1,1]
	v_mov_b32_e32 v26, v53
	v_pk_fma_f32 v[40:41], v[40:41], v[28:29], v[46:47] op_sel_hi:[0,1,1]
	v_mov_b32_e32 v29, v53
	s_delay_alu instid0(VALU_DEP_2) | instskip(SKIP_1) | instid1(VALU_DEP_2)
	v_pk_fma_f32 v[40:41], v[102:103], v[26:27], v[40:41] op_sel_hi:[0,1,1]
	v_mov_b32_e32 v26, v49
	v_pk_fma_f32 v[40:41], v[102:103], v[28:29], v[40:41] op_sel:[1,0,0]
	v_mov_b32_e32 v29, v49
	s_delay_alu instid0(VALU_DEP_2) | instskip(SKIP_1) | instid1(VALU_DEP_2)
	v_pk_fma_f32 v[40:41], v[104:105], v[26:27], v[40:41] op_sel_hi:[0,1,1]
	v_mov_b32_e32 v26, v77
	v_pk_fma_f32 v[40:41], v[44:45], v[28:29], v[40:41] op_sel_hi:[0,1,1]
	v_mov_b32_e32 v29, v77
	s_delay_alu instid0(VALU_DEP_2) | instskip(SKIP_1) | instid1(VALU_DEP_2)
	v_pk_fma_f32 v[40:41], v[16:17], v[26:27], v[40:41] op_sel_hi:[0,1,1]
	v_mov_b32_e32 v26, v73
	v_pk_fma_f32 v[16:17], v[16:17], v[28:29], v[40:41] op_sel:[1,0,0]
	v_mov_b32_e32 v29, v73
	s_delay_alu instid0(VALU_DEP_2) | instskip(SKIP_1) | instid1(VALU_DEP_2)
	v_pk_fma_f32 v[16:17], v[18:19], v[26:27], v[16:17] op_sel_hi:[0,1,1]
	v_mov_b32_e32 v26, v69
	v_pk_fma_f32 v[16:17], v[60:61], v[28:29], v[16:17] op_sel_hi:[0,1,1]
	v_mov_b32_e32 v29, v66
	s_delay_alu instid0(VALU_DEP_2) | instskip(NEXT) | instid1(VALU_DEP_2)
	v_pk_fma_f32 v[40:41], v[30:31], v[26:27], v[16:17] op_sel_hi:[0,1,1]
	v_pk_fma_f32 v[16:17], v[30:31], v[28:29], v[98:99] op_sel:[1,0,0]
	v_dual_mov_b32 v26, v62 :: v_dual_mov_b32 v29, v62
	s_delay_alu instid0(VALU_DEP_1) | instskip(SKIP_1) | instid1(VALU_DEP_2)
	v_pk_fma_f32 v[16:17], v[32:33], v[26:27], v[16:17] op_sel_hi:[0,1,1]
	v_mov_b32_e32 v26, v82
	v_pk_fma_f32 v[16:17], v[94:95], v[28:29], v[16:17] op_sel_hi:[0,1,1]
	v_mov_b32_e32 v29, v82
	s_delay_alu instid0(VALU_DEP_2) | instskip(SKIP_1) | instid1(VALU_DEP_2)
	v_pk_fma_f32 v[16:17], v[34:35], v[26:27], v[16:17] op_sel_hi:[0,1,1]
	v_mov_b32_e32 v26, v78
	v_pk_fma_f32 v[16:17], v[34:35], v[28:29], v[16:17] op_sel:[1,0,0]
	v_mov_b32_e32 v29, v78
	s_delay_alu instid0(VALU_DEP_2) | instskip(SKIP_1) | instid1(VALU_DEP_2)
	v_pk_fma_f32 v[16:17], v[36:37], v[26:27], v[16:17] op_sel_hi:[0,1,1]
	v_mov_b32_e32 v26, v86
	v_pk_fma_f32 v[16:17], v[96:97], v[28:29], v[16:17] op_sel_hi:[0,1,1]
	v_mov_b32_e32 v29, v86
	s_delay_alu instid0(VALU_DEP_2) | instskip(SKIP_2) | instid1(VALU_DEP_2)
	v_pk_fma_f32 v[16:17], v[90:91], v[26:27], v[16:17] op_sel_hi:[0,1,1]
	s_wait_loadcnt 0x0
	v_mov_b32_e32 v26, v20
	v_pk_fma_f32 v[16:17], v[90:91], v[28:29], v[16:17] op_sel:[1,0,0]
	v_mov_b32_e32 v29, v20
	s_delay_alu instid0(VALU_DEP_2) | instskip(SKIP_1) | instid1(VALU_DEP_2)
	v_pk_fma_f32 v[16:17], v[92:93], v[26:27], v[16:17] op_sel_hi:[0,1,1]
	v_mov_b32_e32 v26, v63
	v_pk_fma_f32 v[16:17], v[106:107], v[28:29], v[16:17] op_sel_hi:[0,1,1]
	v_mov_b32_e32 v29, v67
	s_delay_alu instid0(VALU_DEP_1) | instskip(SKIP_1) | instid1(VALU_DEP_2)
	v_pk_fma_f32 v[18:19], v[30:31], v[28:29], v[38:39] op_sel:[1,0,0]
	v_mov_b32_e32 v29, v63
	v_pk_fma_f32 v[18:19], v[32:33], v[26:27], v[18:19] op_sel_hi:[0,1,1]
	v_mov_b32_e32 v26, v83
	s_delay_alu instid0(VALU_DEP_2) | instskip(SKIP_1) | instid1(VALU_DEP_2)
	v_pk_fma_f32 v[18:19], v[94:95], v[28:29], v[18:19] op_sel_hi:[0,1,1]
	v_mov_b32_e32 v29, v83
	v_pk_fma_f32 v[18:19], v[34:35], v[26:27], v[18:19] op_sel_hi:[0,1,1]
	v_mov_b32_e32 v26, v79
	s_delay_alu instid0(VALU_DEP_2) | instskip(SKIP_1) | instid1(VALU_DEP_2)
	v_pk_fma_f32 v[18:19], v[34:35], v[28:29], v[18:19] op_sel:[1,0,0]
	v_mov_b32_e32 v29, v79
	v_pk_fma_f32 v[18:19], v[36:37], v[26:27], v[18:19] op_sel_hi:[0,1,1]
	v_mov_b32_e32 v26, v87
	s_delay_alu instid0(VALU_DEP_2) | instskip(SKIP_1) | instid1(VALU_DEP_2)
	v_pk_fma_f32 v[18:19], v[96:97], v[28:29], v[18:19] op_sel_hi:[0,1,1]
	v_mov_b32_e32 v29, v87
	v_pk_fma_f32 v[18:19], v[90:91], v[26:27], v[18:19] op_sel_hi:[0,1,1]
	v_mov_b32_e32 v26, v21
	s_delay_alu instid0(VALU_DEP_2) | instskip(SKIP_1) | instid1(VALU_DEP_2)
	v_pk_fma_f32 v[18:19], v[90:91], v[28:29], v[18:19] op_sel:[1,0,0]
	v_mov_b32_e32 v29, v21
	v_pk_fma_f32 v[18:19], v[92:93], v[26:27], v[18:19] op_sel_hi:[0,1,1]
	v_mov_b32_e32 v26, v64
	s_delay_alu instid0(VALU_DEP_2) | instskip(SKIP_1) | instid1(VALU_DEP_1)
	v_pk_fma_f32 v[20:21], v[106:107], v[28:29], v[18:19] op_sel_hi:[0,1,1]
	v_mov_b32_e32 v29, v68
	v_pk_fma_f32 v[18:19], v[30:31], v[28:29], v[42:43] op_sel:[1,0,0]
	v_mov_b32_e32 v29, v64
	s_delay_alu instid0(VALU_DEP_2) | instskip(SKIP_1) | instid1(VALU_DEP_2)
	v_pk_fma_f32 v[18:19], v[32:33], v[26:27], v[18:19] op_sel_hi:[0,1,1]
	v_mov_b32_e32 v26, v84
	v_pk_fma_f32 v[18:19], v[94:95], v[28:29], v[18:19] op_sel_hi:[0,1,1]
	v_mov_b32_e32 v29, v84
	s_delay_alu instid0(VALU_DEP_2) | instskip(SKIP_1) | instid1(VALU_DEP_2)
	v_pk_fma_f32 v[18:19], v[34:35], v[26:27], v[18:19] op_sel_hi:[0,1,1]
	v_mov_b32_e32 v26, v80
	v_pk_fma_f32 v[18:19], v[34:35], v[28:29], v[18:19] op_sel:[1,0,0]
	v_mov_b32_e32 v29, v80
	s_delay_alu instid0(VALU_DEP_2) | instskip(SKIP_1) | instid1(VALU_DEP_2)
	v_pk_fma_f32 v[18:19], v[36:37], v[26:27], v[18:19] op_sel_hi:[0,1,1]
	v_mov_b32_e32 v26, v88
	v_pk_fma_f32 v[18:19], v[96:97], v[28:29], v[18:19] op_sel_hi:[0,1,1]
	v_mov_b32_e32 v29, v88
	s_delay_alu instid0(VALU_DEP_2) | instskip(SKIP_1) | instid1(VALU_DEP_2)
	v_pk_fma_f32 v[18:19], v[90:91], v[26:27], v[18:19] op_sel_hi:[0,1,1]
	v_mov_b32_e32 v26, v22
	v_pk_fma_f32 v[18:19], v[90:91], v[28:29], v[18:19] op_sel:[1,0,0]
	v_mov_b32_e32 v29, v22
	s_delay_alu instid0(VALU_DEP_2) | instskip(SKIP_1) | instid1(VALU_DEP_2)
	v_pk_fma_f32 v[18:19], v[92:93], v[26:27], v[18:19] op_sel_hi:[0,1,1]
	v_mov_b32_e32 v26, v65
	v_pk_fma_f32 v[18:19], v[106:107], v[28:29], v[18:19] op_sel_hi:[0,1,1]
	v_mov_b32_e32 v29, v69
	s_delay_alu instid0(VALU_DEP_1) | instskip(SKIP_1) | instid1(VALU_DEP_2)
	v_pk_fma_f32 v[30:31], v[30:31], v[28:29], v[40:41] op_sel:[1,0,0]
	v_mov_b32_e32 v29, v65
	v_pk_fma_f32 v[30:31], v[32:33], v[26:27], v[30:31] op_sel_hi:[0,1,1]
	v_mov_b32_e32 v26, v85
	s_delay_alu instid0(VALU_DEP_2) | instskip(SKIP_1) | instid1(VALU_DEP_2)
	v_pk_fma_f32 v[30:31], v[94:95], v[28:29], v[30:31] op_sel_hi:[0,1,1]
	v_mov_b32_e32 v29, v85
	v_pk_fma_f32 v[30:31], v[34:35], v[26:27], v[30:31] op_sel_hi:[0,1,1]
	v_mov_b32_e32 v26, v81
	s_delay_alu instid0(VALU_DEP_2) | instskip(SKIP_1) | instid1(VALU_DEP_2)
	v_pk_fma_f32 v[30:31], v[34:35], v[28:29], v[30:31] op_sel:[1,0,0]
	v_mov_b32_e32 v29, v81
	v_pk_fma_f32 v[30:31], v[36:37], v[26:27], v[30:31] op_sel_hi:[0,1,1]
	v_mov_b32_e32 v26, v89
	s_delay_alu instid0(VALU_DEP_2) | instskip(SKIP_1) | instid1(VALU_DEP_2)
	v_pk_fma_f32 v[30:31], v[96:97], v[28:29], v[30:31] op_sel_hi:[0,1,1]
	v_mov_b32_e32 v29, v89
	v_pk_fma_f32 v[30:31], v[90:91], v[26:27], v[30:31] op_sel_hi:[0,1,1]
	v_mov_b32_e32 v26, v23
	s_delay_alu instid0(VALU_DEP_2) | instskip(SKIP_1) | instid1(VALU_DEP_2)
	v_pk_fma_f32 v[30:31], v[90:91], v[28:29], v[30:31] op_sel:[1,0,0]
	v_mov_b32_e32 v29, v23
	v_pk_fma_f32 v[22:23], v[92:93], v[26:27], v[30:31] op_sel_hi:[0,1,1]
	s_delay_alu instid0(VALU_DEP_1)
	v_pk_fma_f32 v[22:23], v[106:107], v[28:29], v[22:23] op_sel_hi:[0,1,1]
	s_and_not1_b32 exec_lo, exec_lo, s7
	s_cbranch_execnz .LBB131_31
; %bb.32:
	s_or_b32 exec_lo, exec_lo, s7
.LBB131_33:
	s_delay_alu instid0(SALU_CYCLE_1)
	s_or_b32 exec_lo, exec_lo, s3
.LBB131_34:
	s_delay_alu instid0(SALU_CYCLE_1)
	s_or_b32 exec_lo, exec_lo, s6
.LBB131_35:
	v_mbcnt_lo_u32_b32 v1, -1, 0
	s_delay_alu instid0(VALU_DEP_1) | instskip(SKIP_1) | instid1(VALU_DEP_1)
	v_xor_b32_e32 v24, 2, v1
	v_xor_b32_e32 v8, 4, v1
	v_cmp_gt_i32_e32 vcc_lo, 32, v8
	v_cndmask_b32_e32 v8, v1, v8, vcc_lo
	s_delay_alu instid0(VALU_DEP_1)
	v_lshlrev_b32_e32 v8, 2, v8
	ds_bpermute_b32 v10, v8, v17
	s_wait_dscnt 0x0
	v_add_f32_e32 v10, v17, v10
	ds_bpermute_b32 v11, v8, v20
	ds_bpermute_b32 v9, v8, v16
	;; [unrolled: 1-line block ×7, first 2 shown]
	s_wait_dscnt 0x6
	v_add_f32_e32 v11, v20, v11
	v_cmp_gt_i32_e32 vcc_lo, 32, v24
	s_wait_dscnt 0x4
	v_dual_add_f32 v9, v16, v9 :: v_dual_add_f32 v12, v21, v12
	s_wait_dscnt 0x1
	v_dual_add_f32 v14, v19, v14 :: v_dual_add_f32 v15, v22, v15
	s_wait_dscnt 0x0
	v_add_f32_e32 v16, v23, v8
	v_dual_cndmask_b32 v24, v1, v24 :: v_dual_add_f32 v13, v18, v13
	s_delay_alu instid0(VALU_DEP_1)
	v_lshlrev_b32_e32 v24, 2, v24
	ds_bpermute_b32 v8, v24, v9
	ds_bpermute_b32 v17, v24, v10
	;; [unrolled: 1-line block ×8, first 2 shown]
	s_wait_dscnt 0x7
	v_dual_add_f32 v8, v9, v8 :: v_dual_bitop2_b32 v24, 1, v1 bitop3:0x14
	s_delay_alu instid0(VALU_DEP_1)
	v_cmp_gt_i32_e32 vcc_lo, 32, v24
	s_wait_dscnt 0x5
	v_dual_add_f32 v9, v10, v17 :: v_dual_add_f32 v10, v11, v18
	s_wait_dscnt 0x3
	v_dual_add_f32 v11, v12, v19 :: v_dual_add_f32 v12, v13, v20
	s_wait_dscnt 0x2
	v_dual_cndmask_b32 v1, v1, v24, vcc_lo :: v_dual_add_f32 v13, v14, v21
	s_wait_dscnt 0x1
	v_add_f32_e32 v15, v15, v22
	v_cmp_eq_u32_e32 vcc_lo, 7, v0
	s_wait_dscnt 0x0
	v_dual_add_f32 v1, v16, v23 :: v_dual_lshlrev_b32 v24, 2, v1
	ds_bpermute_b32 v14, v24, v8
	ds_bpermute_b32 v17, v24, v9
	;; [unrolled: 1-line block ×8, first 2 shown]
	s_and_b32 exec_lo, exec_lo, vcc_lo
	s_cbranch_execz .LBB131_6
; %bb.36:
	s_load_b64 s[0:1], s[0:1], 0x58
	s_wait_dscnt 0x6
	v_dual_add_f32 v0, v8, v14 :: v_dual_add_f32 v20, v9, v17
	s_wait_dscnt 0x4
	v_dual_add_f32 v8, v10, v18 :: v_dual_add_f32 v18, v11, v19
	;; [unrolled: 2-line block ×3, first 2 shown]
	s_wait_dscnt 0x1
	v_add_f32_e32 v12, v15, v23
	v_cmp_eq_f32_e32 vcc_lo, 0, v4
	v_lshlrev_b64_e32 v[22:23], 5, v[6:7]
	s_wait_dscnt 0x0
	v_add_f32_e32 v6, v1, v16
	v_xor_b32_e32 v16, 0x80000000, v3
	s_xor_b32 s2, s2, -1
	s_delay_alu instid0(SALU_CYCLE_1) | instskip(NEXT) | instid1(SALU_CYCLE_1)
	s_and_b32 s2, vcc_lo, s2
	s_and_saveexec_b32 s3, s2
	s_delay_alu instid0(SALU_CYCLE_1)
	s_xor_b32 s2, exec_lo, s3
	s_cbranch_execz .LBB131_38
; %bb.37:
	v_mov_b32_e32 v17, v2
	s_delay_alu instid0(VALU_DEP_1)
	v_pk_mul_f32 v[4:5], v[20:21], v[16:17] op_sel_hi:[0,1]
	v_pk_mul_f32 v[18:19], v[18:19], v[16:17] op_sel_hi:[0,1]
	;; [unrolled: 1-line block ×4, first 2 shown]
	s_wait_kmcnt 0x0
	v_add_nc_u64_e32 v[20:21], s[0:1], v[22:23]
	v_pk_fma_f32 v[4:5], v[2:3], v[0:1], v[4:5] op_sel_hi:[1,0,1]
	v_pk_fma_f32 v[6:7], v[2:3], v[8:9], v[18:19] op_sel_hi:[1,0,1]
	;; [unrolled: 1-line block ×4, first 2 shown]
                                        ; implicit-def: $vgpr8
                                        ; implicit-def: $vgpr18
                                        ; implicit-def: $vgpr10
                                        ; implicit-def: $vgpr14
                                        ; implicit-def: $vgpr12
                                        ; implicit-def: $vgpr16
                                        ; implicit-def: $vgpr22_vgpr23
	s_clause 0x1
	global_store_b128 v[20:21], v[4:7], off
	global_store_b128 v[20:21], v[0:3], off offset:16
                                        ; implicit-def: $vgpr0
                                        ; implicit-def: $vgpr20
                                        ; implicit-def: $vgpr6
                                        ; implicit-def: $vgpr2_vgpr3
                                        ; implicit-def: $vgpr4_vgpr5
.LBB131_38:
	s_wait_xcnt 0x0
	s_and_not1_saveexec_b32 s2, s2
	s_cbranch_execz .LBB131_6
; %bb.39:
	s_wait_kmcnt 0x0
	v_add_nc_u64_e32 v[30:31], s[0:1], v[22:23]
	v_dual_mov_b32 v17, v2 :: v_dual_mov_b32 v33, v4
	v_xor_b32_e32 v32, 0x80000000, v5
	s_clause 0x1
	global_load_b128 v[22:25], v[30:31], off
	global_load_b128 v[26:29], v[30:31], off offset:16
	v_pk_mul_f32 v[20:21], v[20:21], v[16:17] op_sel_hi:[0,1]
	v_pk_mul_f32 v[18:19], v[18:19], v[16:17] op_sel_hi:[0,1]
	;; [unrolled: 1-line block ×4, first 2 shown]
	s_delay_alu instid0(VALU_DEP_4) | instskip(NEXT) | instid1(VALU_DEP_4)
	v_pk_fma_f32 v[0:1], v[2:3], v[0:1], v[20:21] op_sel_hi:[1,0,1]
	v_pk_fma_f32 v[8:9], v[2:3], v[8:9], v[18:19] op_sel_hi:[1,0,1]
	s_delay_alu instid0(VALU_DEP_4) | instskip(NEXT) | instid1(VALU_DEP_4)
	v_pk_fma_f32 v[10:11], v[2:3], v[10:11], v[14:15] op_sel_hi:[1,0,1]
	v_pk_fma_f32 v[2:3], v[2:3], v[12:13], v[6:7] op_sel_hi:[1,0,1]
	s_wait_loadcnt 0x1
	v_pk_fma_f32 v[0:1], v[4:5], v[22:23], v[0:1] op_sel_hi:[1,0,1]
	v_pk_fma_f32 v[6:7], v[4:5], v[24:25], v[8:9] op_sel_hi:[1,0,1]
	s_wait_loadcnt 0x0
	v_dual_mov_b32 v8, v25 :: v_dual_mov_b32 v14, v29
	v_pk_fma_f32 v[10:11], v[4:5], v[26:27], v[10:11] op_sel_hi:[1,0,1]
	v_pk_fma_f32 v[12:13], v[4:5], v[28:29], v[2:3] op_sel_hi:[1,0,1]
	v_pk_fma_f32 v[0:1], v[32:33], v[22:23], v[0:1] op_sel:[0,1,0]
	s_delay_alu instid0(VALU_DEP_4) | instskip(NEXT) | instid1(VALU_DEP_4)
	v_pk_fma_f32 v[2:3], v[32:33], v[8:9], v[6:7] op_sel_hi:[1,0,1]
	v_pk_fma_f32 v[4:5], v[32:33], v[26:27], v[10:11] op_sel:[0,1,0]
	s_delay_alu instid0(VALU_DEP_4)
	v_pk_fma_f32 v[6:7], v[32:33], v[14:15], v[12:13] op_sel_hi:[1,0,1]
	s_clause 0x1
	global_store_b128 v[30:31], v[0:3], off
	global_store_b128 v[30:31], v[4:7], off offset:16
	s_sendmsg sendmsg(MSG_DEALLOC_VGPRS)
	s_endpgm
	.section	.rodata,"a",@progbits
	.p2align	6, 0x0
	.amdhsa_kernel _ZN9rocsparseL18bsrxmvn_4x4_kernelILj128ELj8E21rocsparse_complex_numIfEllfS2_S2_EEvT3_20rocsparse_direction_NS_24const_host_device_scalarIT1_EES3_PKS3_PKT2_SC_S9_PKT4_PKT5_S7_PT6_21rocsparse_index_base_b
		.amdhsa_group_segment_fixed_size 0
		.amdhsa_private_segment_fixed_size 0
		.amdhsa_kernarg_size 104
		.amdhsa_user_sgpr_count 2
		.amdhsa_user_sgpr_dispatch_ptr 0
		.amdhsa_user_sgpr_queue_ptr 0
		.amdhsa_user_sgpr_kernarg_segment_ptr 1
		.amdhsa_user_sgpr_dispatch_id 0
		.amdhsa_user_sgpr_kernarg_preload_length 0
		.amdhsa_user_sgpr_kernarg_preload_offset 0
		.amdhsa_user_sgpr_private_segment_size 0
		.amdhsa_wavefront_size32 1
		.amdhsa_uses_dynamic_stack 0
		.amdhsa_enable_private_segment 0
		.amdhsa_system_sgpr_workgroup_id_x 1
		.amdhsa_system_sgpr_workgroup_id_y 0
		.amdhsa_system_sgpr_workgroup_id_z 0
		.amdhsa_system_sgpr_workgroup_info 0
		.amdhsa_system_vgpr_workitem_id 0
		.amdhsa_next_free_vgpr 126
		.amdhsa_next_free_sgpr 14
		.amdhsa_named_barrier_count 0
		.amdhsa_reserve_vcc 1
		.amdhsa_float_round_mode_32 0
		.amdhsa_float_round_mode_16_64 0
		.amdhsa_float_denorm_mode_32 3
		.amdhsa_float_denorm_mode_16_64 3
		.amdhsa_fp16_overflow 0
		.amdhsa_memory_ordered 1
		.amdhsa_forward_progress 1
		.amdhsa_inst_pref_size 64
		.amdhsa_round_robin_scheduling 0
		.amdhsa_exception_fp_ieee_invalid_op 0
		.amdhsa_exception_fp_denorm_src 0
		.amdhsa_exception_fp_ieee_div_zero 0
		.amdhsa_exception_fp_ieee_overflow 0
		.amdhsa_exception_fp_ieee_underflow 0
		.amdhsa_exception_fp_ieee_inexact 0
		.amdhsa_exception_int_div_zero 0
	.end_amdhsa_kernel
	.section	.text._ZN9rocsparseL18bsrxmvn_4x4_kernelILj128ELj8E21rocsparse_complex_numIfEllfS2_S2_EEvT3_20rocsparse_direction_NS_24const_host_device_scalarIT1_EES3_PKS3_PKT2_SC_S9_PKT4_PKT5_S7_PT6_21rocsparse_index_base_b,"axG",@progbits,_ZN9rocsparseL18bsrxmvn_4x4_kernelILj128ELj8E21rocsparse_complex_numIfEllfS2_S2_EEvT3_20rocsparse_direction_NS_24const_host_device_scalarIT1_EES3_PKS3_PKT2_SC_S9_PKT4_PKT5_S7_PT6_21rocsparse_index_base_b,comdat
.Lfunc_end131:
	.size	_ZN9rocsparseL18bsrxmvn_4x4_kernelILj128ELj8E21rocsparse_complex_numIfEllfS2_S2_EEvT3_20rocsparse_direction_NS_24const_host_device_scalarIT1_EES3_PKS3_PKT2_SC_S9_PKT4_PKT5_S7_PT6_21rocsparse_index_base_b, .Lfunc_end131-_ZN9rocsparseL18bsrxmvn_4x4_kernelILj128ELj8E21rocsparse_complex_numIfEllfS2_S2_EEvT3_20rocsparse_direction_NS_24const_host_device_scalarIT1_EES3_PKS3_PKT2_SC_S9_PKT4_PKT5_S7_PT6_21rocsparse_index_base_b
                                        ; -- End function
	.set _ZN9rocsparseL18bsrxmvn_4x4_kernelILj128ELj8E21rocsparse_complex_numIfEllfS2_S2_EEvT3_20rocsparse_direction_NS_24const_host_device_scalarIT1_EES3_PKS3_PKT2_SC_S9_PKT4_PKT5_S7_PT6_21rocsparse_index_base_b.num_vgpr, 126
	.set _ZN9rocsparseL18bsrxmvn_4x4_kernelILj128ELj8E21rocsparse_complex_numIfEllfS2_S2_EEvT3_20rocsparse_direction_NS_24const_host_device_scalarIT1_EES3_PKS3_PKT2_SC_S9_PKT4_PKT5_S7_PT6_21rocsparse_index_base_b.num_agpr, 0
	.set _ZN9rocsparseL18bsrxmvn_4x4_kernelILj128ELj8E21rocsparse_complex_numIfEllfS2_S2_EEvT3_20rocsparse_direction_NS_24const_host_device_scalarIT1_EES3_PKS3_PKT2_SC_S9_PKT4_PKT5_S7_PT6_21rocsparse_index_base_b.numbered_sgpr, 14
	.set _ZN9rocsparseL18bsrxmvn_4x4_kernelILj128ELj8E21rocsparse_complex_numIfEllfS2_S2_EEvT3_20rocsparse_direction_NS_24const_host_device_scalarIT1_EES3_PKS3_PKT2_SC_S9_PKT4_PKT5_S7_PT6_21rocsparse_index_base_b.num_named_barrier, 0
	.set _ZN9rocsparseL18bsrxmvn_4x4_kernelILj128ELj8E21rocsparse_complex_numIfEllfS2_S2_EEvT3_20rocsparse_direction_NS_24const_host_device_scalarIT1_EES3_PKS3_PKT2_SC_S9_PKT4_PKT5_S7_PT6_21rocsparse_index_base_b.private_seg_size, 0
	.set _ZN9rocsparseL18bsrxmvn_4x4_kernelILj128ELj8E21rocsparse_complex_numIfEllfS2_S2_EEvT3_20rocsparse_direction_NS_24const_host_device_scalarIT1_EES3_PKS3_PKT2_SC_S9_PKT4_PKT5_S7_PT6_21rocsparse_index_base_b.uses_vcc, 1
	.set _ZN9rocsparseL18bsrxmvn_4x4_kernelILj128ELj8E21rocsparse_complex_numIfEllfS2_S2_EEvT3_20rocsparse_direction_NS_24const_host_device_scalarIT1_EES3_PKS3_PKT2_SC_S9_PKT4_PKT5_S7_PT6_21rocsparse_index_base_b.uses_flat_scratch, 1
	.set _ZN9rocsparseL18bsrxmvn_4x4_kernelILj128ELj8E21rocsparse_complex_numIfEllfS2_S2_EEvT3_20rocsparse_direction_NS_24const_host_device_scalarIT1_EES3_PKS3_PKT2_SC_S9_PKT4_PKT5_S7_PT6_21rocsparse_index_base_b.has_dyn_sized_stack, 0
	.set _ZN9rocsparseL18bsrxmvn_4x4_kernelILj128ELj8E21rocsparse_complex_numIfEllfS2_S2_EEvT3_20rocsparse_direction_NS_24const_host_device_scalarIT1_EES3_PKS3_PKT2_SC_S9_PKT4_PKT5_S7_PT6_21rocsparse_index_base_b.has_recursion, 0
	.set _ZN9rocsparseL18bsrxmvn_4x4_kernelILj128ELj8E21rocsparse_complex_numIfEllfS2_S2_EEvT3_20rocsparse_direction_NS_24const_host_device_scalarIT1_EES3_PKS3_PKT2_SC_S9_PKT4_PKT5_S7_PT6_21rocsparse_index_base_b.has_indirect_call, 0
	.section	.AMDGPU.csdata,"",@progbits
; Kernel info:
; codeLenInByte = 8108
; TotalNumSgprs: 16
; NumVgprs: 126
; ScratchSize: 0
; MemoryBound: 0
; FloatMode: 240
; IeeeMode: 1
; LDSByteSize: 0 bytes/workgroup (compile time only)
; SGPRBlocks: 0
; VGPRBlocks: 7
; NumSGPRsForWavesPerEU: 16
; NumVGPRsForWavesPerEU: 126
; NamedBarCnt: 0
; Occupancy: 8
; WaveLimiterHint : 1
; COMPUTE_PGM_RSRC2:SCRATCH_EN: 0
; COMPUTE_PGM_RSRC2:USER_SGPR: 2
; COMPUTE_PGM_RSRC2:TRAP_HANDLER: 0
; COMPUTE_PGM_RSRC2:TGID_X_EN: 1
; COMPUTE_PGM_RSRC2:TGID_Y_EN: 0
; COMPUTE_PGM_RSRC2:TGID_Z_EN: 0
; COMPUTE_PGM_RSRC2:TIDIG_COMP_CNT: 0
	.section	.text._ZN9rocsparseL18bsrxmvn_4x4_kernelILj128ELj16E21rocsparse_complex_numIfEllfS2_S2_EEvT3_20rocsparse_direction_NS_24const_host_device_scalarIT1_EES3_PKS3_PKT2_SC_S9_PKT4_PKT5_S7_PT6_21rocsparse_index_base_b,"axG",@progbits,_ZN9rocsparseL18bsrxmvn_4x4_kernelILj128ELj16E21rocsparse_complex_numIfEllfS2_S2_EEvT3_20rocsparse_direction_NS_24const_host_device_scalarIT1_EES3_PKS3_PKT2_SC_S9_PKT4_PKT5_S7_PT6_21rocsparse_index_base_b,comdat
	.globl	_ZN9rocsparseL18bsrxmvn_4x4_kernelILj128ELj16E21rocsparse_complex_numIfEllfS2_S2_EEvT3_20rocsparse_direction_NS_24const_host_device_scalarIT1_EES3_PKS3_PKT2_SC_S9_PKT4_PKT5_S7_PT6_21rocsparse_index_base_b ; -- Begin function _ZN9rocsparseL18bsrxmvn_4x4_kernelILj128ELj16E21rocsparse_complex_numIfEllfS2_S2_EEvT3_20rocsparse_direction_NS_24const_host_device_scalarIT1_EES3_PKS3_PKT2_SC_S9_PKT4_PKT5_S7_PT6_21rocsparse_index_base_b
	.p2align	8
	.type	_ZN9rocsparseL18bsrxmvn_4x4_kernelILj128ELj16E21rocsparse_complex_numIfEllfS2_S2_EEvT3_20rocsparse_direction_NS_24const_host_device_scalarIT1_EES3_PKS3_PKT2_SC_S9_PKT4_PKT5_S7_PT6_21rocsparse_index_base_b,@function
_ZN9rocsparseL18bsrxmvn_4x4_kernelILj128ELj16E21rocsparse_complex_numIfEllfS2_S2_EEvT3_20rocsparse_direction_NS_24const_host_device_scalarIT1_EES3_PKS3_PKT2_SC_S9_PKT4_PKT5_S7_PT6_21rocsparse_index_base_b: ; @_ZN9rocsparseL18bsrxmvn_4x4_kernelILj128ELj16E21rocsparse_complex_numIfEllfS2_S2_EEvT3_20rocsparse_direction_NS_24const_host_device_scalarIT1_EES3_PKS3_PKT2_SC_S9_PKT4_PKT5_S7_PT6_21rocsparse_index_base_b
; %bb.0:
	s_clause 0x2
	s_load_b64 s[8:9], s[0:1], 0x60
	s_load_b128 s[4:7], s[0:1], 0x10
	s_load_b64 s[2:3], s[0:1], 0x50
	v_mov_b32_e32 v11, 0
	s_add_nc_u64 s[10:11], s[0:1], 16
	s_add_nc_u64 s[12:13], s[0:1], 0x50
	s_wait_kmcnt 0x0
	s_bitcmp1_b32 s9, 0
	s_cselect_b32 s5, s11, s5
	s_cselect_b32 s4, s10, s4
	;; [unrolled: 1-line block ×4, first 2 shown]
	s_clause 0x1
	flat_load_b64 v[2:3], v11, s[4:5]
	flat_load_b64 v[4:5], v11, s[2:3]
	s_wait_loadcnt_dscnt 0x101
	v_cmp_neq_f32_e32 vcc_lo, 0, v2
	s_wait_xcnt 0x0
	v_cmp_neq_f32_e64 s3, 0, v3
	s_wait_loadcnt_dscnt 0x0
	v_cmp_neq_f32_e64 s4, 1.0, v4
	v_cmp_neq_f32_e64 s2, 0, v5
	s_or_b32 s5, vcc_lo, s3
	s_mov_b32 s3, 0
	s_or_b32 s4, s4, s2
	s_delay_alu instid0(SALU_CYCLE_1) | instskip(NEXT) | instid1(SALU_CYCLE_1)
	s_or_b32 s4, s5, s4
	s_and_saveexec_b32 s5, s4
	s_cbranch_execz .LBB132_6
; %bb.1:
	s_load_b64 s[4:5], s[0:1], 0x20
	s_bfe_u32 s9, ttmp6, 0x4000c
	s_and_b32 s10, ttmp6, 15
	s_add_co_i32 s9, s9, 1
	s_getreg_b32 s11, hwreg(HW_REG_IB_STS2, 6, 4)
	s_mul_i32 s9, ttmp9, s9
	v_lshrrev_b32_e32 v1, 4, v0
	s_add_co_i32 s10, s10, s9
	s_cmp_eq_u32 s11, 0
	s_cselect_b32 s9, ttmp9, s10
	s_delay_alu instid0(VALU_DEP_1) | instid1(SALU_CYCLE_1)
	v_lshl_or_b32 v10, s9, 3, v1
	s_wait_kmcnt 0x0
	s_cmp_lg_u64 s[4:5], 0
	s_cbranch_scc0 .LBB132_7
; %bb.2:
	s_delay_alu instid0(VALU_DEP_1) | instskip(SKIP_2) | instid1(SALU_CYCLE_1)
	v_cmp_gt_i64_e32 vcc_lo, s[6:7], v[10:11]
	s_mov_b32 s6, 0
                                        ; implicit-def: $vgpr6_vgpr7
                                        ; implicit-def: $vgpr8_vgpr9
	s_and_saveexec_b32 s7, vcc_lo
	s_xor_b32 s7, exec_lo, s7
	s_cbranch_execz .LBB132_4
; %bb.3:
	v_lshl_add_u64 v[6:7], v[10:11], 3, s[4:5]
	s_mov_b32 s9, 0
	s_mov_b32 s3, exec_lo
	v_mov_b64_e32 v[8:9], s[8:9]
	global_load_b64 v[6:7], v[6:7], off
	s_wait_loadcnt 0x0
	v_sub_nc_u64_e64 v[6:7], v[6:7], s[8:9]
.LBB132_4:
	s_or_b32 exec_lo, exec_lo, s7
	s_delay_alu instid0(SALU_CYCLE_1)
	s_and_b32 vcc_lo, exec_lo, s6
	s_cbranch_vccnz .LBB132_8
.LBB132_5:
	s_and_b32 exec_lo, exec_lo, s3
	s_cbranch_execnz .LBB132_11
.LBB132_6:
	s_sendmsg sendmsg(MSG_DEALLOC_VGPRS)
	s_endpgm
.LBB132_7:
                                        ; implicit-def: $vgpr6_vgpr7
                                        ; implicit-def: $vgpr8_vgpr9
	s_cbranch_execz .LBB132_5
.LBB132_8:
	s_load_b64 s[4:5], s[0:1], 0x0
	s_wait_kmcnt 0x0
	v_cmp_gt_i64_e32 vcc_lo, s[4:5], v[10:11]
	s_and_saveexec_b32 s4, vcc_lo
; %bb.9:
	s_mov_b32 s9, 0
	s_or_b32 s3, s3, exec_lo
; %bb.10:
	s_or_b32 exec_lo, exec_lo, s4
	v_mov_b64_e32 v[8:9], s[8:9]
	v_mov_b64_e32 v[6:7], v[10:11]
	s_and_b32 exec_lo, exec_lo, s3
	s_cbranch_execz .LBB132_6
.LBB132_11:
	s_load_b256 s[4:11], s[0:1], 0x28
	s_delay_alu instid0(VALU_DEP_1) | instskip(SKIP_2) | instid1(VALU_DEP_2)
	v_lshlrev_b64_e32 v[10:11], 3, v[6:7]
	v_dual_mov_b32 v1, 0 :: v_dual_bitop2_b32 v0, 15, v0 bitop3:0x40
	s_wait_kmcnt 0x0
	v_add_nc_u64_e32 v[12:13], s[4:5], v[10:11]
	v_add_nc_u64_e32 v[10:11], s[6:7], v[10:11]
	s_cmp_eq_u64 s[6:7], 0
	s_clause 0x1
	s_load_b32 s6, s[0:1], 0x8
	s_load_b64 s[4:5], s[0:1], 0x48
	s_cselect_b32 vcc_lo, -1, 0
	global_load_b64 v[24:25], v[12:13], off
	s_wait_xcnt 0x0
	v_add_nc_u64_e32 v[12:13], 8, v[12:13]
	s_delay_alu instid0(VALU_DEP_1)
	v_dual_cndmask_b32 v11, v11, v13 :: v_dual_cndmask_b32 v10, v10, v12
	global_load_b64 v[12:13], v[10:11], off
	s_wait_kmcnt 0x0
	s_cmp_eq_u32 s6, 1
	s_wait_loadcnt 0x1
	s_wait_xcnt 0x0
	v_sub_nc_u64_e32 v[10:11], v[24:25], v[8:9]
	s_delay_alu instid0(VALU_DEP_1) | instskip(SKIP_2) | instid1(VALU_DEP_2)
	v_add_nc_u64_e32 v[10:11], v[10:11], v[0:1]
	s_wait_loadcnt 0x0
	v_sub_nc_u64_e32 v[12:13], v[12:13], v[8:9]
	v_lshlrev_b64_e32 v[14:15], 6, v[10:11]
	s_delay_alu instid0(VALU_DEP_2) | instskip(NEXT) | instid1(VALU_DEP_2)
	v_cmp_lt_i64_e64 s3, v[10:11], v[12:13]
	v_add_nc_u64_e32 v[14:15], s[10:11], v[14:15]
	s_cbranch_scc1 .LBB132_23
; %bb.12:
	v_dual_mov_b32 v17, v1 :: v_dual_mov_b32 v16, v1
	v_dual_mov_b32 v21, v1 :: v_dual_mov_b32 v20, v1
	;; [unrolled: 1-line block ×4, first 2 shown]
	s_and_saveexec_b32 s6, s3
	s_cbranch_execz .LBB132_22
; %bb.13:
	v_dual_mov_b32 v17, v1 :: v_dual_bitop2_b32 v16, 16, v0 bitop3:0x54
	v_sub_nc_u64_e32 v[18:19], v[8:9], v[0:1]
	v_not_b32_e32 v21, v25
	v_not_b32_e32 v20, v24
	v_mov_b64_e32 v[26:27], v[14:15]
	v_sub_nc_u64_e32 v[16:17], v[16:17], v[8:9]
	v_mov_b64_e32 v[28:29], v[10:11]
	s_delay_alu instid0(VALU_DEP_4) | instskip(NEXT) | instid1(VALU_DEP_3)
	v_add_nc_u64_e32 v[18:19], v[18:19], v[20:21]
	v_add_nc_u64_e32 v[16:17], v[16:17], v[24:25]
	s_delay_alu instid0(VALU_DEP_1) | instskip(NEXT) | instid1(VALU_DEP_1)
	v_max_i64 v[16:17], v[16:17], v[12:13]
	v_add_nc_u64_e32 v[30:31], v[18:19], v[16:17]
	s_delay_alu instid0(VALU_DEP_1) | instskip(NEXT) | instid1(VALU_DEP_1)
	v_dual_mov_b32 v23, 0 :: v_dual_bitop2_b32 v22, 48, v30 bitop3:0x40
	v_dual_mov_b32 v18, v23 :: v_dual_mov_b32 v19, v23
	v_dual_mov_b32 v20, v23 :: v_dual_mov_b32 v21, v23
	s_delay_alu instid0(VALU_DEP_3)
	v_cmp_ne_u64_e32 vcc_lo, 48, v[22:23]
	v_dual_mov_b32 v16, v23 :: v_dual_mov_b32 v22, v23
	v_mov_b32_e32 v17, v23
	s_and_saveexec_b32 s7, vcc_lo
	s_cbranch_execz .LBB132_17
; %bb.14:
	v_dual_mov_b32 v33, 0 :: v_dual_lshrrev_b32 v16, 4, v30
	v_mov_b64_e32 v[28:29], v[10:11]
	v_mov_b64_e32 v[26:27], v[14:15]
	v_lshl_add_u64 v[34:35], v[10:11], 3, s[8:9]
	s_delay_alu instid0(VALU_DEP_4) | instskip(SKIP_2) | instid1(VALU_DEP_3)
	v_dual_add_nc_u32 v16, 1, v16 :: v_dual_mov_b32 v22, v33
	v_bfrev_b32_e32 v36, 1
	v_dual_mov_b32 v18, v33 :: v_dual_mov_b32 v19, v33
	v_dual_mov_b32 v23, v33 :: v_dual_bitop2_b32 v32, 3, v16 bitop3:0x40
	v_dual_mov_b32 v20, v33 :: v_dual_mov_b32 v21, v33
	v_dual_mov_b32 v16, v33 :: v_dual_mov_b32 v17, v33
	s_delay_alu instid0(VALU_DEP_3)
	v_sub_nc_u64_e32 v[38:39], 0, v[32:33]
	s_mov_b32 s10, 0
.LBB132_15:                             ; =>This Inner Loop Header: Depth=1
	global_load_b64 v[48:49], v[34:35], off
	s_clause 0x1
	global_load_b128 v[40:43], v[26:27], off offset:16
	global_load_b128 v[44:47], v[26:27], off
	v_add_nc_u64_e32 v[38:39], 1, v[38:39]
	v_add_nc_u64_e32 v[28:29], 16, v[28:29]
	s_wait_xcnt 0x2
	v_add_nc_u64_e32 v[34:35], 0x80, v[34:35]
	s_delay_alu instid0(VALU_DEP_3)
	v_cmp_eq_u64_e32 vcc_lo, 0, v[38:39]
	s_or_b32 s10, vcc_lo, s10
	s_wait_loadcnt 0x2
	v_sub_nc_u64_e32 v[48:49], v[48:49], v[8:9]
	s_wait_loadcnt 0x0
	v_dual_mov_b32 v32, v44 :: v_dual_mov_b32 v37, v44
	s_delay_alu instid0(VALU_DEP_2) | instskip(NEXT) | instid1(VALU_DEP_1)
	v_lshlrev_b64_e32 v[48:49], 5, v[48:49]
	v_add_nc_u64_e32 v[64:65], s[4:5], v[48:49]
	s_clause 0x1
	global_load_b128 v[48:51], v[64:65], off
	global_load_b128 v[52:55], v[64:65], off offset:16
	s_clause 0x1
	global_load_b128 v[56:59], v[26:27], off offset:32
	global_load_b128 v[60:63], v[26:27], off offset:48
	s_wait_xcnt 0x0
	v_add_nc_u64_e32 v[26:27], 0x400, v[26:27]
	s_wait_loadcnt 0x3
	v_pk_fma_f32 v[16:17], v[48:49], v[32:33], v[16:17] op_sel_hi:[0,1,1]
	v_dual_mov_b32 v32, v45 :: v_dual_mov_b32 v44, v51
	s_wait_loadcnt 0x2
	v_mov_b32_e32 v64, v55
	s_delay_alu instid0(VALU_DEP_3) | instskip(SKIP_1) | instid1(VALU_DEP_2)
	v_pk_fma_f32 v[16:17], v[48:49], v[36:37], v[16:17] op_sel:[1,0,0]
	v_mov_b32_e32 v37, v45
	v_pk_fma_f32 v[16:17], v[50:51], v[32:33], v[16:17] op_sel_hi:[0,1,1]
	v_mov_b32_e32 v32, v46
	s_delay_alu instid0(VALU_DEP_2) | instskip(SKIP_1) | instid1(VALU_DEP_2)
	v_pk_fma_f32 v[16:17], v[44:45], v[36:37], v[16:17] op_sel_hi:[0,1,1]
	v_mov_b32_e32 v37, v46
	v_pk_fma_f32 v[16:17], v[52:53], v[32:33], v[16:17] op_sel_hi:[0,1,1]
	v_mov_b32_e32 v32, v47
	s_delay_alu instid0(VALU_DEP_2) | instskip(SKIP_1) | instid1(VALU_DEP_2)
	v_pk_fma_f32 v[16:17], v[52:53], v[36:37], v[16:17] op_sel:[1,0,0]
	v_mov_b32_e32 v37, v47
	v_pk_fma_f32 v[16:17], v[54:55], v[32:33], v[16:17] op_sel_hi:[0,1,1]
	v_mov_b32_e32 v32, v40
	s_delay_alu instid0(VALU_DEP_2) | instskip(SKIP_1) | instid1(VALU_DEP_3)
	v_pk_fma_f32 v[16:17], v[64:65], v[36:37], v[16:17] op_sel_hi:[0,1,1]
	v_mov_b32_e32 v37, v40
	v_pk_fma_f32 v[20:21], v[48:49], v[32:33], v[20:21] op_sel_hi:[0,1,1]
	v_mov_b32_e32 v32, v41
	s_delay_alu instid0(VALU_DEP_2) | instskip(SKIP_1) | instid1(VALU_DEP_2)
	v_pk_fma_f32 v[20:21], v[48:49], v[36:37], v[20:21] op_sel:[1,0,0]
	v_mov_b32_e32 v37, v41
	v_pk_fma_f32 v[20:21], v[50:51], v[32:33], v[20:21] op_sel_hi:[0,1,1]
	v_mov_b32_e32 v32, v42
	s_delay_alu instid0(VALU_DEP_2) | instskip(SKIP_1) | instid1(VALU_DEP_2)
	v_pk_fma_f32 v[20:21], v[44:45], v[36:37], v[20:21] op_sel_hi:[0,1,1]
	v_mov_b32_e32 v37, v42
	v_pk_fma_f32 v[20:21], v[52:53], v[32:33], v[20:21] op_sel_hi:[0,1,1]
	v_mov_b32_e32 v32, v43
	s_delay_alu instid0(VALU_DEP_2) | instskip(SKIP_1) | instid1(VALU_DEP_2)
	v_pk_fma_f32 v[20:21], v[52:53], v[36:37], v[20:21] op_sel:[1,0,0]
	v_mov_b32_e32 v37, v43
	v_pk_fma_f32 v[20:21], v[54:55], v[32:33], v[20:21] op_sel_hi:[0,1,1]
	s_wait_loadcnt 0x1
	v_mov_b32_e32 v32, v56
	s_delay_alu instid0(VALU_DEP_2) | instskip(SKIP_1) | instid1(VALU_DEP_3)
	v_pk_fma_f32 v[20:21], v[64:65], v[36:37], v[20:21] op_sel_hi:[0,1,1]
	v_mov_b32_e32 v37, v56
	v_pk_fma_f32 v[18:19], v[48:49], v[32:33], v[18:19] op_sel_hi:[0,1,1]
	v_mov_b32_e32 v32, v57
	s_delay_alu instid0(VALU_DEP_2) | instskip(SKIP_1) | instid1(VALU_DEP_2)
	v_pk_fma_f32 v[18:19], v[48:49], v[36:37], v[18:19] op_sel:[1,0,0]
	v_mov_b32_e32 v37, v57
	v_pk_fma_f32 v[18:19], v[50:51], v[32:33], v[18:19] op_sel_hi:[0,1,1]
	v_mov_b32_e32 v32, v58
	s_delay_alu instid0(VALU_DEP_2) | instskip(SKIP_1) | instid1(VALU_DEP_2)
	v_pk_fma_f32 v[18:19], v[44:45], v[36:37], v[18:19] op_sel_hi:[0,1,1]
	v_mov_b32_e32 v37, v58
	v_pk_fma_f32 v[18:19], v[52:53], v[32:33], v[18:19] op_sel_hi:[0,1,1]
	v_mov_b32_e32 v32, v59
	s_delay_alu instid0(VALU_DEP_2) | instskip(SKIP_1) | instid1(VALU_DEP_2)
	v_pk_fma_f32 v[18:19], v[52:53], v[36:37], v[18:19] op_sel:[1,0,0]
	v_mov_b32_e32 v37, v59
	v_pk_fma_f32 v[18:19], v[54:55], v[32:33], v[18:19] op_sel_hi:[0,1,1]
	s_wait_loadcnt 0x0
	v_mov_b32_e32 v32, v60
	s_delay_alu instid0(VALU_DEP_2) | instskip(SKIP_1) | instid1(VALU_DEP_3)
	v_pk_fma_f32 v[18:19], v[64:65], v[36:37], v[18:19] op_sel_hi:[0,1,1]
	v_mov_b32_e32 v37, v60
	v_pk_fma_f32 v[22:23], v[48:49], v[32:33], v[22:23] op_sel_hi:[0,1,1]
	v_mov_b32_e32 v32, v61
	s_delay_alu instid0(VALU_DEP_2) | instskip(SKIP_1) | instid1(VALU_DEP_2)
	v_pk_fma_f32 v[22:23], v[48:49], v[36:37], v[22:23] op_sel:[1,0,0]
	v_mov_b32_e32 v37, v61
	v_pk_fma_f32 v[22:23], v[50:51], v[32:33], v[22:23] op_sel_hi:[0,1,1]
	v_mov_b32_e32 v32, v62
	s_delay_alu instid0(VALU_DEP_2) | instskip(SKIP_1) | instid1(VALU_DEP_2)
	v_pk_fma_f32 v[22:23], v[44:45], v[36:37], v[22:23] op_sel_hi:[0,1,1]
	v_mov_b32_e32 v37, v62
	v_pk_fma_f32 v[22:23], v[52:53], v[32:33], v[22:23] op_sel_hi:[0,1,1]
	v_mov_b32_e32 v32, v63
	s_delay_alu instid0(VALU_DEP_2) | instskip(SKIP_1) | instid1(VALU_DEP_2)
	v_pk_fma_f32 v[22:23], v[52:53], v[36:37], v[22:23] op_sel:[1,0,0]
	v_mov_b32_e32 v37, v63
	v_pk_fma_f32 v[22:23], v[54:55], v[32:33], v[22:23] op_sel_hi:[0,1,1]
	s_delay_alu instid0(VALU_DEP_1)
	v_pk_fma_f32 v[22:23], v[64:65], v[36:37], v[22:23] op_sel_hi:[0,1,1]
	s_and_not1_b32 exec_lo, exec_lo, s10
	s_cbranch_execnz .LBB132_15
; %bb.16:
	s_or_b32 exec_lo, exec_lo, s10
.LBB132_17:
	s_delay_alu instid0(SALU_CYCLE_1) | instskip(NEXT) | instid1(SALU_CYCLE_1)
	s_or_b32 exec_lo, exec_lo, s7
	s_mov_b32 s7, exec_lo
	v_cmpx_lt_u64_e32 47, v[30:31]
	s_cbranch_execz .LBB132_21
; %bb.18:
	v_lshl_add_u64 v[30:31], v[28:29], 3, s[8:9]
	v_mov_b32_e32 v33, 0
	v_bfrev_b32_e32 v34, 1
	s_mov_b32 s10, 0
	s_delay_alu instid0(VALU_DEP_3)
	v_add_nc_u64_e32 v[30:31], 0x100, v[30:31]
.LBB132_19:                             ; =>This Inner Loop Header: Depth=1
	s_clause 0x3
	global_load_b64 v[52:53], v[30:31], off offset:-256
	global_load_b64 v[54:55], v[30:31], off offset:-128
	global_load_b64 v[92:93], v[30:31], off
	global_load_b64 v[94:95], v[30:31], off offset:128
	s_clause 0x3
	global_load_b128 v[36:39], v[26:27], off offset:1040
	global_load_b128 v[40:43], v[26:27], off offset:1024
	global_load_b128 v[44:47], v[26:27], off
	global_load_b128 v[48:51], v[26:27], off offset:16
	v_add_nc_u64_e32 v[28:29], 64, v[28:29]
	s_wait_xcnt 0x4
	v_add_nc_u64_e32 v[30:31], 0x200, v[30:31]
	s_delay_alu instid0(VALU_DEP_2)
	v_cmp_ge_i64_e32 vcc_lo, v[28:29], v[12:13]
	s_or_b32 s10, vcc_lo, s10
	s_wait_loadcnt 0x7
	v_sub_nc_u64_e32 v[52:53], v[52:53], v[8:9]
	s_wait_loadcnt 0x6
	v_sub_nc_u64_e32 v[54:55], v[54:55], v[8:9]
	;; [unrolled: 2-line block ×4, first 2 shown]
	s_wait_loadcnt 0x1
	v_dual_mov_b32 v32, v44 :: v_dual_mov_b32 v35, v44
	v_lshlrev_b64_e32 v[52:53], 5, v[52:53]
	v_lshlrev_b64_e32 v[54:55], 5, v[54:55]
	;; [unrolled: 1-line block ×4, first 2 shown]
	s_delay_alu instid0(VALU_DEP_4) | instskip(NEXT) | instid1(VALU_DEP_4)
	v_add_nc_u64_e32 v[96:97], s[4:5], v[52:53]
	v_add_nc_u64_e32 v[120:121], s[4:5], v[54:55]
	s_delay_alu instid0(VALU_DEP_4) | instskip(NEXT) | instid1(VALU_DEP_4)
	v_add_nc_u64_e32 v[122:123], s[4:5], v[92:93]
	v_add_nc_u64_e32 v[124:125], s[4:5], v[94:95]
	s_clause 0x2
	global_load_b128 v[52:55], v[96:97], off
	global_load_b128 v[56:59], v[96:97], off offset:16
	global_load_b128 v[60:63], v[120:121], off
	s_clause 0x6
	global_load_b128 v[64:67], v[26:27], off offset:32
	global_load_b128 v[68:71], v[26:27], off offset:48
	;; [unrolled: 1-line block ×7, first 2 shown]
	s_clause 0x4
	global_load_b128 v[92:95], v[120:121], off offset:16
	global_load_b128 v[96:99], v[122:123], off
	global_load_b128 v[100:103], v[122:123], off offset:16
	global_load_b128 v[104:107], v[124:125], off
	global_load_b128 v[108:111], v[124:125], off offset:16
	s_clause 0x1
	global_load_b128 v[112:115], v[26:27], off offset:3088
	global_load_b128 v[116:119], v[26:27], off offset:2080
	s_wait_loadcnt 0x10
	v_pk_fma_f32 v[16:17], v[52:53], v[32:33], v[16:17] op_sel_hi:[0,1,1]
	s_wait_xcnt 0x6
	v_dual_mov_b32 v32, v45 :: v_dual_mov_b32 v120, v55
	s_wait_loadcnt 0xf
	s_wait_xcnt 0x4
	v_mov_b32_e32 v122, v59
	v_pk_fma_f32 v[16:17], v[52:53], v[34:35], v[16:17] op_sel:[1,0,0]
	v_mov_b32_e32 v35, v45
	s_delay_alu instid0(VALU_DEP_2) | instskip(SKIP_1) | instid1(VALU_DEP_2)
	v_pk_fma_f32 v[16:17], v[54:55], v[32:33], v[16:17] op_sel_hi:[0,1,1]
	v_mov_b32_e32 v32, v46
	v_pk_fma_f32 v[16:17], v[120:121], v[34:35], v[16:17] op_sel_hi:[0,1,1]
	v_mov_b32_e32 v35, v46
	s_delay_alu instid0(VALU_DEP_2) | instskip(SKIP_1) | instid1(VALU_DEP_2)
	v_pk_fma_f32 v[16:17], v[56:57], v[32:33], v[16:17] op_sel_hi:[0,1,1]
	v_mov_b32_e32 v32, v47
	v_pk_fma_f32 v[16:17], v[56:57], v[34:35], v[16:17] op_sel:[1,0,0]
	v_mov_b32_e32 v35, v47
	global_load_b128 v[44:47], v[26:27], off offset:3104
	v_pk_fma_f32 v[16:17], v[58:59], v[32:33], v[16:17] op_sel_hi:[0,1,1]
	v_mov_b32_e32 v32, v40
	s_delay_alu instid0(VALU_DEP_2) | instskip(SKIP_2) | instid1(VALU_DEP_2)
	v_pk_fma_f32 v[16:17], v[122:123], v[34:35], v[16:17] op_sel_hi:[0,1,1]
	s_wait_loadcnt 0x7
	v_dual_mov_b32 v35, v40 :: v_dual_mov_b32 v40, v95
	v_pk_fma_f32 v[16:17], v[60:61], v[32:33], v[16:17] op_sel_hi:[0,1,1]
	v_mov_b32_e32 v32, v48
	s_delay_alu instid0(VALU_DEP_2) | instskip(SKIP_1) | instid1(VALU_DEP_3)
	v_pk_fma_f32 v[16:17], v[60:61], v[34:35], v[16:17] op_sel:[1,0,0]
	v_mov_b32_e32 v35, v48
	v_pk_fma_f32 v[20:21], v[52:53], v[32:33], v[20:21] op_sel_hi:[0,1,1]
	v_mov_b32_e32 v32, v49
	s_delay_alu instid0(VALU_DEP_2) | instskip(SKIP_1) | instid1(VALU_DEP_2)
	v_pk_fma_f32 v[20:21], v[52:53], v[34:35], v[20:21] op_sel:[1,0,0]
	v_mov_b32_e32 v35, v49
	v_pk_fma_f32 v[20:21], v[54:55], v[32:33], v[20:21] op_sel_hi:[0,1,1]
	v_mov_b32_e32 v32, v50
	s_delay_alu instid0(VALU_DEP_2) | instskip(SKIP_1) | instid1(VALU_DEP_2)
	v_pk_fma_f32 v[20:21], v[120:121], v[34:35], v[20:21] op_sel_hi:[0,1,1]
	v_mov_b32_e32 v35, v50
	v_pk_fma_f32 v[20:21], v[56:57], v[32:33], v[20:21] op_sel_hi:[0,1,1]
	v_mov_b32_e32 v32, v51
	s_delay_alu instid0(VALU_DEP_2) | instskip(SKIP_4) | instid1(VALU_DEP_2)
	v_pk_fma_f32 v[20:21], v[56:57], v[34:35], v[20:21] op_sel:[1,0,0]
	v_mov_b32_e32 v35, v51
	global_load_b128 v[48:51], v[26:27], off offset:2096
	v_pk_fma_f32 v[20:21], v[58:59], v[32:33], v[20:21] op_sel_hi:[0,1,1]
	v_mov_b32_e32 v32, v36
	v_pk_fma_f32 v[20:21], v[122:123], v[34:35], v[20:21] op_sel_hi:[0,1,1]
	v_dual_mov_b32 v35, v36 :: v_dual_mov_b32 v36, v63
	s_delay_alu instid0(VALU_DEP_2) | instskip(SKIP_1) | instid1(VALU_DEP_2)
	v_pk_fma_f32 v[20:21], v[60:61], v[32:33], v[20:21] op_sel_hi:[0,1,1]
	v_mov_b32_e32 v32, v64
	v_pk_fma_f32 v[20:21], v[60:61], v[34:35], v[20:21] op_sel:[1,0,0]
	v_mov_b32_e32 v35, v64
	s_delay_alu instid0(VALU_DEP_3) | instskip(SKIP_2) | instid1(VALU_DEP_2)
	v_pk_fma_f32 v[18:19], v[52:53], v[32:33], v[18:19] op_sel_hi:[0,1,1]
	s_wait_loadcnt 0x6
	v_dual_mov_b32 v32, v65 :: v_dual_mov_b32 v64, v103
	v_pk_fma_f32 v[18:19], v[52:53], v[34:35], v[18:19] op_sel:[1,0,0]
	v_mov_b32_e32 v35, v65
	s_delay_alu instid0(VALU_DEP_2) | instskip(SKIP_1) | instid1(VALU_DEP_2)
	v_pk_fma_f32 v[18:19], v[54:55], v[32:33], v[18:19] op_sel_hi:[0,1,1]
	v_mov_b32_e32 v32, v66
	v_pk_fma_f32 v[18:19], v[120:121], v[34:35], v[18:19] op_sel_hi:[0,1,1]
	s_wait_loadcnt 0x4
	v_dual_mov_b32 v35, v66 :: v_dual_mov_b32 v66, v111
	s_delay_alu instid0(VALU_DEP_2) | instskip(SKIP_1) | instid1(VALU_DEP_2)
	v_pk_fma_f32 v[18:19], v[56:57], v[32:33], v[18:19] op_sel_hi:[0,1,1]
	v_mov_b32_e32 v32, v67
	v_pk_fma_f32 v[18:19], v[56:57], v[34:35], v[18:19] op_sel:[1,0,0]
	v_mov_b32_e32 v35, v67
	s_delay_alu instid0(VALU_DEP_2) | instskip(SKIP_1) | instid1(VALU_DEP_2)
	v_pk_fma_f32 v[18:19], v[58:59], v[32:33], v[18:19] op_sel_hi:[0,1,1]
	v_mov_b32_e32 v32, v72
	v_pk_fma_f32 v[18:19], v[122:123], v[34:35], v[18:19] op_sel_hi:[0,1,1]
	v_mov_b32_e32 v35, v72
	s_delay_alu instid0(VALU_DEP_2) | instskip(SKIP_1) | instid1(VALU_DEP_2)
	v_pk_fma_f32 v[18:19], v[60:61], v[32:33], v[18:19] op_sel_hi:[0,1,1]
	v_mov_b32_e32 v32, v68
	v_pk_fma_f32 v[18:19], v[60:61], v[34:35], v[18:19] op_sel:[1,0,0]
	v_mov_b32_e32 v35, v68
	s_delay_alu instid0(VALU_DEP_3) | instskip(SKIP_1) | instid1(VALU_DEP_2)
	v_pk_fma_f32 v[22:23], v[52:53], v[32:33], v[22:23] op_sel_hi:[0,1,1]
	v_mov_b32_e32 v32, v69
	v_pk_fma_f32 v[22:23], v[52:53], v[34:35], v[22:23] op_sel:[1,0,0]
	v_mov_b32_e32 v35, v69
	s_delay_alu instid0(VALU_DEP_2)
	v_pk_fma_f32 v[22:23], v[54:55], v[32:33], v[22:23] op_sel_hi:[0,1,1]
	v_mov_b32_e32 v32, v70
	global_load_b128 v[52:55], v[26:27], off offset:3120
	s_wait_xcnt 0x0
	v_add_nc_u64_e32 v[26:27], 0x1000, v[26:27]
	v_pk_fma_f32 v[22:23], v[120:121], v[34:35], v[22:23] op_sel_hi:[0,1,1]
	v_mov_b32_e32 v35, v70
	s_delay_alu instid0(VALU_DEP_2) | instskip(SKIP_1) | instid1(VALU_DEP_2)
	v_pk_fma_f32 v[22:23], v[56:57], v[32:33], v[22:23] op_sel_hi:[0,1,1]
	v_mov_b32_e32 v32, v71
	v_pk_fma_f32 v[22:23], v[56:57], v[34:35], v[22:23] op_sel:[1,0,0]
	v_dual_mov_b32 v35, v71 :: v_dual_mov_b32 v56, v99
	s_delay_alu instid0(VALU_DEP_2) | instskip(SKIP_1) | instid1(VALU_DEP_2)
	v_pk_fma_f32 v[22:23], v[58:59], v[32:33], v[22:23] op_sel_hi:[0,1,1]
	v_dual_mov_b32 v32, v76 :: v_dual_mov_b32 v58, v107
	v_pk_fma_f32 v[22:23], v[122:123], v[34:35], v[22:23] op_sel_hi:[0,1,1]
	v_mov_b32_e32 v35, v76
	s_delay_alu instid0(VALU_DEP_2) | instskip(SKIP_1) | instid1(VALU_DEP_2)
	v_pk_fma_f32 v[22:23], v[60:61], v[32:33], v[22:23] op_sel_hi:[0,1,1]
	v_mov_b32_e32 v32, v41
	v_pk_fma_f32 v[22:23], v[60:61], v[34:35], v[22:23] op_sel:[1,0,0]
	v_mov_b32_e32 v35, v41
	s_delay_alu instid0(VALU_DEP_3) | instskip(SKIP_1) | instid1(VALU_DEP_2)
	v_pk_fma_f32 v[16:17], v[62:63], v[32:33], v[16:17] op_sel_hi:[0,1,1]
	v_mov_b32_e32 v32, v42
	v_pk_fma_f32 v[16:17], v[36:37], v[34:35], v[16:17] op_sel_hi:[0,1,1]
	v_mov_b32_e32 v35, v42
	s_delay_alu instid0(VALU_DEP_2) | instskip(SKIP_1) | instid1(VALU_DEP_2)
	v_pk_fma_f32 v[16:17], v[92:93], v[32:33], v[16:17] op_sel_hi:[0,1,1]
	v_mov_b32_e32 v32, v43
	v_pk_fma_f32 v[16:17], v[92:93], v[34:35], v[16:17] op_sel:[1,0,0]
	v_mov_b32_e32 v35, v43
	s_delay_alu instid0(VALU_DEP_2) | instskip(SKIP_1) | instid1(VALU_DEP_2)
	v_pk_fma_f32 v[16:17], v[94:95], v[32:33], v[16:17] op_sel_hi:[0,1,1]
	v_mov_b32_e32 v32, v84
	v_pk_fma_f32 v[16:17], v[40:41], v[34:35], v[16:17] op_sel_hi:[0,1,1]
	v_mov_b32_e32 v35, v84
	s_delay_alu instid0(VALU_DEP_2) | instskip(SKIP_1) | instid1(VALU_DEP_2)
	v_pk_fma_f32 v[16:17], v[96:97], v[32:33], v[16:17] op_sel_hi:[0,1,1]
	v_mov_b32_e32 v32, v85
	v_pk_fma_f32 v[16:17], v[96:97], v[34:35], v[16:17] op_sel:[1,0,0]
	v_mov_b32_e32 v35, v85
	s_delay_alu instid0(VALU_DEP_2) | instskip(SKIP_1) | instid1(VALU_DEP_2)
	;; [unrolled: 10-line block ×5, first 2 shown]
	v_pk_fma_f32 v[16:17], v[110:111], v[32:33], v[16:17] op_sel_hi:[0,1,1]
	v_mov_b32_e32 v32, v37
	v_pk_fma_f32 v[16:17], v[66:67], v[34:35], v[16:17] op_sel_hi:[0,1,1]
	v_mov_b32_e32 v35, v37
	s_delay_alu instid0(VALU_DEP_3) | instskip(SKIP_1) | instid1(VALU_DEP_2)
	v_pk_fma_f32 v[20:21], v[62:63], v[32:33], v[20:21] op_sel_hi:[0,1,1]
	v_mov_b32_e32 v32, v38
	v_pk_fma_f32 v[20:21], v[36:37], v[34:35], v[20:21] op_sel_hi:[0,1,1]
	v_mov_b32_e32 v35, v38
	s_delay_alu instid0(VALU_DEP_2) | instskip(SKIP_1) | instid1(VALU_DEP_2)
	v_pk_fma_f32 v[20:21], v[92:93], v[32:33], v[20:21] op_sel_hi:[0,1,1]
	v_mov_b32_e32 v32, v39
	v_pk_fma_f32 v[20:21], v[92:93], v[34:35], v[20:21] op_sel:[1,0,0]
	v_mov_b32_e32 v35, v39
	s_delay_alu instid0(VALU_DEP_2) | instskip(SKIP_1) | instid1(VALU_DEP_2)
	v_pk_fma_f32 v[20:21], v[94:95], v[32:33], v[20:21] op_sel_hi:[0,1,1]
	v_mov_b32_e32 v32, v80
	v_pk_fma_f32 v[20:21], v[40:41], v[34:35], v[20:21] op_sel_hi:[0,1,1]
	v_mov_b32_e32 v35, v80
	s_delay_alu instid0(VALU_DEP_2) | instskip(SKIP_1) | instid1(VALU_DEP_2)
	v_pk_fma_f32 v[20:21], v[96:97], v[32:33], v[20:21] op_sel_hi:[0,1,1]
	v_mov_b32_e32 v32, v81
	v_pk_fma_f32 v[20:21], v[96:97], v[34:35], v[20:21] op_sel:[1,0,0]
	v_mov_b32_e32 v35, v81
	s_delay_alu instid0(VALU_DEP_2) | instskip(SKIP_1) | instid1(VALU_DEP_2)
	v_pk_fma_f32 v[20:21], v[98:99], v[32:33], v[20:21] op_sel_hi:[0,1,1]
	v_mov_b32_e32 v32, v82
	v_pk_fma_f32 v[20:21], v[56:57], v[34:35], v[20:21] op_sel_hi:[0,1,1]
	v_mov_b32_e32 v35, v82
	s_delay_alu instid0(VALU_DEP_2) | instskip(SKIP_1) | instid1(VALU_DEP_2)
	v_pk_fma_f32 v[20:21], v[32:33], v[100:101], v[20:21] op_sel_hi:[1,0,1]
	v_mov_b32_e32 v32, v83
	v_pk_fma_f32 v[20:21], v[100:101], v[34:35], v[20:21] op_sel:[1,0,0]
	v_mov_b32_e32 v35, v83
	s_delay_alu instid0(VALU_DEP_2) | instskip(SKIP_2) | instid1(VALU_DEP_2)
	v_pk_fma_f32 v[20:21], v[102:103], v[32:33], v[20:21] op_sel_hi:[0,1,1]
	s_wait_loadcnt 0x4
	v_mov_b32_e32 v32, v112
	v_pk_fma_f32 v[20:21], v[64:65], v[34:35], v[20:21] op_sel_hi:[0,1,1]
	v_mov_b32_e32 v35, v112
	s_delay_alu instid0(VALU_DEP_2) | instskip(SKIP_1) | instid1(VALU_DEP_2)
	v_pk_fma_f32 v[20:21], v[104:105], v[32:33], v[20:21] op_sel_hi:[0,1,1]
	v_mov_b32_e32 v32, v113
	v_pk_fma_f32 v[20:21], v[104:105], v[34:35], v[20:21] op_sel:[1,0,0]
	v_mov_b32_e32 v35, v113
	s_delay_alu instid0(VALU_DEP_2) | instskip(SKIP_1) | instid1(VALU_DEP_2)
	v_pk_fma_f32 v[20:21], v[106:107], v[32:33], v[20:21] op_sel_hi:[0,1,1]
	v_mov_b32_e32 v32, v114
	v_pk_fma_f32 v[20:21], v[58:59], v[34:35], v[20:21] op_sel_hi:[0,1,1]
	v_mov_b32_e32 v35, v114
	s_delay_alu instid0(VALU_DEP_2) | instskip(SKIP_1) | instid1(VALU_DEP_2)
	v_pk_fma_f32 v[20:21], v[108:109], v[32:33], v[20:21] op_sel_hi:[0,1,1]
	v_mov_b32_e32 v32, v115
	v_pk_fma_f32 v[20:21], v[108:109], v[34:35], v[20:21] op_sel:[1,0,0]
	v_mov_b32_e32 v35, v115
	s_delay_alu instid0(VALU_DEP_2) | instskip(SKIP_1) | instid1(VALU_DEP_2)
	v_pk_fma_f32 v[20:21], v[110:111], v[32:33], v[20:21] op_sel_hi:[0,1,1]
	v_mov_b32_e32 v32, v73
	v_pk_fma_f32 v[20:21], v[66:67], v[34:35], v[20:21] op_sel_hi:[0,1,1]
	v_mov_b32_e32 v35, v73
	s_delay_alu instid0(VALU_DEP_3) | instskip(SKIP_1) | instid1(VALU_DEP_2)
	v_pk_fma_f32 v[18:19], v[62:63], v[32:33], v[18:19] op_sel_hi:[0,1,1]
	v_mov_b32_e32 v32, v74
	v_pk_fma_f32 v[18:19], v[36:37], v[34:35], v[18:19] op_sel_hi:[0,1,1]
	v_mov_b32_e32 v35, v74
	s_delay_alu instid0(VALU_DEP_2) | instskip(SKIP_1) | instid1(VALU_DEP_2)
	v_pk_fma_f32 v[18:19], v[92:93], v[32:33], v[18:19] op_sel_hi:[0,1,1]
	v_mov_b32_e32 v32, v75
	v_pk_fma_f32 v[18:19], v[92:93], v[34:35], v[18:19] op_sel:[1,0,0]
	v_mov_b32_e32 v35, v75
	s_delay_alu instid0(VALU_DEP_2) | instskip(SKIP_2) | instid1(VALU_DEP_2)
	v_pk_fma_f32 v[18:19], v[94:95], v[32:33], v[18:19] op_sel_hi:[0,1,1]
	s_wait_loadcnt 0x3
	v_mov_b32_e32 v32, v116
	v_pk_fma_f32 v[18:19], v[40:41], v[34:35], v[18:19] op_sel_hi:[0,1,1]
	v_mov_b32_e32 v35, v116
	s_delay_alu instid0(VALU_DEP_2) | instskip(SKIP_1) | instid1(VALU_DEP_2)
	v_pk_fma_f32 v[18:19], v[96:97], v[32:33], v[18:19] op_sel_hi:[0,1,1]
	v_mov_b32_e32 v32, v117
	v_pk_fma_f32 v[18:19], v[96:97], v[34:35], v[18:19] op_sel:[1,0,0]
	v_mov_b32_e32 v35, v117
	s_delay_alu instid0(VALU_DEP_2) | instskip(SKIP_1) | instid1(VALU_DEP_2)
	v_pk_fma_f32 v[18:19], v[98:99], v[32:33], v[18:19] op_sel_hi:[0,1,1]
	v_mov_b32_e32 v32, v118
	v_pk_fma_f32 v[18:19], v[56:57], v[34:35], v[18:19] op_sel_hi:[0,1,1]
	v_mov_b32_e32 v35, v118
	s_delay_alu instid0(VALU_DEP_2) | instskip(SKIP_1) | instid1(VALU_DEP_2)
	v_pk_fma_f32 v[18:19], v[32:33], v[100:101], v[18:19] op_sel_hi:[1,0,1]
	v_mov_b32_e32 v32, v119
	v_pk_fma_f32 v[18:19], v[100:101], v[34:35], v[18:19] op_sel:[1,0,0]
	v_mov_b32_e32 v35, v119
	s_delay_alu instid0(VALU_DEP_2) | instskip(SKIP_2) | instid1(VALU_DEP_2)
	v_pk_fma_f32 v[18:19], v[102:103], v[32:33], v[18:19] op_sel_hi:[0,1,1]
	s_wait_loadcnt 0x2
	v_mov_b32_e32 v32, v44
	v_pk_fma_f32 v[18:19], v[64:65], v[34:35], v[18:19] op_sel_hi:[0,1,1]
	v_mov_b32_e32 v35, v44
	s_delay_alu instid0(VALU_DEP_2) | instskip(SKIP_1) | instid1(VALU_DEP_2)
	v_pk_fma_f32 v[18:19], v[104:105], v[32:33], v[18:19] op_sel_hi:[0,1,1]
	v_mov_b32_e32 v32, v45
	v_pk_fma_f32 v[18:19], v[104:105], v[34:35], v[18:19] op_sel:[1,0,0]
	v_mov_b32_e32 v35, v45
	s_delay_alu instid0(VALU_DEP_2) | instskip(SKIP_1) | instid1(VALU_DEP_2)
	v_pk_fma_f32 v[18:19], v[106:107], v[32:33], v[18:19] op_sel_hi:[0,1,1]
	v_mov_b32_e32 v32, v46
	v_pk_fma_f32 v[18:19], v[58:59], v[34:35], v[18:19] op_sel_hi:[0,1,1]
	v_mov_b32_e32 v35, v46
	s_delay_alu instid0(VALU_DEP_2) | instskip(SKIP_1) | instid1(VALU_DEP_2)
	v_pk_fma_f32 v[18:19], v[108:109], v[32:33], v[18:19] op_sel_hi:[0,1,1]
	v_mov_b32_e32 v32, v47
	v_pk_fma_f32 v[18:19], v[108:109], v[34:35], v[18:19] op_sel:[1,0,0]
	v_mov_b32_e32 v35, v47
	s_delay_alu instid0(VALU_DEP_2) | instskip(SKIP_1) | instid1(VALU_DEP_2)
	v_pk_fma_f32 v[18:19], v[110:111], v[32:33], v[18:19] op_sel_hi:[0,1,1]
	v_mov_b32_e32 v32, v77
	v_pk_fma_f32 v[18:19], v[66:67], v[34:35], v[18:19] op_sel_hi:[0,1,1]
	v_mov_b32_e32 v35, v77
	s_delay_alu instid0(VALU_DEP_3) | instskip(SKIP_1) | instid1(VALU_DEP_2)
	v_pk_fma_f32 v[22:23], v[62:63], v[32:33], v[22:23] op_sel_hi:[0,1,1]
	v_mov_b32_e32 v32, v78
	v_pk_fma_f32 v[22:23], v[36:37], v[34:35], v[22:23] op_sel_hi:[0,1,1]
	v_mov_b32_e32 v35, v78
	s_delay_alu instid0(VALU_DEP_2) | instskip(SKIP_1) | instid1(VALU_DEP_2)
	v_pk_fma_f32 v[22:23], v[92:93], v[32:33], v[22:23] op_sel_hi:[0,1,1]
	v_mov_b32_e32 v32, v79
	v_pk_fma_f32 v[22:23], v[92:93], v[34:35], v[22:23] op_sel:[1,0,0]
	v_mov_b32_e32 v35, v79
	s_delay_alu instid0(VALU_DEP_2) | instskip(SKIP_2) | instid1(VALU_DEP_2)
	v_pk_fma_f32 v[22:23], v[94:95], v[32:33], v[22:23] op_sel_hi:[0,1,1]
	s_wait_loadcnt 0x1
	v_mov_b32_e32 v32, v48
	v_pk_fma_f32 v[22:23], v[40:41], v[34:35], v[22:23] op_sel_hi:[0,1,1]
	v_mov_b32_e32 v35, v48
	s_delay_alu instid0(VALU_DEP_2) | instskip(SKIP_1) | instid1(VALU_DEP_2)
	v_pk_fma_f32 v[22:23], v[96:97], v[32:33], v[22:23] op_sel_hi:[0,1,1]
	v_mov_b32_e32 v32, v49
	v_pk_fma_f32 v[22:23], v[96:97], v[34:35], v[22:23] op_sel:[1,0,0]
	v_mov_b32_e32 v35, v49
	s_delay_alu instid0(VALU_DEP_2) | instskip(SKIP_1) | instid1(VALU_DEP_2)
	v_pk_fma_f32 v[22:23], v[98:99], v[32:33], v[22:23] op_sel_hi:[0,1,1]
	v_mov_b32_e32 v32, v50
	v_pk_fma_f32 v[22:23], v[56:57], v[34:35], v[22:23] op_sel_hi:[0,1,1]
	v_mov_b32_e32 v35, v50
	s_delay_alu instid0(VALU_DEP_2) | instskip(SKIP_1) | instid1(VALU_DEP_2)
	v_pk_fma_f32 v[22:23], v[32:33], v[100:101], v[22:23] op_sel_hi:[1,0,1]
	v_mov_b32_e32 v32, v51
	v_pk_fma_f32 v[22:23], v[100:101], v[34:35], v[22:23] op_sel:[1,0,0]
	v_mov_b32_e32 v35, v51
	s_delay_alu instid0(VALU_DEP_2) | instskip(SKIP_2) | instid1(VALU_DEP_2)
	v_pk_fma_f32 v[22:23], v[102:103], v[32:33], v[22:23] op_sel_hi:[0,1,1]
	s_wait_loadcnt 0x0
	v_mov_b32_e32 v32, v52
	v_pk_fma_f32 v[22:23], v[64:65], v[34:35], v[22:23] op_sel_hi:[0,1,1]
	v_mov_b32_e32 v35, v52
	s_delay_alu instid0(VALU_DEP_2) | instskip(SKIP_1) | instid1(VALU_DEP_2)
	v_pk_fma_f32 v[22:23], v[104:105], v[32:33], v[22:23] op_sel_hi:[0,1,1]
	v_mov_b32_e32 v32, v53
	v_pk_fma_f32 v[22:23], v[104:105], v[34:35], v[22:23] op_sel:[1,0,0]
	v_mov_b32_e32 v35, v53
	s_delay_alu instid0(VALU_DEP_2) | instskip(SKIP_1) | instid1(VALU_DEP_2)
	v_pk_fma_f32 v[22:23], v[106:107], v[32:33], v[22:23] op_sel_hi:[0,1,1]
	v_mov_b32_e32 v32, v54
	v_pk_fma_f32 v[22:23], v[58:59], v[34:35], v[22:23] op_sel_hi:[0,1,1]
	v_mov_b32_e32 v35, v54
	s_delay_alu instid0(VALU_DEP_2) | instskip(SKIP_1) | instid1(VALU_DEP_2)
	v_pk_fma_f32 v[22:23], v[108:109], v[32:33], v[22:23] op_sel_hi:[0,1,1]
	v_mov_b32_e32 v32, v55
	v_pk_fma_f32 v[22:23], v[108:109], v[34:35], v[22:23] op_sel:[1,0,0]
	v_mov_b32_e32 v35, v55
	s_delay_alu instid0(VALU_DEP_2) | instskip(NEXT) | instid1(VALU_DEP_1)
	v_pk_fma_f32 v[22:23], v[110:111], v[32:33], v[22:23] op_sel_hi:[0,1,1]
	v_pk_fma_f32 v[22:23], v[66:67], v[34:35], v[22:23] op_sel_hi:[0,1,1]
	s_and_not1_b32 exec_lo, exec_lo, s10
	s_cbranch_execnz .LBB132_19
; %bb.20:
	s_or_b32 exec_lo, exec_lo, s10
.LBB132_21:
	s_delay_alu instid0(SALU_CYCLE_1)
	s_or_b32 exec_lo, exec_lo, s7
.LBB132_22:
	s_delay_alu instid0(SALU_CYCLE_1)
	s_or_b32 exec_lo, exec_lo, s6
	s_cbranch_execz .LBB132_24
	s_branch .LBB132_35
.LBB132_23:
                                        ; implicit-def: $vgpr17
                                        ; implicit-def: $vgpr21
                                        ; implicit-def: $vgpr19
                                        ; implicit-def: $vgpr23
.LBB132_24:
	v_dual_mov_b32 v17, 0 :: v_dual_mov_b32 v16, 0
	v_dual_mov_b32 v21, 0 :: v_dual_mov_b32 v20, 0
	;; [unrolled: 1-line block ×4, first 2 shown]
	s_and_saveexec_b32 s6, s3
	s_cbranch_execz .LBB132_34
; %bb.25:
	v_dual_mov_b32 v17, v1 :: v_dual_bitop2_b32 v16, 16, v0 bitop3:0x54
	v_sub_nc_u64_e32 v[18:19], v[8:9], v[0:1]
	v_not_b32_e32 v21, v25
	v_not_b32_e32 v20, v24
	s_delay_alu instid0(VALU_DEP_4) | instskip(NEXT) | instid1(VALU_DEP_2)
	v_sub_nc_u64_e32 v[16:17], v[16:17], v[8:9]
	v_add_nc_u64_e32 v[18:19], v[18:19], v[20:21]
	s_delay_alu instid0(VALU_DEP_2) | instskip(NEXT) | instid1(VALU_DEP_1)
	v_add_nc_u64_e32 v[16:17], v[16:17], v[24:25]
	v_max_i64 v[16:17], v[16:17], v[12:13]
	s_delay_alu instid0(VALU_DEP_1) | instskip(NEXT) | instid1(VALU_DEP_1)
	v_add_nc_u64_e32 v[24:25], v[18:19], v[16:17]
	v_dual_mov_b32 v23, 0 :: v_dual_bitop2_b32 v22, 48, v24 bitop3:0x40
	s_delay_alu instid0(VALU_DEP_1) | instskip(SKIP_2) | instid1(VALU_DEP_4)
	v_dual_mov_b32 v18, v23 :: v_dual_mov_b32 v19, v23
	v_dual_mov_b32 v20, v23 :: v_dual_mov_b32 v21, v23
	v_mov_b32_e32 v16, v23
	v_cmp_ne_u64_e32 vcc_lo, 48, v[22:23]
	v_dual_mov_b32 v22, v23 :: v_dual_mov_b32 v17, v23
	s_and_saveexec_b32 s3, vcc_lo
	s_cbranch_execz .LBB132_29
; %bb.26:
	v_dual_lshrrev_b32 v1, 4, v24 :: v_dual_mov_b32 v27, 0
	v_lshl_add_u64 v[28:29], v[10:11], 3, s[8:9]
	v_bfrev_b32_e32 v30, 1
	s_mov_b32 s7, 0
	s_delay_alu instid0(VALU_DEP_3) | instskip(SKIP_2) | instid1(VALU_DEP_3)
	v_dual_mov_b32 v22, v27 :: v_dual_add_nc_u32 v1, 1, v1
	v_dual_mov_b32 v18, v27 :: v_dual_mov_b32 v19, v27
	v_dual_mov_b32 v20, v27 :: v_dual_mov_b32 v21, v27
	v_dual_mov_b32 v23, v27 :: v_dual_bitop2_b32 v26, 3, v1 bitop3:0x40
	v_dual_mov_b32 v16, v27 :: v_dual_mov_b32 v17, v27
	s_delay_alu instid0(VALU_DEP_2)
	v_sub_nc_u64_e32 v[32:33], 0, v[26:27]
.LBB132_27:                             ; =>This Inner Loop Header: Depth=1
	global_load_b64 v[42:43], v[28:29], off
	s_clause 0x1
	global_load_b128 v[34:37], v[14:15], off offset:16
	global_load_b128 v[38:41], v[14:15], off
	v_add_nc_u64_e32 v[32:33], 1, v[32:33]
	v_add_nc_u64_e32 v[10:11], 16, v[10:11]
	s_wait_xcnt 0x2
	v_add_nc_u64_e32 v[28:29], 0x80, v[28:29]
	s_delay_alu instid0(VALU_DEP_3)
	v_cmp_eq_u64_e32 vcc_lo, 0, v[32:33]
	s_or_b32 s7, vcc_lo, s7
	s_wait_loadcnt 0x2
	v_sub_nc_u64_e32 v[42:43], v[42:43], v[8:9]
	s_wait_loadcnt 0x0
	v_dual_mov_b32 v26, v38 :: v_dual_mov_b32 v31, v38
	s_delay_alu instid0(VALU_DEP_2) | instskip(NEXT) | instid1(VALU_DEP_1)
	v_lshlrev_b64_e32 v[42:43], 5, v[42:43]
	v_add_nc_u64_e32 v[58:59], s[4:5], v[42:43]
	s_clause 0x1
	global_load_b128 v[42:45], v[58:59], off
	global_load_b128 v[46:49], v[58:59], off offset:16
	s_clause 0x1
	global_load_b128 v[50:53], v[14:15], off offset:32
	global_load_b128 v[54:57], v[14:15], off offset:48
	s_wait_xcnt 0x0
	v_add_nc_u64_e32 v[14:15], 0x400, v[14:15]
	s_wait_loadcnt 0x3
	v_pk_fma_f32 v[16:17], v[42:43], v[26:27], v[16:17] op_sel_hi:[0,1,1]
	v_dual_mov_b32 v26, v34 :: v_dual_mov_b32 v38, v45
	s_wait_loadcnt 0x2
	v_mov_b32_e32 v58, v49
	s_delay_alu instid0(VALU_DEP_3) | instskip(SKIP_1) | instid1(VALU_DEP_2)
	v_pk_fma_f32 v[16:17], v[42:43], v[30:31], v[16:17] op_sel:[1,0,0]
	v_mov_b32_e32 v31, v34
	v_pk_fma_f32 v[16:17], v[44:45], v[26:27], v[16:17] op_sel_hi:[0,1,1]
	s_wait_loadcnt 0x1
	v_mov_b32_e32 v26, v50
	s_delay_alu instid0(VALU_DEP_2) | instskip(SKIP_1) | instid1(VALU_DEP_2)
	v_pk_fma_f32 v[16:17], v[38:39], v[30:31], v[16:17] op_sel_hi:[0,1,1]
	v_mov_b32_e32 v31, v50
	v_pk_fma_f32 v[16:17], v[46:47], v[26:27], v[16:17] op_sel_hi:[0,1,1]
	s_wait_loadcnt 0x0
	v_mov_b32_e32 v26, v54
	s_delay_alu instid0(VALU_DEP_2) | instskip(SKIP_1) | instid1(VALU_DEP_2)
	v_pk_fma_f32 v[16:17], v[46:47], v[30:31], v[16:17] op_sel:[1,0,0]
	v_mov_b32_e32 v31, v54
	v_pk_fma_f32 v[16:17], v[48:49], v[26:27], v[16:17] op_sel_hi:[0,1,1]
	v_mov_b32_e32 v26, v39
	s_delay_alu instid0(VALU_DEP_2) | instskip(SKIP_1) | instid1(VALU_DEP_3)
	v_pk_fma_f32 v[16:17], v[58:59], v[30:31], v[16:17] op_sel_hi:[0,1,1]
	v_mov_b32_e32 v31, v39
	v_pk_fma_f32 v[20:21], v[42:43], v[26:27], v[20:21] op_sel_hi:[0,1,1]
	v_mov_b32_e32 v26, v35
	s_delay_alu instid0(VALU_DEP_2) | instskip(SKIP_1) | instid1(VALU_DEP_2)
	v_pk_fma_f32 v[20:21], v[42:43], v[30:31], v[20:21] op_sel:[1,0,0]
	v_mov_b32_e32 v31, v35
	v_pk_fma_f32 v[20:21], v[44:45], v[26:27], v[20:21] op_sel_hi:[0,1,1]
	v_mov_b32_e32 v26, v51
	s_delay_alu instid0(VALU_DEP_2) | instskip(SKIP_1) | instid1(VALU_DEP_2)
	v_pk_fma_f32 v[20:21], v[38:39], v[30:31], v[20:21] op_sel_hi:[0,1,1]
	v_mov_b32_e32 v31, v51
	v_pk_fma_f32 v[20:21], v[46:47], v[26:27], v[20:21] op_sel_hi:[0,1,1]
	v_mov_b32_e32 v26, v55
	s_delay_alu instid0(VALU_DEP_2) | instskip(SKIP_1) | instid1(VALU_DEP_2)
	v_pk_fma_f32 v[20:21], v[46:47], v[30:31], v[20:21] op_sel:[1,0,0]
	v_mov_b32_e32 v31, v55
	v_pk_fma_f32 v[20:21], v[48:49], v[26:27], v[20:21] op_sel_hi:[0,1,1]
	v_mov_b32_e32 v26, v40
	s_delay_alu instid0(VALU_DEP_2) | instskip(SKIP_1) | instid1(VALU_DEP_3)
	v_pk_fma_f32 v[20:21], v[58:59], v[30:31], v[20:21] op_sel_hi:[0,1,1]
	v_mov_b32_e32 v31, v40
	v_pk_fma_f32 v[18:19], v[42:43], v[26:27], v[18:19] op_sel_hi:[0,1,1]
	v_mov_b32_e32 v26, v36
	s_delay_alu instid0(VALU_DEP_2) | instskip(SKIP_1) | instid1(VALU_DEP_2)
	v_pk_fma_f32 v[18:19], v[42:43], v[30:31], v[18:19] op_sel:[1,0,0]
	v_mov_b32_e32 v31, v36
	v_pk_fma_f32 v[18:19], v[44:45], v[26:27], v[18:19] op_sel_hi:[0,1,1]
	v_mov_b32_e32 v26, v52
	s_delay_alu instid0(VALU_DEP_2) | instskip(SKIP_1) | instid1(VALU_DEP_2)
	v_pk_fma_f32 v[18:19], v[38:39], v[30:31], v[18:19] op_sel_hi:[0,1,1]
	v_mov_b32_e32 v31, v52
	v_pk_fma_f32 v[18:19], v[46:47], v[26:27], v[18:19] op_sel_hi:[0,1,1]
	;; [unrolled: 20-line block ×3, first 2 shown]
	v_mov_b32_e32 v26, v57
	s_delay_alu instid0(VALU_DEP_2) | instskip(SKIP_1) | instid1(VALU_DEP_2)
	v_pk_fma_f32 v[22:23], v[46:47], v[30:31], v[22:23] op_sel:[1,0,0]
	v_mov_b32_e32 v31, v57
	v_pk_fma_f32 v[22:23], v[48:49], v[26:27], v[22:23] op_sel_hi:[0,1,1]
	s_delay_alu instid0(VALU_DEP_1)
	v_pk_fma_f32 v[22:23], v[58:59], v[30:31], v[22:23] op_sel_hi:[0,1,1]
	s_and_not1_b32 exec_lo, exec_lo, s7
	s_cbranch_execnz .LBB132_27
; %bb.28:
	s_or_b32 exec_lo, exec_lo, s7
.LBB132_29:
	s_delay_alu instid0(SALU_CYCLE_1) | instskip(NEXT) | instid1(SALU_CYCLE_1)
	s_or_b32 exec_lo, exec_lo, s3
	s_mov_b32 s3, exec_lo
	v_cmpx_lt_u64_e32 47, v[24:25]
	s_cbranch_execz .LBB132_33
; %bb.30:
	v_lshl_add_u64 v[24:25], v[10:11], 3, s[8:9]
	v_mov_b32_e32 v27, 0
	v_bfrev_b32_e32 v28, 1
	s_mov_b32 s7, 0
	s_delay_alu instid0(VALU_DEP_3)
	v_add_nc_u64_e32 v[24:25], 0x100, v[24:25]
.LBB132_31:                             ; =>This Inner Loop Header: Depth=1
	s_clause 0x1
	global_load_b64 v[90:91], v[24:25], off offset:-256
	global_load_b64 v[92:93], v[24:25], off offset:-128
	global_load_b128 v[30:33], v[14:15], off
	s_clause 0x1
	global_load_b64 v[94:95], v[24:25], off
	global_load_b64 v[96:97], v[24:25], off offset:128
	s_clause 0xd
	global_load_b128 v[34:37], v[14:15], off offset:16
	global_load_b128 v[38:41], v[14:15], off offset:48
	;; [unrolled: 1-line block ×14, first 2 shown]
	v_add_nc_u64_e32 v[10:11], 64, v[10:11]
	s_wait_xcnt 0xe
	v_add_nc_u64_e32 v[24:25], 0x200, v[24:25]
	s_delay_alu instid0(VALU_DEP_2)
	v_cmp_ge_i64_e32 vcc_lo, v[10:11], v[12:13]
	s_or_b32 s7, vcc_lo, s7
	s_wait_loadcnt 0x12
	v_sub_nc_u64_e32 v[90:91], v[90:91], v[8:9]
	s_wait_loadcnt 0x11
	v_sub_nc_u64_e32 v[92:93], v[92:93], v[8:9]
	s_wait_loadcnt 0x10
	v_dual_mov_b32 v26, v30 :: v_dual_mov_b32 v29, v30
	s_wait_loadcnt 0xf
	v_sub_nc_u64_e32 v[94:95], v[94:95], v[8:9]
	s_wait_loadcnt 0xe
	v_sub_nc_u64_e32 v[96:97], v[96:97], v[8:9]
	v_lshlrev_b64_e32 v[90:91], 5, v[90:91]
	v_lshlrev_b64_e32 v[92:93], 5, v[92:93]
	s_delay_alu instid0(VALU_DEP_4) | instskip(NEXT) | instid1(VALU_DEP_4)
	v_lshlrev_b64_e32 v[94:95], 5, v[94:95]
	v_lshlrev_b64_e32 v[96:97], 5, v[96:97]
	s_delay_alu instid0(VALU_DEP_4) | instskip(NEXT) | instid1(VALU_DEP_4)
	v_add_nc_u64_e32 v[106:107], s[4:5], v[90:91]
	v_add_nc_u64_e32 v[108:109], s[4:5], v[92:93]
	s_delay_alu instid0(VALU_DEP_4) | instskip(NEXT) | instid1(VALU_DEP_4)
	v_add_nc_u64_e32 v[110:111], s[4:5], v[94:95]
	v_add_nc_u64_e32 v[112:113], s[4:5], v[96:97]
	s_clause 0x3
	global_load_b128 v[90:93], v[106:107], off
	global_load_b128 v[94:97], v[106:107], off offset:16
	global_load_b128 v[98:101], v[108:109], off
	global_load_b128 v[102:105], v[108:109], off offset:16
	s_wait_loadcnt 0x3
	v_pk_fma_f32 v[16:17], v[90:91], v[26:27], v[16:17] op_sel_hi:[0,1,1]
	s_wait_xcnt 0x2
	v_dual_mov_b32 v26, v34 :: v_dual_mov_b32 v106, v93
	s_wait_loadcnt 0x2
	s_wait_xcnt 0x0
	v_mov_b32_e32 v108, v97
	v_pk_fma_f32 v[16:17], v[90:91], v[28:29], v[16:17] op_sel:[1,0,0]
	v_mov_b32_e32 v29, v34
	s_delay_alu instid0(VALU_DEP_2) | instskip(SKIP_1) | instid1(VALU_DEP_2)
	v_pk_fma_f32 v[16:17], v[92:93], v[26:27], v[16:17] op_sel_hi:[0,1,1]
	v_mov_b32_e32 v26, v42
	v_pk_fma_f32 v[16:17], v[106:107], v[28:29], v[16:17] op_sel_hi:[0,1,1]
	v_mov_b32_e32 v29, v42
	s_delay_alu instid0(VALU_DEP_2) | instskip(SKIP_1) | instid1(VALU_DEP_2)
	v_pk_fma_f32 v[16:17], v[94:95], v[26:27], v[16:17] op_sel_hi:[0,1,1]
	v_mov_b32_e32 v26, v38
	v_pk_fma_f32 v[16:17], v[94:95], v[28:29], v[16:17] op_sel:[1,0,0]
	v_mov_b32_e32 v29, v38
	s_delay_alu instid0(VALU_DEP_2) | instskip(SKIP_1) | instid1(VALU_DEP_2)
	v_pk_fma_f32 v[16:17], v[96:97], v[26:27], v[16:17] op_sel_hi:[0,1,1]
	v_mov_b32_e32 v26, v58
	v_pk_fma_f32 v[16:17], v[108:109], v[28:29], v[16:17] op_sel_hi:[0,1,1]
	v_mov_b32_e32 v29, v58
	s_wait_loadcnt 0x1
	s_delay_alu instid0(VALU_DEP_2) | instskip(SKIP_1) | instid1(VALU_DEP_2)
	v_pk_fma_f32 v[16:17], v[98:99], v[26:27], v[16:17] op_sel_hi:[0,1,1]
	v_mov_b32_e32 v26, v31
	v_pk_fma_f32 v[114:115], v[98:99], v[28:29], v[16:17] op_sel:[1,0,0]
	v_mov_b32_e32 v29, v31
	s_delay_alu instid0(VALU_DEP_3) | instskip(SKIP_1) | instid1(VALU_DEP_2)
	v_pk_fma_f32 v[16:17], v[90:91], v[26:27], v[20:21] op_sel_hi:[0,1,1]
	v_mov_b32_e32 v26, v35
	v_pk_fma_f32 v[16:17], v[90:91], v[28:29], v[16:17] op_sel:[1,0,0]
	v_mov_b32_e32 v29, v35
	s_delay_alu instid0(VALU_DEP_2) | instskip(SKIP_1) | instid1(VALU_DEP_2)
	v_pk_fma_f32 v[16:17], v[92:93], v[26:27], v[16:17] op_sel_hi:[0,1,1]
	v_mov_b32_e32 v26, v43
	v_pk_fma_f32 v[16:17], v[106:107], v[28:29], v[16:17] op_sel_hi:[0,1,1]
	v_mov_b32_e32 v29, v43
	s_delay_alu instid0(VALU_DEP_2) | instskip(SKIP_1) | instid1(VALU_DEP_2)
	v_pk_fma_f32 v[16:17], v[94:95], v[26:27], v[16:17] op_sel_hi:[0,1,1]
	v_mov_b32_e32 v26, v39
	v_pk_fma_f32 v[16:17], v[94:95], v[28:29], v[16:17] op_sel:[1,0,0]
	v_mov_b32_e32 v29, v39
	s_delay_alu instid0(VALU_DEP_2) | instskip(SKIP_1) | instid1(VALU_DEP_2)
	v_pk_fma_f32 v[16:17], v[96:97], v[26:27], v[16:17] op_sel_hi:[0,1,1]
	v_mov_b32_e32 v26, v59
	v_pk_fma_f32 v[16:17], v[108:109], v[28:29], v[16:17] op_sel_hi:[0,1,1]
	v_mov_b32_e32 v29, v59
	s_delay_alu instid0(VALU_DEP_2) | instskip(SKIP_1) | instid1(VALU_DEP_2)
	v_pk_fma_f32 v[16:17], v[98:99], v[26:27], v[16:17] op_sel_hi:[0,1,1]
	v_mov_b32_e32 v26, v32
	v_pk_fma_f32 v[38:39], v[98:99], v[28:29], v[16:17] op_sel:[1,0,0]
	v_mov_b32_e32 v29, v32
	s_delay_alu instid0(VALU_DEP_3) | instskip(SKIP_1) | instid1(VALU_DEP_2)
	v_pk_fma_f32 v[16:17], v[90:91], v[26:27], v[18:19] op_sel_hi:[0,1,1]
	v_mov_b32_e32 v26, v36
	v_pk_fma_f32 v[16:17], v[90:91], v[28:29], v[16:17] op_sel:[1,0,0]
	v_mov_b32_e32 v29, v36
	s_delay_alu instid0(VALU_DEP_2) | instskip(SKIP_1) | instid1(VALU_DEP_2)
	v_pk_fma_f32 v[16:17], v[92:93], v[26:27], v[16:17] op_sel_hi:[0,1,1]
	v_mov_b32_e32 v26, v44
	v_pk_fma_f32 v[16:17], v[106:107], v[28:29], v[16:17] op_sel_hi:[0,1,1]
	s_wait_loadcnt 0x0
	v_dual_mov_b32 v29, v44 :: v_dual_mov_b32 v44, v105
	s_delay_alu instid0(VALU_DEP_2) | instskip(SKIP_1) | instid1(VALU_DEP_2)
	v_pk_fma_f32 v[16:17], v[94:95], v[26:27], v[16:17] op_sel_hi:[0,1,1]
	v_mov_b32_e32 v26, v40
	v_pk_fma_f32 v[16:17], v[94:95], v[28:29], v[16:17] op_sel:[1,0,0]
	v_dual_mov_b32 v29, v40 :: v_dual_mov_b32 v40, v101
	s_delay_alu instid0(VALU_DEP_2) | instskip(SKIP_1) | instid1(VALU_DEP_2)
	v_pk_fma_f32 v[16:17], v[96:97], v[26:27], v[16:17] op_sel_hi:[0,1,1]
	v_mov_b32_e32 v26, v60
	v_pk_fma_f32 v[16:17], v[108:109], v[28:29], v[16:17] op_sel_hi:[0,1,1]
	v_mov_b32_e32 v29, v60
	s_delay_alu instid0(VALU_DEP_2) | instskip(SKIP_1) | instid1(VALU_DEP_2)
	v_pk_fma_f32 v[16:17], v[98:99], v[26:27], v[16:17] op_sel_hi:[0,1,1]
	v_mov_b32_e32 v26, v33
	v_pk_fma_f32 v[42:43], v[98:99], v[28:29], v[16:17] op_sel:[1,0,0]
	v_mov_b32_e32 v29, v33
	s_clause 0x1
	global_load_b128 v[16:19], v[110:111], off
	global_load_b128 v[30:33], v[110:111], off offset:16
	v_pk_fma_f32 v[20:21], v[90:91], v[26:27], v[22:23] op_sel_hi:[0,1,1]
	v_mov_b32_e32 v26, v37
	s_delay_alu instid0(VALU_DEP_2)
	v_pk_fma_f32 v[20:21], v[90:91], v[28:29], v[20:21] op_sel:[1,0,0]
	v_mov_b32_e32 v29, v37
	global_load_b128 v[34:37], v[112:113], off
	v_pk_fma_f32 v[20:21], v[92:93], v[26:27], v[20:21] op_sel_hi:[0,1,1]
	global_load_b128 v[90:93], v[112:113], off offset:16
	v_mov_b32_e32 v26, v45
	v_pk_fma_f32 v[58:59], v[106:107], v[28:29], v[20:21] op_sel_hi:[0,1,1]
	global_load_b128 v[20:23], v[14:15], off offset:3120
	v_mov_b32_e32 v29, v45
	s_wait_xcnt 0x0
	v_add_nc_u64_e32 v[14:15], 0x1000, v[14:15]
	v_pk_fma_f32 v[58:59], v[94:95], v[26:27], v[58:59] op_sel_hi:[0,1,1]
	v_mov_b32_e32 v26, v41
	s_delay_alu instid0(VALU_DEP_2) | instskip(SKIP_1) | instid1(VALU_DEP_2)
	v_pk_fma_f32 v[58:59], v[94:95], v[28:29], v[58:59] op_sel:[1,0,0]
	v_mov_b32_e32 v29, v41
	v_pk_fma_f32 v[58:59], v[96:97], v[26:27], v[58:59] op_sel_hi:[0,1,1]
	v_mov_b32_e32 v26, v61
	s_delay_alu instid0(VALU_DEP_2) | instskip(SKIP_1) | instid1(VALU_DEP_2)
	v_pk_fma_f32 v[58:59], v[108:109], v[28:29], v[58:59] op_sel_hi:[0,1,1]
	v_mov_b32_e32 v29, v61
	v_pk_fma_f32 v[58:59], v[98:99], v[26:27], v[58:59] op_sel_hi:[0,1,1]
	v_mov_b32_e32 v26, v54
	s_delay_alu instid0(VALU_DEP_2) | instskip(SKIP_1) | instid1(VALU_DEP_3)
	v_pk_fma_f32 v[58:59], v[98:99], v[28:29], v[58:59] op_sel:[1,0,0]
	v_mov_b32_e32 v29, v54
	v_pk_fma_f32 v[98:99], v[100:101], v[26:27], v[114:115] op_sel_hi:[0,1,1]
	v_mov_b32_e32 v26, v50
	s_delay_alu instid0(VALU_DEP_2) | instskip(SKIP_1) | instid1(VALU_DEP_2)
	v_pk_fma_f32 v[98:99], v[40:41], v[28:29], v[98:99] op_sel_hi:[0,1,1]
	v_mov_b32_e32 v29, v50
	v_pk_fma_f32 v[98:99], v[102:103], v[26:27], v[98:99] op_sel_hi:[0,1,1]
	v_mov_b32_e32 v26, v46
	s_delay_alu instid0(VALU_DEP_2) | instskip(SKIP_1) | instid1(VALU_DEP_2)
	v_pk_fma_f32 v[98:99], v[102:103], v[28:29], v[98:99] op_sel:[1,0,0]
	v_mov_b32_e32 v29, v46
	v_pk_fma_f32 v[98:99], v[104:105], v[26:27], v[98:99] op_sel_hi:[0,1,1]
	v_mov_b32_e32 v26, v74
	s_delay_alu instid0(VALU_DEP_2) | instskip(SKIP_2) | instid1(VALU_DEP_2)
	v_pk_fma_f32 v[98:99], v[44:45], v[28:29], v[98:99] op_sel_hi:[0,1,1]
	v_mov_b32_e32 v29, v74
	s_wait_loadcnt 0x4
	v_pk_fma_f32 v[98:99], v[16:17], v[26:27], v[98:99] op_sel_hi:[0,1,1]
	v_dual_mov_b32 v26, v70 :: v_dual_mov_b32 v60, v19
	s_wait_loadcnt 0x3
	v_mov_b32_e32 v94, v33
	s_delay_alu instid0(VALU_DEP_3) | instskip(SKIP_2) | instid1(VALU_DEP_2)
	v_pk_fma_f32 v[98:99], v[16:17], v[28:29], v[98:99] op_sel:[1,0,0]
	s_wait_loadcnt 0x2
	v_dual_mov_b32 v29, v70 :: v_dual_mov_b32 v96, v37
	v_pk_fma_f32 v[98:99], v[18:19], v[26:27], v[98:99] op_sel_hi:[0,1,1]
	s_wait_loadcnt 0x1
	v_dual_mov_b32 v26, v66 :: v_dual_mov_b32 v106, v93
	s_delay_alu instid0(VALU_DEP_2) | instskip(SKIP_1) | instid1(VALU_DEP_2)
	v_pk_fma_f32 v[98:99], v[60:61], v[28:29], v[98:99] op_sel_hi:[0,1,1]
	v_mov_b32_e32 v29, v55
	v_pk_fma_f32 v[98:99], v[30:31], v[26:27], v[98:99] op_sel_hi:[0,1,1]
	v_mov_b32_e32 v26, v55
	s_delay_alu instid0(VALU_DEP_1) | instskip(SKIP_1) | instid1(VALU_DEP_2)
	v_pk_fma_f32 v[38:39], v[100:101], v[26:27], v[38:39] op_sel_hi:[0,1,1]
	v_mov_b32_e32 v26, v51
	v_pk_fma_f32 v[38:39], v[40:41], v[28:29], v[38:39] op_sel_hi:[0,1,1]
	v_mov_b32_e32 v29, v51
	s_delay_alu instid0(VALU_DEP_2) | instskip(SKIP_1) | instid1(VALU_DEP_2)
	v_pk_fma_f32 v[38:39], v[102:103], v[26:27], v[38:39] op_sel_hi:[0,1,1]
	v_mov_b32_e32 v26, v47
	v_pk_fma_f32 v[38:39], v[102:103], v[28:29], v[38:39] op_sel:[1,0,0]
	v_mov_b32_e32 v29, v47
	s_delay_alu instid0(VALU_DEP_2) | instskip(SKIP_1) | instid1(VALU_DEP_2)
	v_pk_fma_f32 v[38:39], v[104:105], v[26:27], v[38:39] op_sel_hi:[0,1,1]
	v_mov_b32_e32 v26, v75
	v_pk_fma_f32 v[38:39], v[44:45], v[28:29], v[38:39] op_sel_hi:[0,1,1]
	v_mov_b32_e32 v29, v75
	s_delay_alu instid0(VALU_DEP_2) | instskip(SKIP_1) | instid1(VALU_DEP_2)
	v_pk_fma_f32 v[38:39], v[16:17], v[26:27], v[38:39] op_sel_hi:[0,1,1]
	v_mov_b32_e32 v26, v71
	v_pk_fma_f32 v[38:39], v[16:17], v[28:29], v[38:39] op_sel:[1,0,0]
	v_mov_b32_e32 v29, v71
	s_delay_alu instid0(VALU_DEP_2) | instskip(SKIP_1) | instid1(VALU_DEP_2)
	v_pk_fma_f32 v[38:39], v[18:19], v[26:27], v[38:39] op_sel_hi:[0,1,1]
	v_mov_b32_e32 v26, v67
	v_pk_fma_f32 v[38:39], v[60:61], v[28:29], v[38:39] op_sel_hi:[0,1,1]
	v_mov_b32_e32 v29, v56
	s_delay_alu instid0(VALU_DEP_2) | instskip(SKIP_1) | instid1(VALU_DEP_1)
	v_pk_fma_f32 v[38:39], v[30:31], v[26:27], v[38:39] op_sel_hi:[0,1,1]
	v_mov_b32_e32 v26, v56
	v_pk_fma_f32 v[42:43], v[100:101], v[26:27], v[42:43] op_sel_hi:[0,1,1]
	v_mov_b32_e32 v26, v52
	s_delay_alu instid0(VALU_DEP_2) | instskip(SKIP_1) | instid1(VALU_DEP_2)
	v_pk_fma_f32 v[42:43], v[40:41], v[28:29], v[42:43] op_sel_hi:[0,1,1]
	v_mov_b32_e32 v29, v52
	v_pk_fma_f32 v[42:43], v[102:103], v[26:27], v[42:43] op_sel_hi:[0,1,1]
	v_mov_b32_e32 v26, v48
	s_delay_alu instid0(VALU_DEP_2) | instskip(SKIP_1) | instid1(VALU_DEP_2)
	v_pk_fma_f32 v[42:43], v[102:103], v[28:29], v[42:43] op_sel:[1,0,0]
	v_mov_b32_e32 v29, v48
	v_pk_fma_f32 v[42:43], v[104:105], v[26:27], v[42:43] op_sel_hi:[0,1,1]
	v_mov_b32_e32 v26, v76
	s_delay_alu instid0(VALU_DEP_2) | instskip(SKIP_1) | instid1(VALU_DEP_2)
	v_pk_fma_f32 v[42:43], v[44:45], v[28:29], v[42:43] op_sel_hi:[0,1,1]
	v_mov_b32_e32 v29, v76
	v_pk_fma_f32 v[42:43], v[16:17], v[26:27], v[42:43] op_sel_hi:[0,1,1]
	v_mov_b32_e32 v26, v72
	s_delay_alu instid0(VALU_DEP_2) | instskip(SKIP_1) | instid1(VALU_DEP_2)
	v_pk_fma_f32 v[42:43], v[16:17], v[28:29], v[42:43] op_sel:[1,0,0]
	v_mov_b32_e32 v29, v72
	v_pk_fma_f32 v[42:43], v[18:19], v[26:27], v[42:43] op_sel_hi:[0,1,1]
	v_mov_b32_e32 v26, v68
	s_delay_alu instid0(VALU_DEP_2) | instskip(SKIP_1) | instid1(VALU_DEP_2)
	v_pk_fma_f32 v[42:43], v[60:61], v[28:29], v[42:43] op_sel_hi:[0,1,1]
	v_mov_b32_e32 v29, v57
	v_pk_fma_f32 v[42:43], v[30:31], v[26:27], v[42:43] op_sel_hi:[0,1,1]
	v_mov_b32_e32 v26, v57
	s_delay_alu instid0(VALU_DEP_1) | instskip(SKIP_1) | instid1(VALU_DEP_2)
	v_pk_fma_f32 v[46:47], v[100:101], v[26:27], v[58:59] op_sel_hi:[0,1,1]
	v_mov_b32_e32 v26, v53
	v_pk_fma_f32 v[40:41], v[40:41], v[28:29], v[46:47] op_sel_hi:[0,1,1]
	v_mov_b32_e32 v29, v53
	s_delay_alu instid0(VALU_DEP_2) | instskip(SKIP_1) | instid1(VALU_DEP_2)
	v_pk_fma_f32 v[40:41], v[102:103], v[26:27], v[40:41] op_sel_hi:[0,1,1]
	v_mov_b32_e32 v26, v49
	v_pk_fma_f32 v[40:41], v[102:103], v[28:29], v[40:41] op_sel:[1,0,0]
	v_mov_b32_e32 v29, v49
	s_delay_alu instid0(VALU_DEP_2) | instskip(SKIP_1) | instid1(VALU_DEP_2)
	v_pk_fma_f32 v[40:41], v[104:105], v[26:27], v[40:41] op_sel_hi:[0,1,1]
	v_mov_b32_e32 v26, v77
	v_pk_fma_f32 v[40:41], v[44:45], v[28:29], v[40:41] op_sel_hi:[0,1,1]
	v_mov_b32_e32 v29, v77
	s_delay_alu instid0(VALU_DEP_2) | instskip(SKIP_1) | instid1(VALU_DEP_2)
	v_pk_fma_f32 v[40:41], v[16:17], v[26:27], v[40:41] op_sel_hi:[0,1,1]
	v_mov_b32_e32 v26, v73
	v_pk_fma_f32 v[16:17], v[16:17], v[28:29], v[40:41] op_sel:[1,0,0]
	v_mov_b32_e32 v29, v73
	s_delay_alu instid0(VALU_DEP_2) | instskip(SKIP_1) | instid1(VALU_DEP_2)
	v_pk_fma_f32 v[16:17], v[18:19], v[26:27], v[16:17] op_sel_hi:[0,1,1]
	v_mov_b32_e32 v26, v69
	v_pk_fma_f32 v[16:17], v[60:61], v[28:29], v[16:17] op_sel_hi:[0,1,1]
	v_mov_b32_e32 v29, v66
	s_delay_alu instid0(VALU_DEP_2) | instskip(NEXT) | instid1(VALU_DEP_2)
	v_pk_fma_f32 v[40:41], v[30:31], v[26:27], v[16:17] op_sel_hi:[0,1,1]
	v_pk_fma_f32 v[16:17], v[30:31], v[28:29], v[98:99] op_sel:[1,0,0]
	v_dual_mov_b32 v26, v62 :: v_dual_mov_b32 v29, v62
	s_delay_alu instid0(VALU_DEP_1) | instskip(SKIP_1) | instid1(VALU_DEP_2)
	v_pk_fma_f32 v[16:17], v[32:33], v[26:27], v[16:17] op_sel_hi:[0,1,1]
	v_mov_b32_e32 v26, v82
	v_pk_fma_f32 v[16:17], v[94:95], v[28:29], v[16:17] op_sel_hi:[0,1,1]
	v_mov_b32_e32 v29, v82
	s_delay_alu instid0(VALU_DEP_2) | instskip(SKIP_1) | instid1(VALU_DEP_2)
	v_pk_fma_f32 v[16:17], v[34:35], v[26:27], v[16:17] op_sel_hi:[0,1,1]
	v_mov_b32_e32 v26, v78
	v_pk_fma_f32 v[16:17], v[34:35], v[28:29], v[16:17] op_sel:[1,0,0]
	v_mov_b32_e32 v29, v78
	s_delay_alu instid0(VALU_DEP_2) | instskip(SKIP_1) | instid1(VALU_DEP_2)
	v_pk_fma_f32 v[16:17], v[36:37], v[26:27], v[16:17] op_sel_hi:[0,1,1]
	v_mov_b32_e32 v26, v86
	v_pk_fma_f32 v[16:17], v[96:97], v[28:29], v[16:17] op_sel_hi:[0,1,1]
	v_mov_b32_e32 v29, v86
	s_delay_alu instid0(VALU_DEP_2) | instskip(SKIP_2) | instid1(VALU_DEP_2)
	v_pk_fma_f32 v[16:17], v[90:91], v[26:27], v[16:17] op_sel_hi:[0,1,1]
	s_wait_loadcnt 0x0
	v_mov_b32_e32 v26, v20
	v_pk_fma_f32 v[16:17], v[90:91], v[28:29], v[16:17] op_sel:[1,0,0]
	v_mov_b32_e32 v29, v20
	s_delay_alu instid0(VALU_DEP_2) | instskip(SKIP_1) | instid1(VALU_DEP_2)
	v_pk_fma_f32 v[16:17], v[92:93], v[26:27], v[16:17] op_sel_hi:[0,1,1]
	v_mov_b32_e32 v26, v63
	v_pk_fma_f32 v[16:17], v[106:107], v[28:29], v[16:17] op_sel_hi:[0,1,1]
	v_mov_b32_e32 v29, v67
	s_delay_alu instid0(VALU_DEP_1) | instskip(SKIP_1) | instid1(VALU_DEP_2)
	v_pk_fma_f32 v[18:19], v[30:31], v[28:29], v[38:39] op_sel:[1,0,0]
	v_mov_b32_e32 v29, v63
	v_pk_fma_f32 v[18:19], v[32:33], v[26:27], v[18:19] op_sel_hi:[0,1,1]
	v_mov_b32_e32 v26, v83
	s_delay_alu instid0(VALU_DEP_2) | instskip(SKIP_1) | instid1(VALU_DEP_2)
	v_pk_fma_f32 v[18:19], v[94:95], v[28:29], v[18:19] op_sel_hi:[0,1,1]
	v_mov_b32_e32 v29, v83
	v_pk_fma_f32 v[18:19], v[34:35], v[26:27], v[18:19] op_sel_hi:[0,1,1]
	v_mov_b32_e32 v26, v79
	s_delay_alu instid0(VALU_DEP_2) | instskip(SKIP_1) | instid1(VALU_DEP_2)
	v_pk_fma_f32 v[18:19], v[34:35], v[28:29], v[18:19] op_sel:[1,0,0]
	v_mov_b32_e32 v29, v79
	v_pk_fma_f32 v[18:19], v[36:37], v[26:27], v[18:19] op_sel_hi:[0,1,1]
	v_mov_b32_e32 v26, v87
	s_delay_alu instid0(VALU_DEP_2) | instskip(SKIP_1) | instid1(VALU_DEP_2)
	v_pk_fma_f32 v[18:19], v[96:97], v[28:29], v[18:19] op_sel_hi:[0,1,1]
	v_mov_b32_e32 v29, v87
	v_pk_fma_f32 v[18:19], v[90:91], v[26:27], v[18:19] op_sel_hi:[0,1,1]
	v_mov_b32_e32 v26, v21
	s_delay_alu instid0(VALU_DEP_2) | instskip(SKIP_1) | instid1(VALU_DEP_2)
	v_pk_fma_f32 v[18:19], v[90:91], v[28:29], v[18:19] op_sel:[1,0,0]
	v_mov_b32_e32 v29, v21
	v_pk_fma_f32 v[18:19], v[92:93], v[26:27], v[18:19] op_sel_hi:[0,1,1]
	v_mov_b32_e32 v26, v64
	s_delay_alu instid0(VALU_DEP_2) | instskip(SKIP_1) | instid1(VALU_DEP_1)
	v_pk_fma_f32 v[20:21], v[106:107], v[28:29], v[18:19] op_sel_hi:[0,1,1]
	v_mov_b32_e32 v29, v68
	v_pk_fma_f32 v[18:19], v[30:31], v[28:29], v[42:43] op_sel:[1,0,0]
	v_mov_b32_e32 v29, v64
	s_delay_alu instid0(VALU_DEP_2) | instskip(SKIP_1) | instid1(VALU_DEP_2)
	v_pk_fma_f32 v[18:19], v[32:33], v[26:27], v[18:19] op_sel_hi:[0,1,1]
	v_mov_b32_e32 v26, v84
	v_pk_fma_f32 v[18:19], v[94:95], v[28:29], v[18:19] op_sel_hi:[0,1,1]
	v_mov_b32_e32 v29, v84
	s_delay_alu instid0(VALU_DEP_2) | instskip(SKIP_1) | instid1(VALU_DEP_2)
	v_pk_fma_f32 v[18:19], v[34:35], v[26:27], v[18:19] op_sel_hi:[0,1,1]
	v_mov_b32_e32 v26, v80
	v_pk_fma_f32 v[18:19], v[34:35], v[28:29], v[18:19] op_sel:[1,0,0]
	v_mov_b32_e32 v29, v80
	s_delay_alu instid0(VALU_DEP_2) | instskip(SKIP_1) | instid1(VALU_DEP_2)
	v_pk_fma_f32 v[18:19], v[36:37], v[26:27], v[18:19] op_sel_hi:[0,1,1]
	v_mov_b32_e32 v26, v88
	v_pk_fma_f32 v[18:19], v[96:97], v[28:29], v[18:19] op_sel_hi:[0,1,1]
	v_mov_b32_e32 v29, v88
	s_delay_alu instid0(VALU_DEP_2) | instskip(SKIP_1) | instid1(VALU_DEP_2)
	v_pk_fma_f32 v[18:19], v[90:91], v[26:27], v[18:19] op_sel_hi:[0,1,1]
	v_mov_b32_e32 v26, v22
	v_pk_fma_f32 v[18:19], v[90:91], v[28:29], v[18:19] op_sel:[1,0,0]
	v_mov_b32_e32 v29, v22
	s_delay_alu instid0(VALU_DEP_2) | instskip(SKIP_1) | instid1(VALU_DEP_2)
	v_pk_fma_f32 v[18:19], v[92:93], v[26:27], v[18:19] op_sel_hi:[0,1,1]
	v_mov_b32_e32 v26, v65
	v_pk_fma_f32 v[18:19], v[106:107], v[28:29], v[18:19] op_sel_hi:[0,1,1]
	v_mov_b32_e32 v29, v69
	s_delay_alu instid0(VALU_DEP_1) | instskip(SKIP_1) | instid1(VALU_DEP_2)
	v_pk_fma_f32 v[30:31], v[30:31], v[28:29], v[40:41] op_sel:[1,0,0]
	v_mov_b32_e32 v29, v65
	v_pk_fma_f32 v[30:31], v[32:33], v[26:27], v[30:31] op_sel_hi:[0,1,1]
	v_mov_b32_e32 v26, v85
	s_delay_alu instid0(VALU_DEP_2) | instskip(SKIP_1) | instid1(VALU_DEP_2)
	v_pk_fma_f32 v[30:31], v[94:95], v[28:29], v[30:31] op_sel_hi:[0,1,1]
	v_mov_b32_e32 v29, v85
	v_pk_fma_f32 v[30:31], v[34:35], v[26:27], v[30:31] op_sel_hi:[0,1,1]
	v_mov_b32_e32 v26, v81
	s_delay_alu instid0(VALU_DEP_2) | instskip(SKIP_1) | instid1(VALU_DEP_2)
	v_pk_fma_f32 v[30:31], v[34:35], v[28:29], v[30:31] op_sel:[1,0,0]
	v_mov_b32_e32 v29, v81
	v_pk_fma_f32 v[30:31], v[36:37], v[26:27], v[30:31] op_sel_hi:[0,1,1]
	v_mov_b32_e32 v26, v89
	s_delay_alu instid0(VALU_DEP_2) | instskip(SKIP_1) | instid1(VALU_DEP_2)
	v_pk_fma_f32 v[30:31], v[96:97], v[28:29], v[30:31] op_sel_hi:[0,1,1]
	v_mov_b32_e32 v29, v89
	v_pk_fma_f32 v[30:31], v[90:91], v[26:27], v[30:31] op_sel_hi:[0,1,1]
	v_mov_b32_e32 v26, v23
	s_delay_alu instid0(VALU_DEP_2) | instskip(SKIP_1) | instid1(VALU_DEP_2)
	v_pk_fma_f32 v[30:31], v[90:91], v[28:29], v[30:31] op_sel:[1,0,0]
	v_mov_b32_e32 v29, v23
	v_pk_fma_f32 v[22:23], v[92:93], v[26:27], v[30:31] op_sel_hi:[0,1,1]
	s_delay_alu instid0(VALU_DEP_1)
	v_pk_fma_f32 v[22:23], v[106:107], v[28:29], v[22:23] op_sel_hi:[0,1,1]
	s_and_not1_b32 exec_lo, exec_lo, s7
	s_cbranch_execnz .LBB132_31
; %bb.32:
	s_or_b32 exec_lo, exec_lo, s7
.LBB132_33:
	s_delay_alu instid0(SALU_CYCLE_1)
	s_or_b32 exec_lo, exec_lo, s3
.LBB132_34:
	s_delay_alu instid0(SALU_CYCLE_1)
	s_or_b32 exec_lo, exec_lo, s6
.LBB132_35:
	v_mbcnt_lo_u32_b32 v1, -1, 0
	s_delay_alu instid0(VALU_DEP_1) | instskip(SKIP_1) | instid1(VALU_DEP_1)
	v_xor_b32_e32 v24, 4, v1
	v_xor_b32_e32 v8, 8, v1
	v_cmp_gt_i32_e32 vcc_lo, 32, v8
	v_cndmask_b32_e32 v8, v1, v8, vcc_lo
	s_delay_alu instid0(VALU_DEP_1)
	v_lshlrev_b32_e32 v8, 2, v8
	ds_bpermute_b32 v10, v8, v17
	s_wait_dscnt 0x0
	v_add_f32_e32 v10, v17, v10
	ds_bpermute_b32 v11, v8, v20
	ds_bpermute_b32 v9, v8, v16
	;; [unrolled: 1-line block ×7, first 2 shown]
	s_wait_dscnt 0x6
	v_add_f32_e32 v11, v20, v11
	v_cmp_gt_i32_e32 vcc_lo, 32, v24
	s_wait_dscnt 0x3
	v_dual_add_f32 v9, v16, v9 :: v_dual_add_f32 v12, v21, v12
	s_wait_dscnt 0x1
	v_dual_add_f32 v14, v19, v14 :: v_dual_add_f32 v15, v22, v15
	s_wait_dscnt 0x0
	v_add_f32_e32 v8, v23, v8
	v_dual_cndmask_b32 v24, v1, v24 :: v_dual_add_f32 v13, v18, v13
	s_delay_alu instid0(VALU_DEP_1)
	v_lshlrev_b32_e32 v24, 2, v24
	ds_bpermute_b32 v16, v24, v9
	ds_bpermute_b32 v17, v24, v10
	;; [unrolled: 1-line block ×8, first 2 shown]
	s_wait_dscnt 0x7
	v_dual_add_f32 v9, v9, v16 :: v_dual_bitop2_b32 v24, 2, v1 bitop3:0x14
	s_delay_alu instid0(VALU_DEP_1)
	v_cmp_gt_i32_e32 vcc_lo, 32, v24
	s_wait_dscnt 0x4
	v_dual_add_f32 v10, v10, v17 :: v_dual_add_f32 v12, v12, v19
	s_wait_dscnt 0x2
	v_dual_add_f32 v13, v13, v20 :: v_dual_add_f32 v14, v14, v21
	s_wait_dscnt 0x1
	v_dual_add_f32 v15, v15, v22 :: v_dual_cndmask_b32 v24, v1, v24
	s_wait_dscnt 0x0
	v_dual_add_f32 v11, v11, v18 :: v_dual_add_f32 v16, v8, v23
	s_delay_alu instid0(VALU_DEP_2)
	v_lshlrev_b32_e32 v24, 2, v24
	ds_bpermute_b32 v8, v24, v9
	ds_bpermute_b32 v17, v24, v10
	;; [unrolled: 1-line block ×8, first 2 shown]
	v_xor_b32_e32 v24, 1, v1
	s_delay_alu instid0(VALU_DEP_1)
	v_cmp_gt_i32_e32 vcc_lo, 32, v24
	v_cndmask_b32_e32 v1, v1, v24, vcc_lo
	v_cmp_eq_u32_e32 vcc_lo, 15, v0
	s_wait_dscnt 0x6
	v_dual_add_f32 v8, v9, v8 :: v_dual_add_f32 v9, v10, v17
	s_wait_dscnt 0x5
	v_dual_add_f32 v10, v11, v18 :: v_dual_lshlrev_b32 v24, 2, v1
	s_wait_dscnt 0x3
	v_dual_add_f32 v11, v12, v19 :: v_dual_add_f32 v12, v13, v20
	s_wait_dscnt 0x1
	v_dual_add_f32 v13, v14, v21 :: v_dual_add_f32 v15, v15, v22
	s_wait_dscnt 0x0
	v_add_f32_e32 v1, v16, v23
	ds_bpermute_b32 v14, v24, v8
	ds_bpermute_b32 v17, v24, v9
	;; [unrolled: 1-line block ×8, first 2 shown]
	s_and_b32 exec_lo, exec_lo, vcc_lo
	s_cbranch_execz .LBB132_6
; %bb.36:
	s_load_b64 s[0:1], s[0:1], 0x58
	s_wait_dscnt 0x6
	v_dual_add_f32 v0, v8, v14 :: v_dual_add_f32 v20, v9, v17
	s_wait_dscnt 0x4
	v_dual_add_f32 v8, v10, v18 :: v_dual_add_f32 v18, v11, v19
	;; [unrolled: 2-line block ×3, first 2 shown]
	s_wait_dscnt 0x1
	v_add_f32_e32 v12, v15, v23
	v_cmp_eq_f32_e32 vcc_lo, 0, v4
	v_lshlrev_b64_e32 v[22:23], 5, v[6:7]
	s_wait_dscnt 0x0
	v_add_f32_e32 v6, v1, v16
	v_xor_b32_e32 v16, 0x80000000, v3
	s_xor_b32 s2, s2, -1
	s_delay_alu instid0(SALU_CYCLE_1) | instskip(NEXT) | instid1(SALU_CYCLE_1)
	s_and_b32 s2, vcc_lo, s2
	s_and_saveexec_b32 s3, s2
	s_delay_alu instid0(SALU_CYCLE_1)
	s_xor_b32 s2, exec_lo, s3
	s_cbranch_execz .LBB132_38
; %bb.37:
	v_mov_b32_e32 v17, v2
	s_delay_alu instid0(VALU_DEP_1)
	v_pk_mul_f32 v[4:5], v[20:21], v[16:17] op_sel_hi:[0,1]
	v_pk_mul_f32 v[18:19], v[18:19], v[16:17] op_sel_hi:[0,1]
	;; [unrolled: 1-line block ×4, first 2 shown]
	s_wait_kmcnt 0x0
	v_add_nc_u64_e32 v[20:21], s[0:1], v[22:23]
	v_pk_fma_f32 v[4:5], v[2:3], v[0:1], v[4:5] op_sel_hi:[1,0,1]
	v_pk_fma_f32 v[6:7], v[2:3], v[8:9], v[18:19] op_sel_hi:[1,0,1]
	;; [unrolled: 1-line block ×4, first 2 shown]
                                        ; implicit-def: $vgpr8
                                        ; implicit-def: $vgpr18
                                        ; implicit-def: $vgpr10
                                        ; implicit-def: $vgpr14
                                        ; implicit-def: $vgpr12
                                        ; implicit-def: $vgpr16
                                        ; implicit-def: $vgpr22_vgpr23
	s_clause 0x1
	global_store_b128 v[20:21], v[4:7], off
	global_store_b128 v[20:21], v[0:3], off offset:16
                                        ; implicit-def: $vgpr0
                                        ; implicit-def: $vgpr20
                                        ; implicit-def: $vgpr6
                                        ; implicit-def: $vgpr2_vgpr3
                                        ; implicit-def: $vgpr4_vgpr5
.LBB132_38:
	s_wait_xcnt 0x0
	s_and_not1_saveexec_b32 s2, s2
	s_cbranch_execz .LBB132_6
; %bb.39:
	s_wait_kmcnt 0x0
	v_add_nc_u64_e32 v[30:31], s[0:1], v[22:23]
	v_dual_mov_b32 v17, v2 :: v_dual_mov_b32 v33, v4
	v_xor_b32_e32 v32, 0x80000000, v5
	s_clause 0x1
	global_load_b128 v[22:25], v[30:31], off
	global_load_b128 v[26:29], v[30:31], off offset:16
	v_pk_mul_f32 v[20:21], v[20:21], v[16:17] op_sel_hi:[0,1]
	v_pk_mul_f32 v[18:19], v[18:19], v[16:17] op_sel_hi:[0,1]
	;; [unrolled: 1-line block ×4, first 2 shown]
	s_delay_alu instid0(VALU_DEP_4) | instskip(NEXT) | instid1(VALU_DEP_4)
	v_pk_fma_f32 v[0:1], v[2:3], v[0:1], v[20:21] op_sel_hi:[1,0,1]
	v_pk_fma_f32 v[8:9], v[2:3], v[8:9], v[18:19] op_sel_hi:[1,0,1]
	s_delay_alu instid0(VALU_DEP_4) | instskip(NEXT) | instid1(VALU_DEP_4)
	v_pk_fma_f32 v[10:11], v[2:3], v[10:11], v[14:15] op_sel_hi:[1,0,1]
	v_pk_fma_f32 v[2:3], v[2:3], v[12:13], v[6:7] op_sel_hi:[1,0,1]
	s_wait_loadcnt 0x1
	v_pk_fma_f32 v[0:1], v[4:5], v[22:23], v[0:1] op_sel_hi:[1,0,1]
	v_pk_fma_f32 v[6:7], v[4:5], v[24:25], v[8:9] op_sel_hi:[1,0,1]
	s_wait_loadcnt 0x0
	v_dual_mov_b32 v8, v25 :: v_dual_mov_b32 v14, v29
	v_pk_fma_f32 v[10:11], v[4:5], v[26:27], v[10:11] op_sel_hi:[1,0,1]
	v_pk_fma_f32 v[12:13], v[4:5], v[28:29], v[2:3] op_sel_hi:[1,0,1]
	v_pk_fma_f32 v[0:1], v[32:33], v[22:23], v[0:1] op_sel:[0,1,0]
	s_delay_alu instid0(VALU_DEP_4) | instskip(NEXT) | instid1(VALU_DEP_4)
	v_pk_fma_f32 v[2:3], v[32:33], v[8:9], v[6:7] op_sel_hi:[1,0,1]
	v_pk_fma_f32 v[4:5], v[32:33], v[26:27], v[10:11] op_sel:[0,1,0]
	s_delay_alu instid0(VALU_DEP_4)
	v_pk_fma_f32 v[6:7], v[32:33], v[14:15], v[12:13] op_sel_hi:[1,0,1]
	s_clause 0x1
	global_store_b128 v[30:31], v[0:3], off
	global_store_b128 v[30:31], v[4:7], off offset:16
	s_sendmsg sendmsg(MSG_DEALLOC_VGPRS)
	s_endpgm
	.section	.rodata,"a",@progbits
	.p2align	6, 0x0
	.amdhsa_kernel _ZN9rocsparseL18bsrxmvn_4x4_kernelILj128ELj16E21rocsparse_complex_numIfEllfS2_S2_EEvT3_20rocsparse_direction_NS_24const_host_device_scalarIT1_EES3_PKS3_PKT2_SC_S9_PKT4_PKT5_S7_PT6_21rocsparse_index_base_b
		.amdhsa_group_segment_fixed_size 0
		.amdhsa_private_segment_fixed_size 0
		.amdhsa_kernarg_size 104
		.amdhsa_user_sgpr_count 2
		.amdhsa_user_sgpr_dispatch_ptr 0
		.amdhsa_user_sgpr_queue_ptr 0
		.amdhsa_user_sgpr_kernarg_segment_ptr 1
		.amdhsa_user_sgpr_dispatch_id 0
		.amdhsa_user_sgpr_kernarg_preload_length 0
		.amdhsa_user_sgpr_kernarg_preload_offset 0
		.amdhsa_user_sgpr_private_segment_size 0
		.amdhsa_wavefront_size32 1
		.amdhsa_uses_dynamic_stack 0
		.amdhsa_enable_private_segment 0
		.amdhsa_system_sgpr_workgroup_id_x 1
		.amdhsa_system_sgpr_workgroup_id_y 0
		.amdhsa_system_sgpr_workgroup_id_z 0
		.amdhsa_system_sgpr_workgroup_info 0
		.amdhsa_system_vgpr_workitem_id 0
		.amdhsa_next_free_vgpr 126
		.amdhsa_next_free_sgpr 14
		.amdhsa_named_barrier_count 0
		.amdhsa_reserve_vcc 1
		.amdhsa_float_round_mode_32 0
		.amdhsa_float_round_mode_16_64 0
		.amdhsa_float_denorm_mode_32 3
		.amdhsa_float_denorm_mode_16_64 3
		.amdhsa_fp16_overflow 0
		.amdhsa_memory_ordered 1
		.amdhsa_forward_progress 1
		.amdhsa_inst_pref_size 65
		.amdhsa_round_robin_scheduling 0
		.amdhsa_exception_fp_ieee_invalid_op 0
		.amdhsa_exception_fp_denorm_src 0
		.amdhsa_exception_fp_ieee_div_zero 0
		.amdhsa_exception_fp_ieee_overflow 0
		.amdhsa_exception_fp_ieee_underflow 0
		.amdhsa_exception_fp_ieee_inexact 0
		.amdhsa_exception_int_div_zero 0
	.end_amdhsa_kernel
	.section	.text._ZN9rocsparseL18bsrxmvn_4x4_kernelILj128ELj16E21rocsparse_complex_numIfEllfS2_S2_EEvT3_20rocsparse_direction_NS_24const_host_device_scalarIT1_EES3_PKS3_PKT2_SC_S9_PKT4_PKT5_S7_PT6_21rocsparse_index_base_b,"axG",@progbits,_ZN9rocsparseL18bsrxmvn_4x4_kernelILj128ELj16E21rocsparse_complex_numIfEllfS2_S2_EEvT3_20rocsparse_direction_NS_24const_host_device_scalarIT1_EES3_PKS3_PKT2_SC_S9_PKT4_PKT5_S7_PT6_21rocsparse_index_base_b,comdat
.Lfunc_end132:
	.size	_ZN9rocsparseL18bsrxmvn_4x4_kernelILj128ELj16E21rocsparse_complex_numIfEllfS2_S2_EEvT3_20rocsparse_direction_NS_24const_host_device_scalarIT1_EES3_PKS3_PKT2_SC_S9_PKT4_PKT5_S7_PT6_21rocsparse_index_base_b, .Lfunc_end132-_ZN9rocsparseL18bsrxmvn_4x4_kernelILj128ELj16E21rocsparse_complex_numIfEllfS2_S2_EEvT3_20rocsparse_direction_NS_24const_host_device_scalarIT1_EES3_PKS3_PKT2_SC_S9_PKT4_PKT5_S7_PT6_21rocsparse_index_base_b
                                        ; -- End function
	.set _ZN9rocsparseL18bsrxmvn_4x4_kernelILj128ELj16E21rocsparse_complex_numIfEllfS2_S2_EEvT3_20rocsparse_direction_NS_24const_host_device_scalarIT1_EES3_PKS3_PKT2_SC_S9_PKT4_PKT5_S7_PT6_21rocsparse_index_base_b.num_vgpr, 126
	.set _ZN9rocsparseL18bsrxmvn_4x4_kernelILj128ELj16E21rocsparse_complex_numIfEllfS2_S2_EEvT3_20rocsparse_direction_NS_24const_host_device_scalarIT1_EES3_PKS3_PKT2_SC_S9_PKT4_PKT5_S7_PT6_21rocsparse_index_base_b.num_agpr, 0
	.set _ZN9rocsparseL18bsrxmvn_4x4_kernelILj128ELj16E21rocsparse_complex_numIfEllfS2_S2_EEvT3_20rocsparse_direction_NS_24const_host_device_scalarIT1_EES3_PKS3_PKT2_SC_S9_PKT4_PKT5_S7_PT6_21rocsparse_index_base_b.numbered_sgpr, 14
	.set _ZN9rocsparseL18bsrxmvn_4x4_kernelILj128ELj16E21rocsparse_complex_numIfEllfS2_S2_EEvT3_20rocsparse_direction_NS_24const_host_device_scalarIT1_EES3_PKS3_PKT2_SC_S9_PKT4_PKT5_S7_PT6_21rocsparse_index_base_b.num_named_barrier, 0
	.set _ZN9rocsparseL18bsrxmvn_4x4_kernelILj128ELj16E21rocsparse_complex_numIfEllfS2_S2_EEvT3_20rocsparse_direction_NS_24const_host_device_scalarIT1_EES3_PKS3_PKT2_SC_S9_PKT4_PKT5_S7_PT6_21rocsparse_index_base_b.private_seg_size, 0
	.set _ZN9rocsparseL18bsrxmvn_4x4_kernelILj128ELj16E21rocsparse_complex_numIfEllfS2_S2_EEvT3_20rocsparse_direction_NS_24const_host_device_scalarIT1_EES3_PKS3_PKT2_SC_S9_PKT4_PKT5_S7_PT6_21rocsparse_index_base_b.uses_vcc, 1
	.set _ZN9rocsparseL18bsrxmvn_4x4_kernelILj128ELj16E21rocsparse_complex_numIfEllfS2_S2_EEvT3_20rocsparse_direction_NS_24const_host_device_scalarIT1_EES3_PKS3_PKT2_SC_S9_PKT4_PKT5_S7_PT6_21rocsparse_index_base_b.uses_flat_scratch, 1
	.set _ZN9rocsparseL18bsrxmvn_4x4_kernelILj128ELj16E21rocsparse_complex_numIfEllfS2_S2_EEvT3_20rocsparse_direction_NS_24const_host_device_scalarIT1_EES3_PKS3_PKT2_SC_S9_PKT4_PKT5_S7_PT6_21rocsparse_index_base_b.has_dyn_sized_stack, 0
	.set _ZN9rocsparseL18bsrxmvn_4x4_kernelILj128ELj16E21rocsparse_complex_numIfEllfS2_S2_EEvT3_20rocsparse_direction_NS_24const_host_device_scalarIT1_EES3_PKS3_PKT2_SC_S9_PKT4_PKT5_S7_PT6_21rocsparse_index_base_b.has_recursion, 0
	.set _ZN9rocsparseL18bsrxmvn_4x4_kernelILj128ELj16E21rocsparse_complex_numIfEllfS2_S2_EEvT3_20rocsparse_direction_NS_24const_host_device_scalarIT1_EES3_PKS3_PKT2_SC_S9_PKT4_PKT5_S7_PT6_21rocsparse_index_base_b.has_indirect_call, 0
	.section	.AMDGPU.csdata,"",@progbits
; Kernel info:
; codeLenInByte = 8260
; TotalNumSgprs: 16
; NumVgprs: 126
; ScratchSize: 0
; MemoryBound: 0
; FloatMode: 240
; IeeeMode: 1
; LDSByteSize: 0 bytes/workgroup (compile time only)
; SGPRBlocks: 0
; VGPRBlocks: 7
; NumSGPRsForWavesPerEU: 16
; NumVGPRsForWavesPerEU: 126
; NamedBarCnt: 0
; Occupancy: 8
; WaveLimiterHint : 1
; COMPUTE_PGM_RSRC2:SCRATCH_EN: 0
; COMPUTE_PGM_RSRC2:USER_SGPR: 2
; COMPUTE_PGM_RSRC2:TRAP_HANDLER: 0
; COMPUTE_PGM_RSRC2:TGID_X_EN: 1
; COMPUTE_PGM_RSRC2:TGID_Y_EN: 0
; COMPUTE_PGM_RSRC2:TGID_Z_EN: 0
; COMPUTE_PGM_RSRC2:TIDIG_COMP_CNT: 0
	.section	.text._ZN9rocsparseL18bsrxmvn_4x4_kernelILj128ELj32E21rocsparse_complex_numIfEllfS2_S2_EEvT3_20rocsparse_direction_NS_24const_host_device_scalarIT1_EES3_PKS3_PKT2_SC_S9_PKT4_PKT5_S7_PT6_21rocsparse_index_base_b,"axG",@progbits,_ZN9rocsparseL18bsrxmvn_4x4_kernelILj128ELj32E21rocsparse_complex_numIfEllfS2_S2_EEvT3_20rocsparse_direction_NS_24const_host_device_scalarIT1_EES3_PKS3_PKT2_SC_S9_PKT4_PKT5_S7_PT6_21rocsparse_index_base_b,comdat
	.globl	_ZN9rocsparseL18bsrxmvn_4x4_kernelILj128ELj32E21rocsparse_complex_numIfEllfS2_S2_EEvT3_20rocsparse_direction_NS_24const_host_device_scalarIT1_EES3_PKS3_PKT2_SC_S9_PKT4_PKT5_S7_PT6_21rocsparse_index_base_b ; -- Begin function _ZN9rocsparseL18bsrxmvn_4x4_kernelILj128ELj32E21rocsparse_complex_numIfEllfS2_S2_EEvT3_20rocsparse_direction_NS_24const_host_device_scalarIT1_EES3_PKS3_PKT2_SC_S9_PKT4_PKT5_S7_PT6_21rocsparse_index_base_b
	.p2align	8
	.type	_ZN9rocsparseL18bsrxmvn_4x4_kernelILj128ELj32E21rocsparse_complex_numIfEllfS2_S2_EEvT3_20rocsparse_direction_NS_24const_host_device_scalarIT1_EES3_PKS3_PKT2_SC_S9_PKT4_PKT5_S7_PT6_21rocsparse_index_base_b,@function
_ZN9rocsparseL18bsrxmvn_4x4_kernelILj128ELj32E21rocsparse_complex_numIfEllfS2_S2_EEvT3_20rocsparse_direction_NS_24const_host_device_scalarIT1_EES3_PKS3_PKT2_SC_S9_PKT4_PKT5_S7_PT6_21rocsparse_index_base_b: ; @_ZN9rocsparseL18bsrxmvn_4x4_kernelILj128ELj32E21rocsparse_complex_numIfEllfS2_S2_EEvT3_20rocsparse_direction_NS_24const_host_device_scalarIT1_EES3_PKS3_PKT2_SC_S9_PKT4_PKT5_S7_PT6_21rocsparse_index_base_b
; %bb.0:
	s_clause 0x2
	s_load_b64 s[8:9], s[0:1], 0x60
	s_load_b128 s[4:7], s[0:1], 0x10
	s_load_b64 s[2:3], s[0:1], 0x50
	v_mov_b32_e32 v11, 0
	s_add_nc_u64 s[10:11], s[0:1], 16
	s_add_nc_u64 s[12:13], s[0:1], 0x50
	s_wait_kmcnt 0x0
	s_bitcmp1_b32 s9, 0
	s_cselect_b32 s5, s11, s5
	s_cselect_b32 s4, s10, s4
	;; [unrolled: 1-line block ×4, first 2 shown]
	s_clause 0x1
	flat_load_b64 v[2:3], v11, s[4:5]
	flat_load_b64 v[4:5], v11, s[2:3]
	s_wait_loadcnt_dscnt 0x101
	v_cmp_neq_f32_e32 vcc_lo, 0, v2
	s_wait_xcnt 0x0
	v_cmp_neq_f32_e64 s3, 0, v3
	s_wait_loadcnt_dscnt 0x0
	v_cmp_neq_f32_e64 s4, 1.0, v4
	v_cmp_neq_f32_e64 s2, 0, v5
	s_or_b32 s5, vcc_lo, s3
	s_mov_b32 s3, 0
	s_or_b32 s4, s4, s2
	s_delay_alu instid0(SALU_CYCLE_1) | instskip(NEXT) | instid1(SALU_CYCLE_1)
	s_or_b32 s4, s5, s4
	s_and_saveexec_b32 s5, s4
	s_cbranch_execz .LBB133_6
; %bb.1:
	s_load_b64 s[4:5], s[0:1], 0x20
	s_bfe_u32 s9, ttmp6, 0x4000c
	s_and_b32 s10, ttmp6, 15
	s_add_co_i32 s9, s9, 1
	s_getreg_b32 s11, hwreg(HW_REG_IB_STS2, 6, 4)
	s_mul_i32 s9, ttmp9, s9
	v_lshrrev_b32_e32 v1, 5, v0
	s_add_co_i32 s10, s10, s9
	s_cmp_eq_u32 s11, 0
	s_cselect_b32 s9, ttmp9, s10
	s_delay_alu instid0(VALU_DEP_1) | instid1(SALU_CYCLE_1)
	v_lshl_or_b32 v10, s9, 2, v1
	s_wait_kmcnt 0x0
	s_cmp_lg_u64 s[4:5], 0
	s_cbranch_scc0 .LBB133_7
; %bb.2:
	s_delay_alu instid0(VALU_DEP_1) | instskip(SKIP_2) | instid1(SALU_CYCLE_1)
	v_cmp_gt_i64_e32 vcc_lo, s[6:7], v[10:11]
	s_mov_b32 s6, 0
                                        ; implicit-def: $vgpr6_vgpr7
                                        ; implicit-def: $vgpr8_vgpr9
	s_and_saveexec_b32 s7, vcc_lo
	s_xor_b32 s7, exec_lo, s7
	s_cbranch_execz .LBB133_4
; %bb.3:
	v_lshl_add_u64 v[6:7], v[10:11], 3, s[4:5]
	s_mov_b32 s9, 0
	s_mov_b32 s3, exec_lo
	v_mov_b64_e32 v[8:9], s[8:9]
	global_load_b64 v[6:7], v[6:7], off
	s_wait_loadcnt 0x0
	v_sub_nc_u64_e64 v[6:7], v[6:7], s[8:9]
.LBB133_4:
	s_or_b32 exec_lo, exec_lo, s7
	s_delay_alu instid0(SALU_CYCLE_1)
	s_and_b32 vcc_lo, exec_lo, s6
	s_cbranch_vccnz .LBB133_8
.LBB133_5:
	s_and_b32 exec_lo, exec_lo, s3
	s_cbranch_execnz .LBB133_11
.LBB133_6:
	s_sendmsg sendmsg(MSG_DEALLOC_VGPRS)
	s_endpgm
.LBB133_7:
                                        ; implicit-def: $vgpr6_vgpr7
                                        ; implicit-def: $vgpr8_vgpr9
	s_cbranch_execz .LBB133_5
.LBB133_8:
	s_load_b64 s[4:5], s[0:1], 0x0
	s_wait_kmcnt 0x0
	v_cmp_gt_i64_e32 vcc_lo, s[4:5], v[10:11]
	s_and_saveexec_b32 s4, vcc_lo
; %bb.9:
	s_mov_b32 s9, 0
	s_or_b32 s3, s3, exec_lo
; %bb.10:
	s_or_b32 exec_lo, exec_lo, s4
	v_mov_b64_e32 v[8:9], s[8:9]
	v_mov_b64_e32 v[6:7], v[10:11]
	s_and_b32 exec_lo, exec_lo, s3
	s_cbranch_execz .LBB133_6
.LBB133_11:
	s_load_b256 s[4:11], s[0:1], 0x28
	s_delay_alu instid0(VALU_DEP_1) | instskip(SKIP_2) | instid1(VALU_DEP_2)
	v_lshlrev_b64_e32 v[10:11], 3, v[6:7]
	v_dual_mov_b32 v1, 0 :: v_dual_bitop2_b32 v0, 31, v0 bitop3:0x40
	s_wait_kmcnt 0x0
	v_add_nc_u64_e32 v[12:13], s[4:5], v[10:11]
	v_add_nc_u64_e32 v[10:11], s[6:7], v[10:11]
	s_cmp_eq_u64 s[6:7], 0
	s_clause 0x1
	s_load_b32 s6, s[0:1], 0x8
	s_load_b64 s[4:5], s[0:1], 0x48
	s_cselect_b32 vcc_lo, -1, 0
	global_load_b64 v[24:25], v[12:13], off
	s_wait_xcnt 0x0
	v_add_nc_u64_e32 v[12:13], 8, v[12:13]
	s_delay_alu instid0(VALU_DEP_1)
	v_dual_cndmask_b32 v11, v11, v13 :: v_dual_cndmask_b32 v10, v10, v12
	global_load_b64 v[12:13], v[10:11], off
	s_wait_kmcnt 0x0
	s_cmp_eq_u32 s6, 1
	s_wait_loadcnt 0x1
	s_wait_xcnt 0x0
	v_sub_nc_u64_e32 v[10:11], v[24:25], v[8:9]
	s_delay_alu instid0(VALU_DEP_1) | instskip(SKIP_2) | instid1(VALU_DEP_2)
	v_add_nc_u64_e32 v[10:11], v[10:11], v[0:1]
	s_wait_loadcnt 0x0
	v_sub_nc_u64_e32 v[12:13], v[12:13], v[8:9]
	v_lshlrev_b64_e32 v[14:15], 6, v[10:11]
	s_delay_alu instid0(VALU_DEP_2) | instskip(NEXT) | instid1(VALU_DEP_2)
	v_cmp_lt_i64_e64 s3, v[10:11], v[12:13]
	v_add_nc_u64_e32 v[14:15], s[10:11], v[14:15]
	s_cbranch_scc1 .LBB133_23
; %bb.12:
	v_dual_mov_b32 v17, v1 :: v_dual_mov_b32 v16, v1
	v_dual_mov_b32 v21, v1 :: v_dual_mov_b32 v20, v1
	;; [unrolled: 1-line block ×4, first 2 shown]
	s_and_saveexec_b32 s6, s3
	s_cbranch_execz .LBB133_22
; %bb.13:
	v_dual_mov_b32 v17, v1 :: v_dual_bitop2_b32 v16, 32, v0 bitop3:0x54
	v_sub_nc_u64_e32 v[18:19], v[8:9], v[0:1]
	v_not_b32_e32 v21, v25
	v_not_b32_e32 v20, v24
	v_mov_b32_e32 v23, 0
	v_sub_nc_u64_e32 v[16:17], v[16:17], v[8:9]
	v_mov_b64_e32 v[26:27], v[14:15]
	v_mov_b64_e32 v[28:29], v[10:11]
	v_add_nc_u64_e32 v[18:19], v[18:19], v[20:21]
	v_dual_mov_b32 v20, v23 :: v_dual_mov_b32 v21, v23
	v_add_nc_u64_e32 v[16:17], v[16:17], v[24:25]
	s_delay_alu instid0(VALU_DEP_1) | instskip(NEXT) | instid1(VALU_DEP_1)
	v_max_i64 v[16:17], v[16:17], v[12:13]
	v_add_nc_u64_e32 v[30:31], v[18:19], v[16:17]
	v_dual_mov_b32 v18, v23 :: v_dual_mov_b32 v19, v23
	v_dual_mov_b32 v16, v23 :: v_dual_mov_b32 v17, v23
	s_delay_alu instid0(VALU_DEP_3) | instskip(NEXT) | instid1(VALU_DEP_1)
	v_and_b32_e32 v22, 0x60, v30
	v_cmp_ne_u64_e32 vcc_lo, 0x60, v[22:23]
	v_mov_b32_e32 v22, v23
	s_and_saveexec_b32 s7, vcc_lo
	s_cbranch_execz .LBB133_17
; %bb.14:
	v_dual_mov_b32 v33, 0 :: v_dual_lshrrev_b32 v16, 5, v30
	v_mov_b64_e32 v[28:29], v[10:11]
	v_mov_b64_e32 v[26:27], v[14:15]
	v_lshl_add_u64 v[34:35], v[10:11], 3, s[8:9]
	s_delay_alu instid0(VALU_DEP_4) | instskip(SKIP_2) | instid1(VALU_DEP_3)
	v_dual_add_nc_u32 v16, 1, v16 :: v_dual_mov_b32 v22, v33
	v_bfrev_b32_e32 v36, 1
	v_dual_mov_b32 v18, v33 :: v_dual_mov_b32 v19, v33
	v_dual_mov_b32 v23, v33 :: v_dual_bitop2_b32 v32, 3, v16 bitop3:0x40
	v_dual_mov_b32 v20, v33 :: v_dual_mov_b32 v21, v33
	v_dual_mov_b32 v16, v33 :: v_dual_mov_b32 v17, v33
	s_delay_alu instid0(VALU_DEP_3)
	v_sub_nc_u64_e32 v[38:39], 0, v[32:33]
	s_mov_b32 s10, 0
.LBB133_15:                             ; =>This Inner Loop Header: Depth=1
	global_load_b64 v[48:49], v[34:35], off
	s_clause 0x1
	global_load_b128 v[40:43], v[26:27], off offset:16
	global_load_b128 v[44:47], v[26:27], off
	v_add_nc_u64_e32 v[38:39], 1, v[38:39]
	v_add_nc_u64_e32 v[28:29], 32, v[28:29]
	s_wait_xcnt 0x2
	v_add_nc_u64_e32 v[34:35], 0x100, v[34:35]
	s_delay_alu instid0(VALU_DEP_3)
	v_cmp_eq_u64_e32 vcc_lo, 0, v[38:39]
	s_or_b32 s10, vcc_lo, s10
	s_wait_loadcnt 0x2
	v_sub_nc_u64_e32 v[48:49], v[48:49], v[8:9]
	s_wait_loadcnt 0x0
	v_dual_mov_b32 v32, v44 :: v_dual_mov_b32 v37, v44
	s_delay_alu instid0(VALU_DEP_2) | instskip(NEXT) | instid1(VALU_DEP_1)
	v_lshlrev_b64_e32 v[48:49], 5, v[48:49]
	v_add_nc_u64_e32 v[64:65], s[4:5], v[48:49]
	s_clause 0x1
	global_load_b128 v[48:51], v[64:65], off
	global_load_b128 v[52:55], v[64:65], off offset:16
	s_clause 0x1
	global_load_b128 v[56:59], v[26:27], off offset:32
	global_load_b128 v[60:63], v[26:27], off offset:48
	s_wait_xcnt 0x0
	v_add_nc_u64_e32 v[26:27], 0x800, v[26:27]
	s_wait_loadcnt 0x3
	v_pk_fma_f32 v[16:17], v[48:49], v[32:33], v[16:17] op_sel_hi:[0,1,1]
	v_dual_mov_b32 v32, v45 :: v_dual_mov_b32 v44, v51
	s_wait_loadcnt 0x2
	v_mov_b32_e32 v64, v55
	s_delay_alu instid0(VALU_DEP_3) | instskip(SKIP_1) | instid1(VALU_DEP_2)
	v_pk_fma_f32 v[16:17], v[48:49], v[36:37], v[16:17] op_sel:[1,0,0]
	v_mov_b32_e32 v37, v45
	v_pk_fma_f32 v[16:17], v[50:51], v[32:33], v[16:17] op_sel_hi:[0,1,1]
	v_mov_b32_e32 v32, v46
	s_delay_alu instid0(VALU_DEP_2) | instskip(SKIP_1) | instid1(VALU_DEP_2)
	v_pk_fma_f32 v[16:17], v[44:45], v[36:37], v[16:17] op_sel_hi:[0,1,1]
	v_mov_b32_e32 v37, v46
	v_pk_fma_f32 v[16:17], v[52:53], v[32:33], v[16:17] op_sel_hi:[0,1,1]
	v_mov_b32_e32 v32, v47
	s_delay_alu instid0(VALU_DEP_2) | instskip(SKIP_1) | instid1(VALU_DEP_2)
	v_pk_fma_f32 v[16:17], v[52:53], v[36:37], v[16:17] op_sel:[1,0,0]
	v_mov_b32_e32 v37, v47
	v_pk_fma_f32 v[16:17], v[54:55], v[32:33], v[16:17] op_sel_hi:[0,1,1]
	v_mov_b32_e32 v32, v40
	s_delay_alu instid0(VALU_DEP_2) | instskip(SKIP_1) | instid1(VALU_DEP_3)
	v_pk_fma_f32 v[16:17], v[64:65], v[36:37], v[16:17] op_sel_hi:[0,1,1]
	v_mov_b32_e32 v37, v40
	v_pk_fma_f32 v[20:21], v[48:49], v[32:33], v[20:21] op_sel_hi:[0,1,1]
	v_mov_b32_e32 v32, v41
	s_delay_alu instid0(VALU_DEP_2) | instskip(SKIP_1) | instid1(VALU_DEP_2)
	v_pk_fma_f32 v[20:21], v[48:49], v[36:37], v[20:21] op_sel:[1,0,0]
	v_mov_b32_e32 v37, v41
	v_pk_fma_f32 v[20:21], v[50:51], v[32:33], v[20:21] op_sel_hi:[0,1,1]
	v_mov_b32_e32 v32, v42
	s_delay_alu instid0(VALU_DEP_2) | instskip(SKIP_1) | instid1(VALU_DEP_2)
	v_pk_fma_f32 v[20:21], v[44:45], v[36:37], v[20:21] op_sel_hi:[0,1,1]
	v_mov_b32_e32 v37, v42
	v_pk_fma_f32 v[20:21], v[52:53], v[32:33], v[20:21] op_sel_hi:[0,1,1]
	v_mov_b32_e32 v32, v43
	s_delay_alu instid0(VALU_DEP_2) | instskip(SKIP_1) | instid1(VALU_DEP_2)
	v_pk_fma_f32 v[20:21], v[52:53], v[36:37], v[20:21] op_sel:[1,0,0]
	v_mov_b32_e32 v37, v43
	v_pk_fma_f32 v[20:21], v[54:55], v[32:33], v[20:21] op_sel_hi:[0,1,1]
	s_wait_loadcnt 0x1
	v_mov_b32_e32 v32, v56
	s_delay_alu instid0(VALU_DEP_2) | instskip(SKIP_1) | instid1(VALU_DEP_3)
	v_pk_fma_f32 v[20:21], v[64:65], v[36:37], v[20:21] op_sel_hi:[0,1,1]
	v_mov_b32_e32 v37, v56
	v_pk_fma_f32 v[18:19], v[48:49], v[32:33], v[18:19] op_sel_hi:[0,1,1]
	v_mov_b32_e32 v32, v57
	s_delay_alu instid0(VALU_DEP_2) | instskip(SKIP_1) | instid1(VALU_DEP_2)
	v_pk_fma_f32 v[18:19], v[48:49], v[36:37], v[18:19] op_sel:[1,0,0]
	v_mov_b32_e32 v37, v57
	v_pk_fma_f32 v[18:19], v[50:51], v[32:33], v[18:19] op_sel_hi:[0,1,1]
	v_mov_b32_e32 v32, v58
	s_delay_alu instid0(VALU_DEP_2) | instskip(SKIP_1) | instid1(VALU_DEP_2)
	v_pk_fma_f32 v[18:19], v[44:45], v[36:37], v[18:19] op_sel_hi:[0,1,1]
	v_mov_b32_e32 v37, v58
	v_pk_fma_f32 v[18:19], v[52:53], v[32:33], v[18:19] op_sel_hi:[0,1,1]
	v_mov_b32_e32 v32, v59
	s_delay_alu instid0(VALU_DEP_2) | instskip(SKIP_1) | instid1(VALU_DEP_2)
	v_pk_fma_f32 v[18:19], v[52:53], v[36:37], v[18:19] op_sel:[1,0,0]
	v_mov_b32_e32 v37, v59
	v_pk_fma_f32 v[18:19], v[54:55], v[32:33], v[18:19] op_sel_hi:[0,1,1]
	s_wait_loadcnt 0x0
	v_mov_b32_e32 v32, v60
	s_delay_alu instid0(VALU_DEP_2) | instskip(SKIP_1) | instid1(VALU_DEP_3)
	v_pk_fma_f32 v[18:19], v[64:65], v[36:37], v[18:19] op_sel_hi:[0,1,1]
	v_mov_b32_e32 v37, v60
	v_pk_fma_f32 v[22:23], v[48:49], v[32:33], v[22:23] op_sel_hi:[0,1,1]
	v_mov_b32_e32 v32, v61
	s_delay_alu instid0(VALU_DEP_2) | instskip(SKIP_1) | instid1(VALU_DEP_2)
	v_pk_fma_f32 v[22:23], v[48:49], v[36:37], v[22:23] op_sel:[1,0,0]
	v_mov_b32_e32 v37, v61
	v_pk_fma_f32 v[22:23], v[50:51], v[32:33], v[22:23] op_sel_hi:[0,1,1]
	v_mov_b32_e32 v32, v62
	s_delay_alu instid0(VALU_DEP_2) | instskip(SKIP_1) | instid1(VALU_DEP_2)
	v_pk_fma_f32 v[22:23], v[44:45], v[36:37], v[22:23] op_sel_hi:[0,1,1]
	v_mov_b32_e32 v37, v62
	v_pk_fma_f32 v[22:23], v[52:53], v[32:33], v[22:23] op_sel_hi:[0,1,1]
	v_mov_b32_e32 v32, v63
	s_delay_alu instid0(VALU_DEP_2) | instskip(SKIP_1) | instid1(VALU_DEP_2)
	v_pk_fma_f32 v[22:23], v[52:53], v[36:37], v[22:23] op_sel:[1,0,0]
	v_mov_b32_e32 v37, v63
	v_pk_fma_f32 v[22:23], v[54:55], v[32:33], v[22:23] op_sel_hi:[0,1,1]
	s_delay_alu instid0(VALU_DEP_1)
	v_pk_fma_f32 v[22:23], v[64:65], v[36:37], v[22:23] op_sel_hi:[0,1,1]
	s_and_not1_b32 exec_lo, exec_lo, s10
	s_cbranch_execnz .LBB133_15
; %bb.16:
	s_or_b32 exec_lo, exec_lo, s10
.LBB133_17:
	s_delay_alu instid0(SALU_CYCLE_1) | instskip(NEXT) | instid1(SALU_CYCLE_1)
	s_or_b32 exec_lo, exec_lo, s7
	s_mov_b32 s7, exec_lo
	v_cmpx_lt_u64_e32 0x5f, v[30:31]
	s_cbranch_execz .LBB133_21
; %bb.18:
	v_lshl_add_u64 v[30:31], v[28:29], 3, s[8:9]
	v_mov_b32_e32 v33, 0
	v_bfrev_b32_e32 v34, 1
	s_mov_b32 s10, 0
	s_delay_alu instid0(VALU_DEP_3)
	v_add_nc_u64_e32 v[30:31], 0x200, v[30:31]
.LBB133_19:                             ; =>This Inner Loop Header: Depth=1
	s_clause 0x3
	global_load_b64 v[52:53], v[30:31], off offset:-512
	global_load_b64 v[54:55], v[30:31], off offset:-256
	global_load_b64 v[92:93], v[30:31], off
	global_load_b64 v[94:95], v[30:31], off offset:256
	s_clause 0x3
	global_load_b128 v[36:39], v[26:27], off offset:2064
	global_load_b128 v[40:43], v[26:27], off offset:2048
	global_load_b128 v[44:47], v[26:27], off
	global_load_b128 v[48:51], v[26:27], off offset:16
	v_add_nc_u64_e32 v[28:29], 0x80, v[28:29]
	s_wait_xcnt 0x4
	v_add_nc_u64_e32 v[30:31], 0x400, v[30:31]
	s_delay_alu instid0(VALU_DEP_2)
	v_cmp_ge_i64_e32 vcc_lo, v[28:29], v[12:13]
	s_or_b32 s10, vcc_lo, s10
	s_wait_loadcnt 0x7
	v_sub_nc_u64_e32 v[52:53], v[52:53], v[8:9]
	s_wait_loadcnt 0x6
	v_sub_nc_u64_e32 v[54:55], v[54:55], v[8:9]
	;; [unrolled: 2-line block ×4, first 2 shown]
	s_wait_loadcnt 0x1
	v_dual_mov_b32 v32, v44 :: v_dual_mov_b32 v35, v44
	v_lshlrev_b64_e32 v[52:53], 5, v[52:53]
	v_lshlrev_b64_e32 v[54:55], 5, v[54:55]
	;; [unrolled: 1-line block ×4, first 2 shown]
	s_delay_alu instid0(VALU_DEP_4) | instskip(NEXT) | instid1(VALU_DEP_4)
	v_add_nc_u64_e32 v[96:97], s[4:5], v[52:53]
	v_add_nc_u64_e32 v[120:121], s[4:5], v[54:55]
	s_delay_alu instid0(VALU_DEP_4) | instskip(NEXT) | instid1(VALU_DEP_4)
	v_add_nc_u64_e32 v[122:123], s[4:5], v[92:93]
	v_add_nc_u64_e32 v[124:125], s[4:5], v[94:95]
	s_clause 0x2
	global_load_b128 v[52:55], v[96:97], off
	global_load_b128 v[56:59], v[96:97], off offset:16
	global_load_b128 v[60:63], v[120:121], off
	s_clause 0x6
	global_load_b128 v[64:67], v[26:27], off offset:32
	global_load_b128 v[68:71], v[26:27], off offset:48
	;; [unrolled: 1-line block ×7, first 2 shown]
	s_clause 0x4
	global_load_b128 v[92:95], v[120:121], off offset:16
	global_load_b128 v[96:99], v[122:123], off
	global_load_b128 v[100:103], v[122:123], off offset:16
	global_load_b128 v[104:107], v[124:125], off
	global_load_b128 v[108:111], v[124:125], off offset:16
	s_clause 0x1
	global_load_b128 v[112:115], v[26:27], off offset:6160
	global_load_b128 v[116:119], v[26:27], off offset:4128
	s_wait_loadcnt 0x10
	v_pk_fma_f32 v[16:17], v[52:53], v[32:33], v[16:17] op_sel_hi:[0,1,1]
	s_wait_xcnt 0x6
	v_dual_mov_b32 v32, v45 :: v_dual_mov_b32 v120, v55
	s_wait_loadcnt 0xf
	s_wait_xcnt 0x4
	v_mov_b32_e32 v122, v59
	v_pk_fma_f32 v[16:17], v[52:53], v[34:35], v[16:17] op_sel:[1,0,0]
	v_mov_b32_e32 v35, v45
	s_delay_alu instid0(VALU_DEP_2) | instskip(SKIP_1) | instid1(VALU_DEP_2)
	v_pk_fma_f32 v[16:17], v[54:55], v[32:33], v[16:17] op_sel_hi:[0,1,1]
	v_mov_b32_e32 v32, v46
	v_pk_fma_f32 v[16:17], v[120:121], v[34:35], v[16:17] op_sel_hi:[0,1,1]
	v_mov_b32_e32 v35, v46
	s_delay_alu instid0(VALU_DEP_2) | instskip(SKIP_1) | instid1(VALU_DEP_2)
	v_pk_fma_f32 v[16:17], v[56:57], v[32:33], v[16:17] op_sel_hi:[0,1,1]
	v_mov_b32_e32 v32, v47
	v_pk_fma_f32 v[16:17], v[56:57], v[34:35], v[16:17] op_sel:[1,0,0]
	v_mov_b32_e32 v35, v47
	global_load_b128 v[44:47], v[26:27], off offset:6176
	v_pk_fma_f32 v[16:17], v[58:59], v[32:33], v[16:17] op_sel_hi:[0,1,1]
	v_mov_b32_e32 v32, v40
	s_delay_alu instid0(VALU_DEP_2) | instskip(SKIP_2) | instid1(VALU_DEP_2)
	v_pk_fma_f32 v[16:17], v[122:123], v[34:35], v[16:17] op_sel_hi:[0,1,1]
	s_wait_loadcnt 0x7
	v_dual_mov_b32 v35, v40 :: v_dual_mov_b32 v40, v95
	v_pk_fma_f32 v[16:17], v[60:61], v[32:33], v[16:17] op_sel_hi:[0,1,1]
	v_mov_b32_e32 v32, v48
	s_delay_alu instid0(VALU_DEP_2) | instskip(SKIP_1) | instid1(VALU_DEP_3)
	v_pk_fma_f32 v[16:17], v[60:61], v[34:35], v[16:17] op_sel:[1,0,0]
	v_mov_b32_e32 v35, v48
	v_pk_fma_f32 v[20:21], v[52:53], v[32:33], v[20:21] op_sel_hi:[0,1,1]
	v_mov_b32_e32 v32, v49
	s_delay_alu instid0(VALU_DEP_2) | instskip(SKIP_1) | instid1(VALU_DEP_2)
	v_pk_fma_f32 v[20:21], v[52:53], v[34:35], v[20:21] op_sel:[1,0,0]
	v_mov_b32_e32 v35, v49
	v_pk_fma_f32 v[20:21], v[54:55], v[32:33], v[20:21] op_sel_hi:[0,1,1]
	v_mov_b32_e32 v32, v50
	s_delay_alu instid0(VALU_DEP_2) | instskip(SKIP_1) | instid1(VALU_DEP_2)
	v_pk_fma_f32 v[20:21], v[120:121], v[34:35], v[20:21] op_sel_hi:[0,1,1]
	v_mov_b32_e32 v35, v50
	v_pk_fma_f32 v[20:21], v[56:57], v[32:33], v[20:21] op_sel_hi:[0,1,1]
	v_mov_b32_e32 v32, v51
	s_delay_alu instid0(VALU_DEP_2) | instskip(SKIP_4) | instid1(VALU_DEP_2)
	v_pk_fma_f32 v[20:21], v[56:57], v[34:35], v[20:21] op_sel:[1,0,0]
	v_mov_b32_e32 v35, v51
	global_load_b128 v[48:51], v[26:27], off offset:4144
	v_pk_fma_f32 v[20:21], v[58:59], v[32:33], v[20:21] op_sel_hi:[0,1,1]
	v_mov_b32_e32 v32, v36
	v_pk_fma_f32 v[20:21], v[122:123], v[34:35], v[20:21] op_sel_hi:[0,1,1]
	v_dual_mov_b32 v35, v36 :: v_dual_mov_b32 v36, v63
	s_delay_alu instid0(VALU_DEP_2) | instskip(SKIP_1) | instid1(VALU_DEP_2)
	v_pk_fma_f32 v[20:21], v[60:61], v[32:33], v[20:21] op_sel_hi:[0,1,1]
	v_mov_b32_e32 v32, v64
	v_pk_fma_f32 v[20:21], v[60:61], v[34:35], v[20:21] op_sel:[1,0,0]
	v_mov_b32_e32 v35, v64
	s_delay_alu instid0(VALU_DEP_3) | instskip(SKIP_2) | instid1(VALU_DEP_2)
	v_pk_fma_f32 v[18:19], v[52:53], v[32:33], v[18:19] op_sel_hi:[0,1,1]
	s_wait_loadcnt 0x6
	v_dual_mov_b32 v32, v65 :: v_dual_mov_b32 v64, v103
	v_pk_fma_f32 v[18:19], v[52:53], v[34:35], v[18:19] op_sel:[1,0,0]
	v_mov_b32_e32 v35, v65
	s_delay_alu instid0(VALU_DEP_2) | instskip(SKIP_1) | instid1(VALU_DEP_2)
	v_pk_fma_f32 v[18:19], v[54:55], v[32:33], v[18:19] op_sel_hi:[0,1,1]
	v_mov_b32_e32 v32, v66
	v_pk_fma_f32 v[18:19], v[120:121], v[34:35], v[18:19] op_sel_hi:[0,1,1]
	s_wait_loadcnt 0x4
	v_dual_mov_b32 v35, v66 :: v_dual_mov_b32 v66, v111
	s_delay_alu instid0(VALU_DEP_2) | instskip(SKIP_1) | instid1(VALU_DEP_2)
	v_pk_fma_f32 v[18:19], v[56:57], v[32:33], v[18:19] op_sel_hi:[0,1,1]
	v_mov_b32_e32 v32, v67
	v_pk_fma_f32 v[18:19], v[56:57], v[34:35], v[18:19] op_sel:[1,0,0]
	v_mov_b32_e32 v35, v67
	s_delay_alu instid0(VALU_DEP_2) | instskip(SKIP_1) | instid1(VALU_DEP_2)
	v_pk_fma_f32 v[18:19], v[58:59], v[32:33], v[18:19] op_sel_hi:[0,1,1]
	v_mov_b32_e32 v32, v72
	v_pk_fma_f32 v[18:19], v[122:123], v[34:35], v[18:19] op_sel_hi:[0,1,1]
	v_mov_b32_e32 v35, v72
	s_delay_alu instid0(VALU_DEP_2) | instskip(SKIP_1) | instid1(VALU_DEP_2)
	v_pk_fma_f32 v[18:19], v[60:61], v[32:33], v[18:19] op_sel_hi:[0,1,1]
	v_mov_b32_e32 v32, v68
	v_pk_fma_f32 v[18:19], v[60:61], v[34:35], v[18:19] op_sel:[1,0,0]
	v_mov_b32_e32 v35, v68
	s_delay_alu instid0(VALU_DEP_3) | instskip(SKIP_1) | instid1(VALU_DEP_2)
	v_pk_fma_f32 v[22:23], v[52:53], v[32:33], v[22:23] op_sel_hi:[0,1,1]
	v_mov_b32_e32 v32, v69
	v_pk_fma_f32 v[22:23], v[52:53], v[34:35], v[22:23] op_sel:[1,0,0]
	v_mov_b32_e32 v35, v69
	s_delay_alu instid0(VALU_DEP_2)
	v_pk_fma_f32 v[22:23], v[54:55], v[32:33], v[22:23] op_sel_hi:[0,1,1]
	v_mov_b32_e32 v32, v70
	global_load_b128 v[52:55], v[26:27], off offset:6192
	s_wait_xcnt 0x0
	v_add_nc_u64_e32 v[26:27], 0x2000, v[26:27]
	v_pk_fma_f32 v[22:23], v[120:121], v[34:35], v[22:23] op_sel_hi:[0,1,1]
	v_mov_b32_e32 v35, v70
	s_delay_alu instid0(VALU_DEP_2) | instskip(SKIP_1) | instid1(VALU_DEP_2)
	v_pk_fma_f32 v[22:23], v[56:57], v[32:33], v[22:23] op_sel_hi:[0,1,1]
	v_mov_b32_e32 v32, v71
	v_pk_fma_f32 v[22:23], v[56:57], v[34:35], v[22:23] op_sel:[1,0,0]
	v_dual_mov_b32 v35, v71 :: v_dual_mov_b32 v56, v99
	s_delay_alu instid0(VALU_DEP_2) | instskip(SKIP_1) | instid1(VALU_DEP_2)
	v_pk_fma_f32 v[22:23], v[58:59], v[32:33], v[22:23] op_sel_hi:[0,1,1]
	v_dual_mov_b32 v32, v76 :: v_dual_mov_b32 v58, v107
	v_pk_fma_f32 v[22:23], v[122:123], v[34:35], v[22:23] op_sel_hi:[0,1,1]
	v_mov_b32_e32 v35, v76
	s_delay_alu instid0(VALU_DEP_2) | instskip(SKIP_1) | instid1(VALU_DEP_2)
	v_pk_fma_f32 v[22:23], v[60:61], v[32:33], v[22:23] op_sel_hi:[0,1,1]
	v_mov_b32_e32 v32, v41
	v_pk_fma_f32 v[22:23], v[60:61], v[34:35], v[22:23] op_sel:[1,0,0]
	v_mov_b32_e32 v35, v41
	s_delay_alu instid0(VALU_DEP_3) | instskip(SKIP_1) | instid1(VALU_DEP_2)
	v_pk_fma_f32 v[16:17], v[62:63], v[32:33], v[16:17] op_sel_hi:[0,1,1]
	v_mov_b32_e32 v32, v42
	v_pk_fma_f32 v[16:17], v[36:37], v[34:35], v[16:17] op_sel_hi:[0,1,1]
	v_mov_b32_e32 v35, v42
	s_delay_alu instid0(VALU_DEP_2) | instskip(SKIP_1) | instid1(VALU_DEP_2)
	v_pk_fma_f32 v[16:17], v[92:93], v[32:33], v[16:17] op_sel_hi:[0,1,1]
	v_mov_b32_e32 v32, v43
	v_pk_fma_f32 v[16:17], v[92:93], v[34:35], v[16:17] op_sel:[1,0,0]
	v_mov_b32_e32 v35, v43
	s_delay_alu instid0(VALU_DEP_2) | instskip(SKIP_1) | instid1(VALU_DEP_2)
	v_pk_fma_f32 v[16:17], v[94:95], v[32:33], v[16:17] op_sel_hi:[0,1,1]
	v_mov_b32_e32 v32, v84
	v_pk_fma_f32 v[16:17], v[40:41], v[34:35], v[16:17] op_sel_hi:[0,1,1]
	v_mov_b32_e32 v35, v84
	s_delay_alu instid0(VALU_DEP_2) | instskip(SKIP_1) | instid1(VALU_DEP_2)
	v_pk_fma_f32 v[16:17], v[96:97], v[32:33], v[16:17] op_sel_hi:[0,1,1]
	v_mov_b32_e32 v32, v85
	v_pk_fma_f32 v[16:17], v[96:97], v[34:35], v[16:17] op_sel:[1,0,0]
	v_mov_b32_e32 v35, v85
	s_delay_alu instid0(VALU_DEP_2) | instskip(SKIP_1) | instid1(VALU_DEP_2)
	;; [unrolled: 10-line block ×5, first 2 shown]
	v_pk_fma_f32 v[16:17], v[110:111], v[32:33], v[16:17] op_sel_hi:[0,1,1]
	v_mov_b32_e32 v32, v37
	v_pk_fma_f32 v[16:17], v[66:67], v[34:35], v[16:17] op_sel_hi:[0,1,1]
	v_mov_b32_e32 v35, v37
	s_delay_alu instid0(VALU_DEP_3) | instskip(SKIP_1) | instid1(VALU_DEP_2)
	v_pk_fma_f32 v[20:21], v[62:63], v[32:33], v[20:21] op_sel_hi:[0,1,1]
	v_mov_b32_e32 v32, v38
	v_pk_fma_f32 v[20:21], v[36:37], v[34:35], v[20:21] op_sel_hi:[0,1,1]
	v_mov_b32_e32 v35, v38
	s_delay_alu instid0(VALU_DEP_2) | instskip(SKIP_1) | instid1(VALU_DEP_2)
	v_pk_fma_f32 v[20:21], v[92:93], v[32:33], v[20:21] op_sel_hi:[0,1,1]
	v_mov_b32_e32 v32, v39
	v_pk_fma_f32 v[20:21], v[92:93], v[34:35], v[20:21] op_sel:[1,0,0]
	v_mov_b32_e32 v35, v39
	s_delay_alu instid0(VALU_DEP_2) | instskip(SKIP_1) | instid1(VALU_DEP_2)
	v_pk_fma_f32 v[20:21], v[94:95], v[32:33], v[20:21] op_sel_hi:[0,1,1]
	v_mov_b32_e32 v32, v80
	v_pk_fma_f32 v[20:21], v[40:41], v[34:35], v[20:21] op_sel_hi:[0,1,1]
	v_mov_b32_e32 v35, v80
	s_delay_alu instid0(VALU_DEP_2) | instskip(SKIP_1) | instid1(VALU_DEP_2)
	v_pk_fma_f32 v[20:21], v[96:97], v[32:33], v[20:21] op_sel_hi:[0,1,1]
	v_mov_b32_e32 v32, v81
	v_pk_fma_f32 v[20:21], v[96:97], v[34:35], v[20:21] op_sel:[1,0,0]
	v_mov_b32_e32 v35, v81
	s_delay_alu instid0(VALU_DEP_2) | instskip(SKIP_1) | instid1(VALU_DEP_2)
	v_pk_fma_f32 v[20:21], v[98:99], v[32:33], v[20:21] op_sel_hi:[0,1,1]
	v_mov_b32_e32 v32, v82
	v_pk_fma_f32 v[20:21], v[56:57], v[34:35], v[20:21] op_sel_hi:[0,1,1]
	v_mov_b32_e32 v35, v82
	s_delay_alu instid0(VALU_DEP_2) | instskip(SKIP_1) | instid1(VALU_DEP_2)
	v_pk_fma_f32 v[20:21], v[32:33], v[100:101], v[20:21] op_sel_hi:[1,0,1]
	v_mov_b32_e32 v32, v83
	v_pk_fma_f32 v[20:21], v[100:101], v[34:35], v[20:21] op_sel:[1,0,0]
	v_mov_b32_e32 v35, v83
	s_delay_alu instid0(VALU_DEP_2) | instskip(SKIP_2) | instid1(VALU_DEP_2)
	v_pk_fma_f32 v[20:21], v[102:103], v[32:33], v[20:21] op_sel_hi:[0,1,1]
	s_wait_loadcnt 0x4
	v_mov_b32_e32 v32, v112
	v_pk_fma_f32 v[20:21], v[64:65], v[34:35], v[20:21] op_sel_hi:[0,1,1]
	v_mov_b32_e32 v35, v112
	s_delay_alu instid0(VALU_DEP_2) | instskip(SKIP_1) | instid1(VALU_DEP_2)
	v_pk_fma_f32 v[20:21], v[104:105], v[32:33], v[20:21] op_sel_hi:[0,1,1]
	v_mov_b32_e32 v32, v113
	v_pk_fma_f32 v[20:21], v[104:105], v[34:35], v[20:21] op_sel:[1,0,0]
	v_mov_b32_e32 v35, v113
	s_delay_alu instid0(VALU_DEP_2) | instskip(SKIP_1) | instid1(VALU_DEP_2)
	v_pk_fma_f32 v[20:21], v[106:107], v[32:33], v[20:21] op_sel_hi:[0,1,1]
	v_mov_b32_e32 v32, v114
	v_pk_fma_f32 v[20:21], v[58:59], v[34:35], v[20:21] op_sel_hi:[0,1,1]
	v_mov_b32_e32 v35, v114
	s_delay_alu instid0(VALU_DEP_2) | instskip(SKIP_1) | instid1(VALU_DEP_2)
	v_pk_fma_f32 v[20:21], v[108:109], v[32:33], v[20:21] op_sel_hi:[0,1,1]
	v_mov_b32_e32 v32, v115
	v_pk_fma_f32 v[20:21], v[108:109], v[34:35], v[20:21] op_sel:[1,0,0]
	v_mov_b32_e32 v35, v115
	s_delay_alu instid0(VALU_DEP_2) | instskip(SKIP_1) | instid1(VALU_DEP_2)
	v_pk_fma_f32 v[20:21], v[110:111], v[32:33], v[20:21] op_sel_hi:[0,1,1]
	v_mov_b32_e32 v32, v73
	v_pk_fma_f32 v[20:21], v[66:67], v[34:35], v[20:21] op_sel_hi:[0,1,1]
	v_mov_b32_e32 v35, v73
	s_delay_alu instid0(VALU_DEP_3) | instskip(SKIP_1) | instid1(VALU_DEP_2)
	v_pk_fma_f32 v[18:19], v[62:63], v[32:33], v[18:19] op_sel_hi:[0,1,1]
	v_mov_b32_e32 v32, v74
	v_pk_fma_f32 v[18:19], v[36:37], v[34:35], v[18:19] op_sel_hi:[0,1,1]
	v_mov_b32_e32 v35, v74
	s_delay_alu instid0(VALU_DEP_2) | instskip(SKIP_1) | instid1(VALU_DEP_2)
	v_pk_fma_f32 v[18:19], v[92:93], v[32:33], v[18:19] op_sel_hi:[0,1,1]
	v_mov_b32_e32 v32, v75
	v_pk_fma_f32 v[18:19], v[92:93], v[34:35], v[18:19] op_sel:[1,0,0]
	v_mov_b32_e32 v35, v75
	s_delay_alu instid0(VALU_DEP_2) | instskip(SKIP_2) | instid1(VALU_DEP_2)
	v_pk_fma_f32 v[18:19], v[94:95], v[32:33], v[18:19] op_sel_hi:[0,1,1]
	s_wait_loadcnt 0x3
	v_mov_b32_e32 v32, v116
	v_pk_fma_f32 v[18:19], v[40:41], v[34:35], v[18:19] op_sel_hi:[0,1,1]
	v_mov_b32_e32 v35, v116
	s_delay_alu instid0(VALU_DEP_2) | instskip(SKIP_1) | instid1(VALU_DEP_2)
	v_pk_fma_f32 v[18:19], v[96:97], v[32:33], v[18:19] op_sel_hi:[0,1,1]
	v_mov_b32_e32 v32, v117
	v_pk_fma_f32 v[18:19], v[96:97], v[34:35], v[18:19] op_sel:[1,0,0]
	v_mov_b32_e32 v35, v117
	s_delay_alu instid0(VALU_DEP_2) | instskip(SKIP_1) | instid1(VALU_DEP_2)
	v_pk_fma_f32 v[18:19], v[98:99], v[32:33], v[18:19] op_sel_hi:[0,1,1]
	v_mov_b32_e32 v32, v118
	v_pk_fma_f32 v[18:19], v[56:57], v[34:35], v[18:19] op_sel_hi:[0,1,1]
	v_mov_b32_e32 v35, v118
	s_delay_alu instid0(VALU_DEP_2) | instskip(SKIP_1) | instid1(VALU_DEP_2)
	v_pk_fma_f32 v[18:19], v[32:33], v[100:101], v[18:19] op_sel_hi:[1,0,1]
	v_mov_b32_e32 v32, v119
	v_pk_fma_f32 v[18:19], v[100:101], v[34:35], v[18:19] op_sel:[1,0,0]
	v_mov_b32_e32 v35, v119
	s_delay_alu instid0(VALU_DEP_2) | instskip(SKIP_2) | instid1(VALU_DEP_2)
	v_pk_fma_f32 v[18:19], v[102:103], v[32:33], v[18:19] op_sel_hi:[0,1,1]
	s_wait_loadcnt 0x2
	v_mov_b32_e32 v32, v44
	v_pk_fma_f32 v[18:19], v[64:65], v[34:35], v[18:19] op_sel_hi:[0,1,1]
	v_mov_b32_e32 v35, v44
	s_delay_alu instid0(VALU_DEP_2) | instskip(SKIP_1) | instid1(VALU_DEP_2)
	v_pk_fma_f32 v[18:19], v[104:105], v[32:33], v[18:19] op_sel_hi:[0,1,1]
	v_mov_b32_e32 v32, v45
	v_pk_fma_f32 v[18:19], v[104:105], v[34:35], v[18:19] op_sel:[1,0,0]
	v_mov_b32_e32 v35, v45
	s_delay_alu instid0(VALU_DEP_2) | instskip(SKIP_1) | instid1(VALU_DEP_2)
	v_pk_fma_f32 v[18:19], v[106:107], v[32:33], v[18:19] op_sel_hi:[0,1,1]
	v_mov_b32_e32 v32, v46
	v_pk_fma_f32 v[18:19], v[58:59], v[34:35], v[18:19] op_sel_hi:[0,1,1]
	v_mov_b32_e32 v35, v46
	s_delay_alu instid0(VALU_DEP_2) | instskip(SKIP_1) | instid1(VALU_DEP_2)
	v_pk_fma_f32 v[18:19], v[108:109], v[32:33], v[18:19] op_sel_hi:[0,1,1]
	v_mov_b32_e32 v32, v47
	v_pk_fma_f32 v[18:19], v[108:109], v[34:35], v[18:19] op_sel:[1,0,0]
	v_mov_b32_e32 v35, v47
	s_delay_alu instid0(VALU_DEP_2) | instskip(SKIP_1) | instid1(VALU_DEP_2)
	v_pk_fma_f32 v[18:19], v[110:111], v[32:33], v[18:19] op_sel_hi:[0,1,1]
	v_mov_b32_e32 v32, v77
	v_pk_fma_f32 v[18:19], v[66:67], v[34:35], v[18:19] op_sel_hi:[0,1,1]
	v_mov_b32_e32 v35, v77
	s_delay_alu instid0(VALU_DEP_3) | instskip(SKIP_1) | instid1(VALU_DEP_2)
	v_pk_fma_f32 v[22:23], v[62:63], v[32:33], v[22:23] op_sel_hi:[0,1,1]
	v_mov_b32_e32 v32, v78
	v_pk_fma_f32 v[22:23], v[36:37], v[34:35], v[22:23] op_sel_hi:[0,1,1]
	v_mov_b32_e32 v35, v78
	s_delay_alu instid0(VALU_DEP_2) | instskip(SKIP_1) | instid1(VALU_DEP_2)
	v_pk_fma_f32 v[22:23], v[92:93], v[32:33], v[22:23] op_sel_hi:[0,1,1]
	v_mov_b32_e32 v32, v79
	v_pk_fma_f32 v[22:23], v[92:93], v[34:35], v[22:23] op_sel:[1,0,0]
	v_mov_b32_e32 v35, v79
	s_delay_alu instid0(VALU_DEP_2) | instskip(SKIP_2) | instid1(VALU_DEP_2)
	v_pk_fma_f32 v[22:23], v[94:95], v[32:33], v[22:23] op_sel_hi:[0,1,1]
	s_wait_loadcnt 0x1
	v_mov_b32_e32 v32, v48
	v_pk_fma_f32 v[22:23], v[40:41], v[34:35], v[22:23] op_sel_hi:[0,1,1]
	v_mov_b32_e32 v35, v48
	s_delay_alu instid0(VALU_DEP_2) | instskip(SKIP_1) | instid1(VALU_DEP_2)
	v_pk_fma_f32 v[22:23], v[96:97], v[32:33], v[22:23] op_sel_hi:[0,1,1]
	v_mov_b32_e32 v32, v49
	v_pk_fma_f32 v[22:23], v[96:97], v[34:35], v[22:23] op_sel:[1,0,0]
	v_mov_b32_e32 v35, v49
	s_delay_alu instid0(VALU_DEP_2) | instskip(SKIP_1) | instid1(VALU_DEP_2)
	v_pk_fma_f32 v[22:23], v[98:99], v[32:33], v[22:23] op_sel_hi:[0,1,1]
	v_mov_b32_e32 v32, v50
	v_pk_fma_f32 v[22:23], v[56:57], v[34:35], v[22:23] op_sel_hi:[0,1,1]
	v_mov_b32_e32 v35, v50
	s_delay_alu instid0(VALU_DEP_2) | instskip(SKIP_1) | instid1(VALU_DEP_2)
	v_pk_fma_f32 v[22:23], v[32:33], v[100:101], v[22:23] op_sel_hi:[1,0,1]
	v_mov_b32_e32 v32, v51
	v_pk_fma_f32 v[22:23], v[100:101], v[34:35], v[22:23] op_sel:[1,0,0]
	v_mov_b32_e32 v35, v51
	s_delay_alu instid0(VALU_DEP_2) | instskip(SKIP_2) | instid1(VALU_DEP_2)
	v_pk_fma_f32 v[22:23], v[102:103], v[32:33], v[22:23] op_sel_hi:[0,1,1]
	s_wait_loadcnt 0x0
	v_mov_b32_e32 v32, v52
	v_pk_fma_f32 v[22:23], v[64:65], v[34:35], v[22:23] op_sel_hi:[0,1,1]
	v_mov_b32_e32 v35, v52
	s_delay_alu instid0(VALU_DEP_2) | instskip(SKIP_1) | instid1(VALU_DEP_2)
	v_pk_fma_f32 v[22:23], v[104:105], v[32:33], v[22:23] op_sel_hi:[0,1,1]
	v_mov_b32_e32 v32, v53
	v_pk_fma_f32 v[22:23], v[104:105], v[34:35], v[22:23] op_sel:[1,0,0]
	v_mov_b32_e32 v35, v53
	s_delay_alu instid0(VALU_DEP_2) | instskip(SKIP_1) | instid1(VALU_DEP_2)
	v_pk_fma_f32 v[22:23], v[106:107], v[32:33], v[22:23] op_sel_hi:[0,1,1]
	v_mov_b32_e32 v32, v54
	v_pk_fma_f32 v[22:23], v[58:59], v[34:35], v[22:23] op_sel_hi:[0,1,1]
	v_mov_b32_e32 v35, v54
	s_delay_alu instid0(VALU_DEP_2) | instskip(SKIP_1) | instid1(VALU_DEP_2)
	v_pk_fma_f32 v[22:23], v[108:109], v[32:33], v[22:23] op_sel_hi:[0,1,1]
	v_mov_b32_e32 v32, v55
	v_pk_fma_f32 v[22:23], v[108:109], v[34:35], v[22:23] op_sel:[1,0,0]
	v_mov_b32_e32 v35, v55
	s_delay_alu instid0(VALU_DEP_2) | instskip(NEXT) | instid1(VALU_DEP_1)
	v_pk_fma_f32 v[22:23], v[110:111], v[32:33], v[22:23] op_sel_hi:[0,1,1]
	v_pk_fma_f32 v[22:23], v[66:67], v[34:35], v[22:23] op_sel_hi:[0,1,1]
	s_and_not1_b32 exec_lo, exec_lo, s10
	s_cbranch_execnz .LBB133_19
; %bb.20:
	s_or_b32 exec_lo, exec_lo, s10
.LBB133_21:
	s_delay_alu instid0(SALU_CYCLE_1)
	s_or_b32 exec_lo, exec_lo, s7
.LBB133_22:
	s_delay_alu instid0(SALU_CYCLE_1)
	s_or_b32 exec_lo, exec_lo, s6
	s_cbranch_execz .LBB133_24
	s_branch .LBB133_35
.LBB133_23:
                                        ; implicit-def: $vgpr17
                                        ; implicit-def: $vgpr21
                                        ; implicit-def: $vgpr19
                                        ; implicit-def: $vgpr23
.LBB133_24:
	v_dual_mov_b32 v17, 0 :: v_dual_mov_b32 v16, 0
	v_dual_mov_b32 v21, 0 :: v_dual_mov_b32 v20, 0
	;; [unrolled: 1-line block ×4, first 2 shown]
	s_and_saveexec_b32 s6, s3
	s_cbranch_execz .LBB133_34
; %bb.25:
	v_dual_mov_b32 v17, v1 :: v_dual_bitop2_b32 v16, 32, v0 bitop3:0x54
	v_sub_nc_u64_e32 v[18:19], v[8:9], v[0:1]
	v_not_b32_e32 v21, v25
	v_not_b32_e32 v20, v24
	v_mov_b32_e32 v23, 0
	v_sub_nc_u64_e32 v[16:17], v[16:17], v[8:9]
	s_delay_alu instid0(VALU_DEP_3) | instskip(NEXT) | instid1(VALU_DEP_3)
	v_add_nc_u64_e32 v[18:19], v[18:19], v[20:21]
	v_dual_mov_b32 v20, v23 :: v_dual_mov_b32 v21, v23
	s_delay_alu instid0(VALU_DEP_3) | instskip(NEXT) | instid1(VALU_DEP_1)
	v_add_nc_u64_e32 v[16:17], v[16:17], v[24:25]
	v_max_i64 v[16:17], v[16:17], v[12:13]
	s_delay_alu instid0(VALU_DEP_1) | instskip(SKIP_2) | instid1(VALU_DEP_3)
	v_add_nc_u64_e32 v[24:25], v[18:19], v[16:17]
	v_dual_mov_b32 v18, v23 :: v_dual_mov_b32 v19, v23
	v_dual_mov_b32 v16, v23 :: v_dual_mov_b32 v17, v23
	v_and_b32_e32 v22, 0x60, v24
	s_delay_alu instid0(VALU_DEP_1)
	v_cmp_ne_u64_e32 vcc_lo, 0x60, v[22:23]
	v_mov_b32_e32 v22, v23
	s_and_saveexec_b32 s3, vcc_lo
	s_cbranch_execz .LBB133_29
; %bb.26:
	v_dual_lshrrev_b32 v1, 5, v24 :: v_dual_mov_b32 v27, 0
	v_lshl_add_u64 v[28:29], v[10:11], 3, s[8:9]
	v_bfrev_b32_e32 v30, 1
	s_mov_b32 s7, 0
	s_delay_alu instid0(VALU_DEP_3) | instskip(SKIP_2) | instid1(VALU_DEP_3)
	v_dual_mov_b32 v22, v27 :: v_dual_add_nc_u32 v1, 1, v1
	v_dual_mov_b32 v18, v27 :: v_dual_mov_b32 v19, v27
	v_dual_mov_b32 v20, v27 :: v_dual_mov_b32 v21, v27
	v_dual_mov_b32 v23, v27 :: v_dual_bitop2_b32 v26, 3, v1 bitop3:0x40
	v_dual_mov_b32 v16, v27 :: v_dual_mov_b32 v17, v27
	s_delay_alu instid0(VALU_DEP_2)
	v_sub_nc_u64_e32 v[32:33], 0, v[26:27]
.LBB133_27:                             ; =>This Inner Loop Header: Depth=1
	global_load_b64 v[42:43], v[28:29], off
	s_clause 0x1
	global_load_b128 v[34:37], v[14:15], off offset:16
	global_load_b128 v[38:41], v[14:15], off
	v_add_nc_u64_e32 v[32:33], 1, v[32:33]
	v_add_nc_u64_e32 v[10:11], 32, v[10:11]
	s_wait_xcnt 0x2
	v_add_nc_u64_e32 v[28:29], 0x100, v[28:29]
	s_delay_alu instid0(VALU_DEP_3)
	v_cmp_eq_u64_e32 vcc_lo, 0, v[32:33]
	s_or_b32 s7, vcc_lo, s7
	s_wait_loadcnt 0x2
	v_sub_nc_u64_e32 v[42:43], v[42:43], v[8:9]
	s_wait_loadcnt 0x0
	v_dual_mov_b32 v26, v38 :: v_dual_mov_b32 v31, v38
	s_delay_alu instid0(VALU_DEP_2) | instskip(NEXT) | instid1(VALU_DEP_1)
	v_lshlrev_b64_e32 v[42:43], 5, v[42:43]
	v_add_nc_u64_e32 v[58:59], s[4:5], v[42:43]
	s_clause 0x1
	global_load_b128 v[42:45], v[58:59], off
	global_load_b128 v[46:49], v[58:59], off offset:16
	s_clause 0x1
	global_load_b128 v[50:53], v[14:15], off offset:32
	global_load_b128 v[54:57], v[14:15], off offset:48
	s_wait_xcnt 0x0
	v_add_nc_u64_e32 v[14:15], 0x800, v[14:15]
	s_wait_loadcnt 0x3
	v_pk_fma_f32 v[16:17], v[42:43], v[26:27], v[16:17] op_sel_hi:[0,1,1]
	v_dual_mov_b32 v26, v34 :: v_dual_mov_b32 v38, v45
	s_wait_loadcnt 0x2
	v_mov_b32_e32 v58, v49
	s_delay_alu instid0(VALU_DEP_3) | instskip(SKIP_1) | instid1(VALU_DEP_2)
	v_pk_fma_f32 v[16:17], v[42:43], v[30:31], v[16:17] op_sel:[1,0,0]
	v_mov_b32_e32 v31, v34
	v_pk_fma_f32 v[16:17], v[44:45], v[26:27], v[16:17] op_sel_hi:[0,1,1]
	s_wait_loadcnt 0x1
	v_mov_b32_e32 v26, v50
	s_delay_alu instid0(VALU_DEP_2) | instskip(SKIP_1) | instid1(VALU_DEP_2)
	v_pk_fma_f32 v[16:17], v[38:39], v[30:31], v[16:17] op_sel_hi:[0,1,1]
	v_mov_b32_e32 v31, v50
	v_pk_fma_f32 v[16:17], v[46:47], v[26:27], v[16:17] op_sel_hi:[0,1,1]
	s_wait_loadcnt 0x0
	v_mov_b32_e32 v26, v54
	s_delay_alu instid0(VALU_DEP_2) | instskip(SKIP_1) | instid1(VALU_DEP_2)
	v_pk_fma_f32 v[16:17], v[46:47], v[30:31], v[16:17] op_sel:[1,0,0]
	v_mov_b32_e32 v31, v54
	v_pk_fma_f32 v[16:17], v[48:49], v[26:27], v[16:17] op_sel_hi:[0,1,1]
	v_mov_b32_e32 v26, v39
	s_delay_alu instid0(VALU_DEP_2) | instskip(SKIP_1) | instid1(VALU_DEP_3)
	v_pk_fma_f32 v[16:17], v[58:59], v[30:31], v[16:17] op_sel_hi:[0,1,1]
	v_mov_b32_e32 v31, v39
	v_pk_fma_f32 v[20:21], v[42:43], v[26:27], v[20:21] op_sel_hi:[0,1,1]
	v_mov_b32_e32 v26, v35
	s_delay_alu instid0(VALU_DEP_2) | instskip(SKIP_1) | instid1(VALU_DEP_2)
	v_pk_fma_f32 v[20:21], v[42:43], v[30:31], v[20:21] op_sel:[1,0,0]
	v_mov_b32_e32 v31, v35
	v_pk_fma_f32 v[20:21], v[44:45], v[26:27], v[20:21] op_sel_hi:[0,1,1]
	v_mov_b32_e32 v26, v51
	s_delay_alu instid0(VALU_DEP_2) | instskip(SKIP_1) | instid1(VALU_DEP_2)
	v_pk_fma_f32 v[20:21], v[38:39], v[30:31], v[20:21] op_sel_hi:[0,1,1]
	v_mov_b32_e32 v31, v51
	v_pk_fma_f32 v[20:21], v[46:47], v[26:27], v[20:21] op_sel_hi:[0,1,1]
	v_mov_b32_e32 v26, v55
	s_delay_alu instid0(VALU_DEP_2) | instskip(SKIP_1) | instid1(VALU_DEP_2)
	v_pk_fma_f32 v[20:21], v[46:47], v[30:31], v[20:21] op_sel:[1,0,0]
	v_mov_b32_e32 v31, v55
	v_pk_fma_f32 v[20:21], v[48:49], v[26:27], v[20:21] op_sel_hi:[0,1,1]
	v_mov_b32_e32 v26, v40
	s_delay_alu instid0(VALU_DEP_2) | instskip(SKIP_1) | instid1(VALU_DEP_3)
	v_pk_fma_f32 v[20:21], v[58:59], v[30:31], v[20:21] op_sel_hi:[0,1,1]
	v_mov_b32_e32 v31, v40
	v_pk_fma_f32 v[18:19], v[42:43], v[26:27], v[18:19] op_sel_hi:[0,1,1]
	v_mov_b32_e32 v26, v36
	s_delay_alu instid0(VALU_DEP_2) | instskip(SKIP_1) | instid1(VALU_DEP_2)
	v_pk_fma_f32 v[18:19], v[42:43], v[30:31], v[18:19] op_sel:[1,0,0]
	v_mov_b32_e32 v31, v36
	v_pk_fma_f32 v[18:19], v[44:45], v[26:27], v[18:19] op_sel_hi:[0,1,1]
	v_mov_b32_e32 v26, v52
	s_delay_alu instid0(VALU_DEP_2) | instskip(SKIP_1) | instid1(VALU_DEP_2)
	v_pk_fma_f32 v[18:19], v[38:39], v[30:31], v[18:19] op_sel_hi:[0,1,1]
	v_mov_b32_e32 v31, v52
	v_pk_fma_f32 v[18:19], v[46:47], v[26:27], v[18:19] op_sel_hi:[0,1,1]
	;; [unrolled: 20-line block ×3, first 2 shown]
	v_mov_b32_e32 v26, v57
	s_delay_alu instid0(VALU_DEP_2) | instskip(SKIP_1) | instid1(VALU_DEP_2)
	v_pk_fma_f32 v[22:23], v[46:47], v[30:31], v[22:23] op_sel:[1,0,0]
	v_mov_b32_e32 v31, v57
	v_pk_fma_f32 v[22:23], v[48:49], v[26:27], v[22:23] op_sel_hi:[0,1,1]
	s_delay_alu instid0(VALU_DEP_1)
	v_pk_fma_f32 v[22:23], v[58:59], v[30:31], v[22:23] op_sel_hi:[0,1,1]
	s_and_not1_b32 exec_lo, exec_lo, s7
	s_cbranch_execnz .LBB133_27
; %bb.28:
	s_or_b32 exec_lo, exec_lo, s7
.LBB133_29:
	s_delay_alu instid0(SALU_CYCLE_1) | instskip(NEXT) | instid1(SALU_CYCLE_1)
	s_or_b32 exec_lo, exec_lo, s3
	s_mov_b32 s3, exec_lo
	v_cmpx_lt_u64_e32 0x5f, v[24:25]
	s_cbranch_execz .LBB133_33
; %bb.30:
	v_lshl_add_u64 v[24:25], v[10:11], 3, s[8:9]
	v_mov_b32_e32 v27, 0
	v_bfrev_b32_e32 v28, 1
	s_mov_b32 s7, 0
	s_delay_alu instid0(VALU_DEP_3)
	v_add_nc_u64_e32 v[24:25], 0x200, v[24:25]
.LBB133_31:                             ; =>This Inner Loop Header: Depth=1
	s_clause 0x1
	global_load_b64 v[90:91], v[24:25], off offset:-512
	global_load_b64 v[92:93], v[24:25], off offset:-256
	global_load_b128 v[30:33], v[14:15], off
	s_clause 0x1
	global_load_b64 v[94:95], v[24:25], off
	global_load_b64 v[96:97], v[24:25], off offset:256
	s_clause 0xd
	global_load_b128 v[34:37], v[14:15], off offset:16
	global_load_b128 v[38:41], v[14:15], off offset:48
	;; [unrolled: 1-line block ×14, first 2 shown]
	v_add_nc_u64_e32 v[10:11], 0x80, v[10:11]
	s_wait_xcnt 0xe
	v_add_nc_u64_e32 v[24:25], 0x400, v[24:25]
	s_delay_alu instid0(VALU_DEP_2)
	v_cmp_ge_i64_e32 vcc_lo, v[10:11], v[12:13]
	s_or_b32 s7, vcc_lo, s7
	s_wait_loadcnt 0x12
	v_sub_nc_u64_e32 v[90:91], v[90:91], v[8:9]
	s_wait_loadcnt 0x11
	v_sub_nc_u64_e32 v[92:93], v[92:93], v[8:9]
	s_wait_loadcnt 0x10
	v_dual_mov_b32 v26, v30 :: v_dual_mov_b32 v29, v30
	s_wait_loadcnt 0xf
	v_sub_nc_u64_e32 v[94:95], v[94:95], v[8:9]
	s_wait_loadcnt 0xe
	v_sub_nc_u64_e32 v[96:97], v[96:97], v[8:9]
	v_lshlrev_b64_e32 v[90:91], 5, v[90:91]
	v_lshlrev_b64_e32 v[92:93], 5, v[92:93]
	s_delay_alu instid0(VALU_DEP_4) | instskip(NEXT) | instid1(VALU_DEP_4)
	v_lshlrev_b64_e32 v[94:95], 5, v[94:95]
	v_lshlrev_b64_e32 v[96:97], 5, v[96:97]
	s_delay_alu instid0(VALU_DEP_4) | instskip(NEXT) | instid1(VALU_DEP_4)
	v_add_nc_u64_e32 v[106:107], s[4:5], v[90:91]
	v_add_nc_u64_e32 v[108:109], s[4:5], v[92:93]
	s_delay_alu instid0(VALU_DEP_4) | instskip(NEXT) | instid1(VALU_DEP_4)
	v_add_nc_u64_e32 v[110:111], s[4:5], v[94:95]
	v_add_nc_u64_e32 v[112:113], s[4:5], v[96:97]
	s_clause 0x3
	global_load_b128 v[90:93], v[106:107], off
	global_load_b128 v[94:97], v[106:107], off offset:16
	global_load_b128 v[98:101], v[108:109], off
	global_load_b128 v[102:105], v[108:109], off offset:16
	s_wait_loadcnt 0x3
	v_pk_fma_f32 v[16:17], v[90:91], v[26:27], v[16:17] op_sel_hi:[0,1,1]
	s_wait_xcnt 0x2
	v_dual_mov_b32 v26, v34 :: v_dual_mov_b32 v106, v93
	s_wait_loadcnt 0x2
	s_wait_xcnt 0x0
	v_mov_b32_e32 v108, v97
	v_pk_fma_f32 v[16:17], v[90:91], v[28:29], v[16:17] op_sel:[1,0,0]
	v_mov_b32_e32 v29, v34
	s_delay_alu instid0(VALU_DEP_2) | instskip(SKIP_1) | instid1(VALU_DEP_2)
	v_pk_fma_f32 v[16:17], v[92:93], v[26:27], v[16:17] op_sel_hi:[0,1,1]
	v_mov_b32_e32 v26, v42
	v_pk_fma_f32 v[16:17], v[106:107], v[28:29], v[16:17] op_sel_hi:[0,1,1]
	v_mov_b32_e32 v29, v42
	s_delay_alu instid0(VALU_DEP_2) | instskip(SKIP_1) | instid1(VALU_DEP_2)
	v_pk_fma_f32 v[16:17], v[94:95], v[26:27], v[16:17] op_sel_hi:[0,1,1]
	v_mov_b32_e32 v26, v38
	v_pk_fma_f32 v[16:17], v[94:95], v[28:29], v[16:17] op_sel:[1,0,0]
	v_mov_b32_e32 v29, v38
	s_delay_alu instid0(VALU_DEP_2) | instskip(SKIP_1) | instid1(VALU_DEP_2)
	v_pk_fma_f32 v[16:17], v[96:97], v[26:27], v[16:17] op_sel_hi:[0,1,1]
	v_mov_b32_e32 v26, v58
	v_pk_fma_f32 v[16:17], v[108:109], v[28:29], v[16:17] op_sel_hi:[0,1,1]
	v_mov_b32_e32 v29, v58
	s_wait_loadcnt 0x1
	s_delay_alu instid0(VALU_DEP_2) | instskip(SKIP_1) | instid1(VALU_DEP_2)
	v_pk_fma_f32 v[16:17], v[98:99], v[26:27], v[16:17] op_sel_hi:[0,1,1]
	v_mov_b32_e32 v26, v31
	v_pk_fma_f32 v[114:115], v[98:99], v[28:29], v[16:17] op_sel:[1,0,0]
	v_mov_b32_e32 v29, v31
	s_delay_alu instid0(VALU_DEP_3) | instskip(SKIP_1) | instid1(VALU_DEP_2)
	v_pk_fma_f32 v[16:17], v[90:91], v[26:27], v[20:21] op_sel_hi:[0,1,1]
	v_mov_b32_e32 v26, v35
	v_pk_fma_f32 v[16:17], v[90:91], v[28:29], v[16:17] op_sel:[1,0,0]
	v_mov_b32_e32 v29, v35
	s_delay_alu instid0(VALU_DEP_2) | instskip(SKIP_1) | instid1(VALU_DEP_2)
	v_pk_fma_f32 v[16:17], v[92:93], v[26:27], v[16:17] op_sel_hi:[0,1,1]
	v_mov_b32_e32 v26, v43
	v_pk_fma_f32 v[16:17], v[106:107], v[28:29], v[16:17] op_sel_hi:[0,1,1]
	v_mov_b32_e32 v29, v43
	s_delay_alu instid0(VALU_DEP_2) | instskip(SKIP_1) | instid1(VALU_DEP_2)
	v_pk_fma_f32 v[16:17], v[94:95], v[26:27], v[16:17] op_sel_hi:[0,1,1]
	v_mov_b32_e32 v26, v39
	v_pk_fma_f32 v[16:17], v[94:95], v[28:29], v[16:17] op_sel:[1,0,0]
	v_mov_b32_e32 v29, v39
	s_delay_alu instid0(VALU_DEP_2) | instskip(SKIP_1) | instid1(VALU_DEP_2)
	v_pk_fma_f32 v[16:17], v[96:97], v[26:27], v[16:17] op_sel_hi:[0,1,1]
	v_mov_b32_e32 v26, v59
	v_pk_fma_f32 v[16:17], v[108:109], v[28:29], v[16:17] op_sel_hi:[0,1,1]
	v_mov_b32_e32 v29, v59
	s_delay_alu instid0(VALU_DEP_2) | instskip(SKIP_1) | instid1(VALU_DEP_2)
	v_pk_fma_f32 v[16:17], v[98:99], v[26:27], v[16:17] op_sel_hi:[0,1,1]
	v_mov_b32_e32 v26, v32
	v_pk_fma_f32 v[38:39], v[98:99], v[28:29], v[16:17] op_sel:[1,0,0]
	v_mov_b32_e32 v29, v32
	s_delay_alu instid0(VALU_DEP_3) | instskip(SKIP_1) | instid1(VALU_DEP_2)
	v_pk_fma_f32 v[16:17], v[90:91], v[26:27], v[18:19] op_sel_hi:[0,1,1]
	v_mov_b32_e32 v26, v36
	v_pk_fma_f32 v[16:17], v[90:91], v[28:29], v[16:17] op_sel:[1,0,0]
	v_mov_b32_e32 v29, v36
	s_delay_alu instid0(VALU_DEP_2) | instskip(SKIP_1) | instid1(VALU_DEP_2)
	v_pk_fma_f32 v[16:17], v[92:93], v[26:27], v[16:17] op_sel_hi:[0,1,1]
	v_mov_b32_e32 v26, v44
	v_pk_fma_f32 v[16:17], v[106:107], v[28:29], v[16:17] op_sel_hi:[0,1,1]
	s_wait_loadcnt 0x0
	v_dual_mov_b32 v29, v44 :: v_dual_mov_b32 v44, v105
	s_delay_alu instid0(VALU_DEP_2) | instskip(SKIP_1) | instid1(VALU_DEP_2)
	v_pk_fma_f32 v[16:17], v[94:95], v[26:27], v[16:17] op_sel_hi:[0,1,1]
	v_mov_b32_e32 v26, v40
	v_pk_fma_f32 v[16:17], v[94:95], v[28:29], v[16:17] op_sel:[1,0,0]
	v_dual_mov_b32 v29, v40 :: v_dual_mov_b32 v40, v101
	s_delay_alu instid0(VALU_DEP_2) | instskip(SKIP_1) | instid1(VALU_DEP_2)
	v_pk_fma_f32 v[16:17], v[96:97], v[26:27], v[16:17] op_sel_hi:[0,1,1]
	v_mov_b32_e32 v26, v60
	v_pk_fma_f32 v[16:17], v[108:109], v[28:29], v[16:17] op_sel_hi:[0,1,1]
	v_mov_b32_e32 v29, v60
	s_delay_alu instid0(VALU_DEP_2) | instskip(SKIP_1) | instid1(VALU_DEP_2)
	v_pk_fma_f32 v[16:17], v[98:99], v[26:27], v[16:17] op_sel_hi:[0,1,1]
	v_mov_b32_e32 v26, v33
	v_pk_fma_f32 v[42:43], v[98:99], v[28:29], v[16:17] op_sel:[1,0,0]
	v_mov_b32_e32 v29, v33
	s_clause 0x1
	global_load_b128 v[16:19], v[110:111], off
	global_load_b128 v[30:33], v[110:111], off offset:16
	v_pk_fma_f32 v[20:21], v[90:91], v[26:27], v[22:23] op_sel_hi:[0,1,1]
	v_mov_b32_e32 v26, v37
	s_delay_alu instid0(VALU_DEP_2)
	v_pk_fma_f32 v[20:21], v[90:91], v[28:29], v[20:21] op_sel:[1,0,0]
	v_mov_b32_e32 v29, v37
	global_load_b128 v[34:37], v[112:113], off
	v_pk_fma_f32 v[20:21], v[92:93], v[26:27], v[20:21] op_sel_hi:[0,1,1]
	global_load_b128 v[90:93], v[112:113], off offset:16
	v_mov_b32_e32 v26, v45
	v_pk_fma_f32 v[58:59], v[106:107], v[28:29], v[20:21] op_sel_hi:[0,1,1]
	global_load_b128 v[20:23], v[14:15], off offset:6192
	v_mov_b32_e32 v29, v45
	s_wait_xcnt 0x0
	v_add_nc_u64_e32 v[14:15], 0x2000, v[14:15]
	v_pk_fma_f32 v[58:59], v[94:95], v[26:27], v[58:59] op_sel_hi:[0,1,1]
	v_mov_b32_e32 v26, v41
	s_delay_alu instid0(VALU_DEP_2) | instskip(SKIP_1) | instid1(VALU_DEP_2)
	v_pk_fma_f32 v[58:59], v[94:95], v[28:29], v[58:59] op_sel:[1,0,0]
	v_mov_b32_e32 v29, v41
	v_pk_fma_f32 v[58:59], v[96:97], v[26:27], v[58:59] op_sel_hi:[0,1,1]
	v_mov_b32_e32 v26, v61
	s_delay_alu instid0(VALU_DEP_2) | instskip(SKIP_1) | instid1(VALU_DEP_2)
	v_pk_fma_f32 v[58:59], v[108:109], v[28:29], v[58:59] op_sel_hi:[0,1,1]
	v_mov_b32_e32 v29, v61
	v_pk_fma_f32 v[58:59], v[98:99], v[26:27], v[58:59] op_sel_hi:[0,1,1]
	v_mov_b32_e32 v26, v54
	s_delay_alu instid0(VALU_DEP_2) | instskip(SKIP_1) | instid1(VALU_DEP_3)
	v_pk_fma_f32 v[58:59], v[98:99], v[28:29], v[58:59] op_sel:[1,0,0]
	v_mov_b32_e32 v29, v54
	v_pk_fma_f32 v[98:99], v[100:101], v[26:27], v[114:115] op_sel_hi:[0,1,1]
	v_mov_b32_e32 v26, v50
	s_delay_alu instid0(VALU_DEP_2) | instskip(SKIP_1) | instid1(VALU_DEP_2)
	v_pk_fma_f32 v[98:99], v[40:41], v[28:29], v[98:99] op_sel_hi:[0,1,1]
	v_mov_b32_e32 v29, v50
	v_pk_fma_f32 v[98:99], v[102:103], v[26:27], v[98:99] op_sel_hi:[0,1,1]
	v_mov_b32_e32 v26, v46
	s_delay_alu instid0(VALU_DEP_2) | instskip(SKIP_1) | instid1(VALU_DEP_2)
	v_pk_fma_f32 v[98:99], v[102:103], v[28:29], v[98:99] op_sel:[1,0,0]
	v_mov_b32_e32 v29, v46
	v_pk_fma_f32 v[98:99], v[104:105], v[26:27], v[98:99] op_sel_hi:[0,1,1]
	v_mov_b32_e32 v26, v74
	s_delay_alu instid0(VALU_DEP_2) | instskip(SKIP_2) | instid1(VALU_DEP_2)
	v_pk_fma_f32 v[98:99], v[44:45], v[28:29], v[98:99] op_sel_hi:[0,1,1]
	v_mov_b32_e32 v29, v74
	s_wait_loadcnt 0x4
	v_pk_fma_f32 v[98:99], v[16:17], v[26:27], v[98:99] op_sel_hi:[0,1,1]
	v_dual_mov_b32 v26, v70 :: v_dual_mov_b32 v60, v19
	s_wait_loadcnt 0x3
	v_mov_b32_e32 v94, v33
	s_delay_alu instid0(VALU_DEP_3) | instskip(SKIP_2) | instid1(VALU_DEP_2)
	v_pk_fma_f32 v[98:99], v[16:17], v[28:29], v[98:99] op_sel:[1,0,0]
	s_wait_loadcnt 0x2
	v_dual_mov_b32 v29, v70 :: v_dual_mov_b32 v96, v37
	v_pk_fma_f32 v[98:99], v[18:19], v[26:27], v[98:99] op_sel_hi:[0,1,1]
	s_wait_loadcnt 0x1
	v_dual_mov_b32 v26, v66 :: v_dual_mov_b32 v106, v93
	s_delay_alu instid0(VALU_DEP_2) | instskip(SKIP_1) | instid1(VALU_DEP_2)
	v_pk_fma_f32 v[98:99], v[60:61], v[28:29], v[98:99] op_sel_hi:[0,1,1]
	v_mov_b32_e32 v29, v55
	v_pk_fma_f32 v[98:99], v[30:31], v[26:27], v[98:99] op_sel_hi:[0,1,1]
	v_mov_b32_e32 v26, v55
	s_delay_alu instid0(VALU_DEP_1) | instskip(SKIP_1) | instid1(VALU_DEP_2)
	v_pk_fma_f32 v[38:39], v[100:101], v[26:27], v[38:39] op_sel_hi:[0,1,1]
	v_mov_b32_e32 v26, v51
	v_pk_fma_f32 v[38:39], v[40:41], v[28:29], v[38:39] op_sel_hi:[0,1,1]
	v_mov_b32_e32 v29, v51
	s_delay_alu instid0(VALU_DEP_2) | instskip(SKIP_1) | instid1(VALU_DEP_2)
	v_pk_fma_f32 v[38:39], v[102:103], v[26:27], v[38:39] op_sel_hi:[0,1,1]
	v_mov_b32_e32 v26, v47
	v_pk_fma_f32 v[38:39], v[102:103], v[28:29], v[38:39] op_sel:[1,0,0]
	v_mov_b32_e32 v29, v47
	s_delay_alu instid0(VALU_DEP_2) | instskip(SKIP_1) | instid1(VALU_DEP_2)
	v_pk_fma_f32 v[38:39], v[104:105], v[26:27], v[38:39] op_sel_hi:[0,1,1]
	v_mov_b32_e32 v26, v75
	v_pk_fma_f32 v[38:39], v[44:45], v[28:29], v[38:39] op_sel_hi:[0,1,1]
	v_mov_b32_e32 v29, v75
	s_delay_alu instid0(VALU_DEP_2) | instskip(SKIP_1) | instid1(VALU_DEP_2)
	v_pk_fma_f32 v[38:39], v[16:17], v[26:27], v[38:39] op_sel_hi:[0,1,1]
	v_mov_b32_e32 v26, v71
	v_pk_fma_f32 v[38:39], v[16:17], v[28:29], v[38:39] op_sel:[1,0,0]
	v_mov_b32_e32 v29, v71
	s_delay_alu instid0(VALU_DEP_2) | instskip(SKIP_1) | instid1(VALU_DEP_2)
	v_pk_fma_f32 v[38:39], v[18:19], v[26:27], v[38:39] op_sel_hi:[0,1,1]
	v_mov_b32_e32 v26, v67
	v_pk_fma_f32 v[38:39], v[60:61], v[28:29], v[38:39] op_sel_hi:[0,1,1]
	v_mov_b32_e32 v29, v56
	s_delay_alu instid0(VALU_DEP_2) | instskip(SKIP_1) | instid1(VALU_DEP_1)
	v_pk_fma_f32 v[38:39], v[30:31], v[26:27], v[38:39] op_sel_hi:[0,1,1]
	v_mov_b32_e32 v26, v56
	v_pk_fma_f32 v[42:43], v[100:101], v[26:27], v[42:43] op_sel_hi:[0,1,1]
	v_mov_b32_e32 v26, v52
	s_delay_alu instid0(VALU_DEP_2) | instskip(SKIP_1) | instid1(VALU_DEP_2)
	v_pk_fma_f32 v[42:43], v[40:41], v[28:29], v[42:43] op_sel_hi:[0,1,1]
	v_mov_b32_e32 v29, v52
	v_pk_fma_f32 v[42:43], v[102:103], v[26:27], v[42:43] op_sel_hi:[0,1,1]
	v_mov_b32_e32 v26, v48
	s_delay_alu instid0(VALU_DEP_2) | instskip(SKIP_1) | instid1(VALU_DEP_2)
	v_pk_fma_f32 v[42:43], v[102:103], v[28:29], v[42:43] op_sel:[1,0,0]
	v_mov_b32_e32 v29, v48
	v_pk_fma_f32 v[42:43], v[104:105], v[26:27], v[42:43] op_sel_hi:[0,1,1]
	v_mov_b32_e32 v26, v76
	s_delay_alu instid0(VALU_DEP_2) | instskip(SKIP_1) | instid1(VALU_DEP_2)
	v_pk_fma_f32 v[42:43], v[44:45], v[28:29], v[42:43] op_sel_hi:[0,1,1]
	v_mov_b32_e32 v29, v76
	v_pk_fma_f32 v[42:43], v[16:17], v[26:27], v[42:43] op_sel_hi:[0,1,1]
	v_mov_b32_e32 v26, v72
	s_delay_alu instid0(VALU_DEP_2) | instskip(SKIP_1) | instid1(VALU_DEP_2)
	v_pk_fma_f32 v[42:43], v[16:17], v[28:29], v[42:43] op_sel:[1,0,0]
	v_mov_b32_e32 v29, v72
	v_pk_fma_f32 v[42:43], v[18:19], v[26:27], v[42:43] op_sel_hi:[0,1,1]
	v_mov_b32_e32 v26, v68
	s_delay_alu instid0(VALU_DEP_2) | instskip(SKIP_1) | instid1(VALU_DEP_2)
	v_pk_fma_f32 v[42:43], v[60:61], v[28:29], v[42:43] op_sel_hi:[0,1,1]
	v_mov_b32_e32 v29, v57
	v_pk_fma_f32 v[42:43], v[30:31], v[26:27], v[42:43] op_sel_hi:[0,1,1]
	v_mov_b32_e32 v26, v57
	s_delay_alu instid0(VALU_DEP_1) | instskip(SKIP_1) | instid1(VALU_DEP_2)
	v_pk_fma_f32 v[46:47], v[100:101], v[26:27], v[58:59] op_sel_hi:[0,1,1]
	v_mov_b32_e32 v26, v53
	v_pk_fma_f32 v[40:41], v[40:41], v[28:29], v[46:47] op_sel_hi:[0,1,1]
	v_mov_b32_e32 v29, v53
	s_delay_alu instid0(VALU_DEP_2) | instskip(SKIP_1) | instid1(VALU_DEP_2)
	v_pk_fma_f32 v[40:41], v[102:103], v[26:27], v[40:41] op_sel_hi:[0,1,1]
	v_mov_b32_e32 v26, v49
	v_pk_fma_f32 v[40:41], v[102:103], v[28:29], v[40:41] op_sel:[1,0,0]
	v_mov_b32_e32 v29, v49
	s_delay_alu instid0(VALU_DEP_2) | instskip(SKIP_1) | instid1(VALU_DEP_2)
	v_pk_fma_f32 v[40:41], v[104:105], v[26:27], v[40:41] op_sel_hi:[0,1,1]
	v_mov_b32_e32 v26, v77
	v_pk_fma_f32 v[40:41], v[44:45], v[28:29], v[40:41] op_sel_hi:[0,1,1]
	v_mov_b32_e32 v29, v77
	s_delay_alu instid0(VALU_DEP_2) | instskip(SKIP_1) | instid1(VALU_DEP_2)
	v_pk_fma_f32 v[40:41], v[16:17], v[26:27], v[40:41] op_sel_hi:[0,1,1]
	v_mov_b32_e32 v26, v73
	v_pk_fma_f32 v[16:17], v[16:17], v[28:29], v[40:41] op_sel:[1,0,0]
	v_mov_b32_e32 v29, v73
	s_delay_alu instid0(VALU_DEP_2) | instskip(SKIP_1) | instid1(VALU_DEP_2)
	v_pk_fma_f32 v[16:17], v[18:19], v[26:27], v[16:17] op_sel_hi:[0,1,1]
	v_mov_b32_e32 v26, v69
	v_pk_fma_f32 v[16:17], v[60:61], v[28:29], v[16:17] op_sel_hi:[0,1,1]
	v_mov_b32_e32 v29, v66
	s_delay_alu instid0(VALU_DEP_2) | instskip(NEXT) | instid1(VALU_DEP_2)
	v_pk_fma_f32 v[40:41], v[30:31], v[26:27], v[16:17] op_sel_hi:[0,1,1]
	v_pk_fma_f32 v[16:17], v[30:31], v[28:29], v[98:99] op_sel:[1,0,0]
	v_dual_mov_b32 v26, v62 :: v_dual_mov_b32 v29, v62
	s_delay_alu instid0(VALU_DEP_1) | instskip(SKIP_1) | instid1(VALU_DEP_2)
	v_pk_fma_f32 v[16:17], v[32:33], v[26:27], v[16:17] op_sel_hi:[0,1,1]
	v_mov_b32_e32 v26, v82
	v_pk_fma_f32 v[16:17], v[94:95], v[28:29], v[16:17] op_sel_hi:[0,1,1]
	v_mov_b32_e32 v29, v82
	s_delay_alu instid0(VALU_DEP_2) | instskip(SKIP_1) | instid1(VALU_DEP_2)
	v_pk_fma_f32 v[16:17], v[34:35], v[26:27], v[16:17] op_sel_hi:[0,1,1]
	v_mov_b32_e32 v26, v78
	v_pk_fma_f32 v[16:17], v[34:35], v[28:29], v[16:17] op_sel:[1,0,0]
	v_mov_b32_e32 v29, v78
	s_delay_alu instid0(VALU_DEP_2) | instskip(SKIP_1) | instid1(VALU_DEP_2)
	v_pk_fma_f32 v[16:17], v[36:37], v[26:27], v[16:17] op_sel_hi:[0,1,1]
	v_mov_b32_e32 v26, v86
	v_pk_fma_f32 v[16:17], v[96:97], v[28:29], v[16:17] op_sel_hi:[0,1,1]
	v_mov_b32_e32 v29, v86
	s_delay_alu instid0(VALU_DEP_2) | instskip(SKIP_2) | instid1(VALU_DEP_2)
	v_pk_fma_f32 v[16:17], v[90:91], v[26:27], v[16:17] op_sel_hi:[0,1,1]
	s_wait_loadcnt 0x0
	v_mov_b32_e32 v26, v20
	v_pk_fma_f32 v[16:17], v[90:91], v[28:29], v[16:17] op_sel:[1,0,0]
	v_mov_b32_e32 v29, v20
	s_delay_alu instid0(VALU_DEP_2) | instskip(SKIP_1) | instid1(VALU_DEP_2)
	v_pk_fma_f32 v[16:17], v[92:93], v[26:27], v[16:17] op_sel_hi:[0,1,1]
	v_mov_b32_e32 v26, v63
	v_pk_fma_f32 v[16:17], v[106:107], v[28:29], v[16:17] op_sel_hi:[0,1,1]
	v_mov_b32_e32 v29, v67
	s_delay_alu instid0(VALU_DEP_1) | instskip(SKIP_1) | instid1(VALU_DEP_2)
	v_pk_fma_f32 v[18:19], v[30:31], v[28:29], v[38:39] op_sel:[1,0,0]
	v_mov_b32_e32 v29, v63
	v_pk_fma_f32 v[18:19], v[32:33], v[26:27], v[18:19] op_sel_hi:[0,1,1]
	v_mov_b32_e32 v26, v83
	s_delay_alu instid0(VALU_DEP_2) | instskip(SKIP_1) | instid1(VALU_DEP_2)
	v_pk_fma_f32 v[18:19], v[94:95], v[28:29], v[18:19] op_sel_hi:[0,1,1]
	v_mov_b32_e32 v29, v83
	v_pk_fma_f32 v[18:19], v[34:35], v[26:27], v[18:19] op_sel_hi:[0,1,1]
	v_mov_b32_e32 v26, v79
	s_delay_alu instid0(VALU_DEP_2) | instskip(SKIP_1) | instid1(VALU_DEP_2)
	v_pk_fma_f32 v[18:19], v[34:35], v[28:29], v[18:19] op_sel:[1,0,0]
	v_mov_b32_e32 v29, v79
	v_pk_fma_f32 v[18:19], v[36:37], v[26:27], v[18:19] op_sel_hi:[0,1,1]
	v_mov_b32_e32 v26, v87
	s_delay_alu instid0(VALU_DEP_2) | instskip(SKIP_1) | instid1(VALU_DEP_2)
	v_pk_fma_f32 v[18:19], v[96:97], v[28:29], v[18:19] op_sel_hi:[0,1,1]
	v_mov_b32_e32 v29, v87
	v_pk_fma_f32 v[18:19], v[90:91], v[26:27], v[18:19] op_sel_hi:[0,1,1]
	v_mov_b32_e32 v26, v21
	s_delay_alu instid0(VALU_DEP_2) | instskip(SKIP_1) | instid1(VALU_DEP_2)
	v_pk_fma_f32 v[18:19], v[90:91], v[28:29], v[18:19] op_sel:[1,0,0]
	v_mov_b32_e32 v29, v21
	v_pk_fma_f32 v[18:19], v[92:93], v[26:27], v[18:19] op_sel_hi:[0,1,1]
	v_mov_b32_e32 v26, v64
	s_delay_alu instid0(VALU_DEP_2) | instskip(SKIP_1) | instid1(VALU_DEP_1)
	v_pk_fma_f32 v[20:21], v[106:107], v[28:29], v[18:19] op_sel_hi:[0,1,1]
	v_mov_b32_e32 v29, v68
	v_pk_fma_f32 v[18:19], v[30:31], v[28:29], v[42:43] op_sel:[1,0,0]
	v_mov_b32_e32 v29, v64
	s_delay_alu instid0(VALU_DEP_2) | instskip(SKIP_1) | instid1(VALU_DEP_2)
	v_pk_fma_f32 v[18:19], v[32:33], v[26:27], v[18:19] op_sel_hi:[0,1,1]
	v_mov_b32_e32 v26, v84
	v_pk_fma_f32 v[18:19], v[94:95], v[28:29], v[18:19] op_sel_hi:[0,1,1]
	v_mov_b32_e32 v29, v84
	s_delay_alu instid0(VALU_DEP_2) | instskip(SKIP_1) | instid1(VALU_DEP_2)
	v_pk_fma_f32 v[18:19], v[34:35], v[26:27], v[18:19] op_sel_hi:[0,1,1]
	v_mov_b32_e32 v26, v80
	v_pk_fma_f32 v[18:19], v[34:35], v[28:29], v[18:19] op_sel:[1,0,0]
	v_mov_b32_e32 v29, v80
	s_delay_alu instid0(VALU_DEP_2) | instskip(SKIP_1) | instid1(VALU_DEP_2)
	v_pk_fma_f32 v[18:19], v[36:37], v[26:27], v[18:19] op_sel_hi:[0,1,1]
	v_mov_b32_e32 v26, v88
	v_pk_fma_f32 v[18:19], v[96:97], v[28:29], v[18:19] op_sel_hi:[0,1,1]
	v_mov_b32_e32 v29, v88
	s_delay_alu instid0(VALU_DEP_2) | instskip(SKIP_1) | instid1(VALU_DEP_2)
	v_pk_fma_f32 v[18:19], v[90:91], v[26:27], v[18:19] op_sel_hi:[0,1,1]
	v_mov_b32_e32 v26, v22
	v_pk_fma_f32 v[18:19], v[90:91], v[28:29], v[18:19] op_sel:[1,0,0]
	v_mov_b32_e32 v29, v22
	s_delay_alu instid0(VALU_DEP_2) | instskip(SKIP_1) | instid1(VALU_DEP_2)
	v_pk_fma_f32 v[18:19], v[92:93], v[26:27], v[18:19] op_sel_hi:[0,1,1]
	v_mov_b32_e32 v26, v65
	v_pk_fma_f32 v[18:19], v[106:107], v[28:29], v[18:19] op_sel_hi:[0,1,1]
	v_mov_b32_e32 v29, v69
	s_delay_alu instid0(VALU_DEP_1) | instskip(SKIP_1) | instid1(VALU_DEP_2)
	v_pk_fma_f32 v[30:31], v[30:31], v[28:29], v[40:41] op_sel:[1,0,0]
	v_mov_b32_e32 v29, v65
	v_pk_fma_f32 v[30:31], v[32:33], v[26:27], v[30:31] op_sel_hi:[0,1,1]
	v_mov_b32_e32 v26, v85
	s_delay_alu instid0(VALU_DEP_2) | instskip(SKIP_1) | instid1(VALU_DEP_2)
	v_pk_fma_f32 v[30:31], v[94:95], v[28:29], v[30:31] op_sel_hi:[0,1,1]
	v_mov_b32_e32 v29, v85
	v_pk_fma_f32 v[30:31], v[34:35], v[26:27], v[30:31] op_sel_hi:[0,1,1]
	v_mov_b32_e32 v26, v81
	s_delay_alu instid0(VALU_DEP_2) | instskip(SKIP_1) | instid1(VALU_DEP_2)
	v_pk_fma_f32 v[30:31], v[34:35], v[28:29], v[30:31] op_sel:[1,0,0]
	v_mov_b32_e32 v29, v81
	v_pk_fma_f32 v[30:31], v[36:37], v[26:27], v[30:31] op_sel_hi:[0,1,1]
	v_mov_b32_e32 v26, v89
	s_delay_alu instid0(VALU_DEP_2) | instskip(SKIP_1) | instid1(VALU_DEP_2)
	v_pk_fma_f32 v[30:31], v[96:97], v[28:29], v[30:31] op_sel_hi:[0,1,1]
	v_mov_b32_e32 v29, v89
	v_pk_fma_f32 v[30:31], v[90:91], v[26:27], v[30:31] op_sel_hi:[0,1,1]
	v_mov_b32_e32 v26, v23
	s_delay_alu instid0(VALU_DEP_2) | instskip(SKIP_1) | instid1(VALU_DEP_2)
	v_pk_fma_f32 v[30:31], v[90:91], v[28:29], v[30:31] op_sel:[1,0,0]
	v_mov_b32_e32 v29, v23
	v_pk_fma_f32 v[22:23], v[92:93], v[26:27], v[30:31] op_sel_hi:[0,1,1]
	s_delay_alu instid0(VALU_DEP_1)
	v_pk_fma_f32 v[22:23], v[106:107], v[28:29], v[22:23] op_sel_hi:[0,1,1]
	s_and_not1_b32 exec_lo, exec_lo, s7
	s_cbranch_execnz .LBB133_31
; %bb.32:
	s_or_b32 exec_lo, exec_lo, s7
.LBB133_33:
	s_delay_alu instid0(SALU_CYCLE_1)
	s_or_b32 exec_lo, exec_lo, s3
.LBB133_34:
	s_delay_alu instid0(SALU_CYCLE_1)
	s_or_b32 exec_lo, exec_lo, s6
.LBB133_35:
	v_mbcnt_lo_u32_b32 v1, -1, 0
	s_delay_alu instid0(VALU_DEP_1) | instskip(SKIP_1) | instid1(VALU_DEP_1)
	v_xor_b32_e32 v24, 8, v1
	v_xor_b32_e32 v8, 16, v1
	v_cmp_gt_i32_e32 vcc_lo, 32, v8
	v_cndmask_b32_e32 v8, v1, v8, vcc_lo
	s_delay_alu instid0(VALU_DEP_1)
	v_lshlrev_b32_e32 v8, 2, v8
	ds_bpermute_b32 v10, v8, v17
	s_wait_dscnt 0x0
	v_add_f32_e32 v10, v17, v10
	ds_bpermute_b32 v11, v8, v20
	ds_bpermute_b32 v9, v8, v16
	;; [unrolled: 1-line block ×7, first 2 shown]
	s_wait_dscnt 0x6
	v_add_f32_e32 v11, v20, v11
	v_cmp_gt_i32_e32 vcc_lo, 32, v24
	s_wait_dscnt 0x3
	v_dual_add_f32 v9, v16, v9 :: v_dual_add_f32 v12, v21, v12
	s_wait_dscnt 0x1
	v_dual_add_f32 v14, v19, v14 :: v_dual_add_f32 v15, v22, v15
	s_wait_dscnt 0x0
	v_add_f32_e32 v8, v23, v8
	v_dual_cndmask_b32 v24, v1, v24 :: v_dual_add_f32 v13, v18, v13
	s_delay_alu instid0(VALU_DEP_1)
	v_lshlrev_b32_e32 v24, 2, v24
	ds_bpermute_b32 v16, v24, v9
	ds_bpermute_b32 v17, v24, v10
	;; [unrolled: 1-line block ×8, first 2 shown]
	s_wait_dscnt 0x7
	v_dual_add_f32 v9, v9, v16 :: v_dual_bitop2_b32 v24, 4, v1 bitop3:0x14
	s_delay_alu instid0(VALU_DEP_1)
	v_cmp_gt_i32_e32 vcc_lo, 32, v24
	s_wait_dscnt 0x4
	v_dual_add_f32 v10, v10, v17 :: v_dual_add_f32 v12, v12, v19
	s_wait_dscnt 0x2
	v_dual_add_f32 v13, v13, v20 :: v_dual_add_f32 v14, v14, v21
	s_wait_dscnt 0x1
	v_dual_add_f32 v15, v15, v22 :: v_dual_cndmask_b32 v24, v1, v24
	s_wait_dscnt 0x0
	v_dual_add_f32 v11, v11, v18 :: v_dual_add_f32 v8, v8, v23
	s_delay_alu instid0(VALU_DEP_2)
	v_lshlrev_b32_e32 v24, 2, v24
	ds_bpermute_b32 v16, v24, v9
	ds_bpermute_b32 v17, v24, v10
	;; [unrolled: 1-line block ×8, first 2 shown]
	v_xor_b32_e32 v24, 2, v1
	s_delay_alu instid0(VALU_DEP_1) | instskip(SKIP_4) | instid1(VALU_DEP_2)
	v_cmp_gt_i32_e32 vcc_lo, 32, v24
	v_cndmask_b32_e32 v24, v1, v24, vcc_lo
	s_wait_dscnt 0x6
	v_dual_add_f32 v9, v9, v16 :: v_dual_add_f32 v10, v10, v17
	s_wait_dscnt 0x5
	v_dual_add_f32 v11, v11, v18 :: v_dual_lshlrev_b32 v24, 2, v24
	s_wait_dscnt 0x3
	v_dual_add_f32 v12, v12, v19 :: v_dual_add_f32 v13, v13, v20
	s_wait_dscnt 0x1
	v_dual_add_f32 v14, v14, v21 :: v_dual_add_f32 v15, v15, v22
	s_wait_dscnt 0x0
	v_add_f32_e32 v16, v8, v23
	ds_bpermute_b32 v8, v24, v9
	ds_bpermute_b32 v17, v24, v10
	;; [unrolled: 1-line block ×8, first 2 shown]
	s_wait_dscnt 0x7
	v_dual_add_f32 v8, v9, v8 :: v_dual_bitop2_b32 v24, 1, v1 bitop3:0x14
	s_delay_alu instid0(VALU_DEP_1)
	v_cmp_gt_i32_e32 vcc_lo, 32, v24
	s_wait_dscnt 0x5
	v_dual_add_f32 v9, v10, v17 :: v_dual_add_f32 v10, v11, v18
	s_wait_dscnt 0x3
	v_dual_add_f32 v11, v12, v19 :: v_dual_add_f32 v12, v13, v20
	s_wait_dscnt 0x2
	v_dual_cndmask_b32 v1, v1, v24, vcc_lo :: v_dual_add_f32 v13, v14, v21
	s_wait_dscnt 0x1
	v_add_f32_e32 v15, v15, v22
	v_cmp_eq_u32_e32 vcc_lo, 31, v0
	s_wait_dscnt 0x0
	v_dual_add_f32 v1, v16, v23 :: v_dual_lshlrev_b32 v24, 2, v1
	ds_bpermute_b32 v14, v24, v8
	ds_bpermute_b32 v17, v24, v9
	;; [unrolled: 1-line block ×8, first 2 shown]
	s_and_b32 exec_lo, exec_lo, vcc_lo
	s_cbranch_execz .LBB133_6
; %bb.36:
	s_load_b64 s[0:1], s[0:1], 0x58
	s_wait_dscnt 0x6
	v_dual_add_f32 v0, v8, v14 :: v_dual_add_f32 v20, v9, v17
	s_wait_dscnt 0x4
	v_dual_add_f32 v8, v10, v18 :: v_dual_add_f32 v18, v11, v19
	;; [unrolled: 2-line block ×3, first 2 shown]
	s_wait_dscnt 0x1
	v_add_f32_e32 v12, v15, v23
	v_cmp_eq_f32_e32 vcc_lo, 0, v4
	v_lshlrev_b64_e32 v[22:23], 5, v[6:7]
	s_wait_dscnt 0x0
	v_add_f32_e32 v6, v1, v16
	v_xor_b32_e32 v16, 0x80000000, v3
	s_xor_b32 s2, s2, -1
	s_delay_alu instid0(SALU_CYCLE_1) | instskip(NEXT) | instid1(SALU_CYCLE_1)
	s_and_b32 s2, vcc_lo, s2
	s_and_saveexec_b32 s3, s2
	s_delay_alu instid0(SALU_CYCLE_1)
	s_xor_b32 s2, exec_lo, s3
	s_cbranch_execz .LBB133_38
; %bb.37:
	v_mov_b32_e32 v17, v2
	s_delay_alu instid0(VALU_DEP_1)
	v_pk_mul_f32 v[4:5], v[20:21], v[16:17] op_sel_hi:[0,1]
	v_pk_mul_f32 v[18:19], v[18:19], v[16:17] op_sel_hi:[0,1]
	;; [unrolled: 1-line block ×4, first 2 shown]
	s_wait_kmcnt 0x0
	v_add_nc_u64_e32 v[20:21], s[0:1], v[22:23]
	v_pk_fma_f32 v[4:5], v[2:3], v[0:1], v[4:5] op_sel_hi:[1,0,1]
	v_pk_fma_f32 v[6:7], v[2:3], v[8:9], v[18:19] op_sel_hi:[1,0,1]
	;; [unrolled: 1-line block ×4, first 2 shown]
                                        ; implicit-def: $vgpr8
                                        ; implicit-def: $vgpr18
                                        ; implicit-def: $vgpr10
                                        ; implicit-def: $vgpr14
                                        ; implicit-def: $vgpr12
                                        ; implicit-def: $vgpr16
                                        ; implicit-def: $vgpr22_vgpr23
	s_clause 0x1
	global_store_b128 v[20:21], v[4:7], off
	global_store_b128 v[20:21], v[0:3], off offset:16
                                        ; implicit-def: $vgpr0
                                        ; implicit-def: $vgpr20
                                        ; implicit-def: $vgpr6
                                        ; implicit-def: $vgpr2_vgpr3
                                        ; implicit-def: $vgpr4_vgpr5
.LBB133_38:
	s_wait_xcnt 0x0
	s_and_not1_saveexec_b32 s2, s2
	s_cbranch_execz .LBB133_6
; %bb.39:
	s_wait_kmcnt 0x0
	v_add_nc_u64_e32 v[30:31], s[0:1], v[22:23]
	v_dual_mov_b32 v17, v2 :: v_dual_mov_b32 v33, v4
	v_xor_b32_e32 v32, 0x80000000, v5
	s_clause 0x1
	global_load_b128 v[22:25], v[30:31], off
	global_load_b128 v[26:29], v[30:31], off offset:16
	v_pk_mul_f32 v[20:21], v[20:21], v[16:17] op_sel_hi:[0,1]
	v_pk_mul_f32 v[18:19], v[18:19], v[16:17] op_sel_hi:[0,1]
	;; [unrolled: 1-line block ×4, first 2 shown]
	s_delay_alu instid0(VALU_DEP_4) | instskip(NEXT) | instid1(VALU_DEP_4)
	v_pk_fma_f32 v[0:1], v[2:3], v[0:1], v[20:21] op_sel_hi:[1,0,1]
	v_pk_fma_f32 v[8:9], v[2:3], v[8:9], v[18:19] op_sel_hi:[1,0,1]
	s_delay_alu instid0(VALU_DEP_4) | instskip(NEXT) | instid1(VALU_DEP_4)
	v_pk_fma_f32 v[10:11], v[2:3], v[10:11], v[14:15] op_sel_hi:[1,0,1]
	v_pk_fma_f32 v[2:3], v[2:3], v[12:13], v[6:7] op_sel_hi:[1,0,1]
	s_wait_loadcnt 0x1
	v_pk_fma_f32 v[0:1], v[4:5], v[22:23], v[0:1] op_sel_hi:[1,0,1]
	v_pk_fma_f32 v[6:7], v[4:5], v[24:25], v[8:9] op_sel_hi:[1,0,1]
	s_wait_loadcnt 0x0
	v_dual_mov_b32 v8, v25 :: v_dual_mov_b32 v14, v29
	v_pk_fma_f32 v[10:11], v[4:5], v[26:27], v[10:11] op_sel_hi:[1,0,1]
	v_pk_fma_f32 v[12:13], v[4:5], v[28:29], v[2:3] op_sel_hi:[1,0,1]
	v_pk_fma_f32 v[0:1], v[32:33], v[22:23], v[0:1] op_sel:[0,1,0]
	s_delay_alu instid0(VALU_DEP_4) | instskip(NEXT) | instid1(VALU_DEP_4)
	v_pk_fma_f32 v[2:3], v[32:33], v[8:9], v[6:7] op_sel_hi:[1,0,1]
	v_pk_fma_f32 v[4:5], v[32:33], v[26:27], v[10:11] op_sel:[0,1,0]
	s_delay_alu instid0(VALU_DEP_4)
	v_pk_fma_f32 v[6:7], v[32:33], v[14:15], v[12:13] op_sel_hi:[1,0,1]
	s_clause 0x1
	global_store_b128 v[30:31], v[0:3], off
	global_store_b128 v[30:31], v[4:7], off offset:16
	s_sendmsg sendmsg(MSG_DEALLOC_VGPRS)
	s_endpgm
	.section	.rodata,"a",@progbits
	.p2align	6, 0x0
	.amdhsa_kernel _ZN9rocsparseL18bsrxmvn_4x4_kernelILj128ELj32E21rocsparse_complex_numIfEllfS2_S2_EEvT3_20rocsparse_direction_NS_24const_host_device_scalarIT1_EES3_PKS3_PKT2_SC_S9_PKT4_PKT5_S7_PT6_21rocsparse_index_base_b
		.amdhsa_group_segment_fixed_size 0
		.amdhsa_private_segment_fixed_size 0
		.amdhsa_kernarg_size 104
		.amdhsa_user_sgpr_count 2
		.amdhsa_user_sgpr_dispatch_ptr 0
		.amdhsa_user_sgpr_queue_ptr 0
		.amdhsa_user_sgpr_kernarg_segment_ptr 1
		.amdhsa_user_sgpr_dispatch_id 0
		.amdhsa_user_sgpr_kernarg_preload_length 0
		.amdhsa_user_sgpr_kernarg_preload_offset 0
		.amdhsa_user_sgpr_private_segment_size 0
		.amdhsa_wavefront_size32 1
		.amdhsa_uses_dynamic_stack 0
		.amdhsa_enable_private_segment 0
		.amdhsa_system_sgpr_workgroup_id_x 1
		.amdhsa_system_sgpr_workgroup_id_y 0
		.amdhsa_system_sgpr_workgroup_id_z 0
		.amdhsa_system_sgpr_workgroup_info 0
		.amdhsa_system_vgpr_workitem_id 0
		.amdhsa_next_free_vgpr 126
		.amdhsa_next_free_sgpr 14
		.amdhsa_named_barrier_count 0
		.amdhsa_reserve_vcc 1
		.amdhsa_float_round_mode_32 0
		.amdhsa_float_round_mode_16_64 0
		.amdhsa_float_denorm_mode_32 3
		.amdhsa_float_denorm_mode_16_64 3
		.amdhsa_fp16_overflow 0
		.amdhsa_memory_ordered 1
		.amdhsa_forward_progress 1
		.amdhsa_inst_pref_size 66
		.amdhsa_round_robin_scheduling 0
		.amdhsa_exception_fp_ieee_invalid_op 0
		.amdhsa_exception_fp_denorm_src 0
		.amdhsa_exception_fp_ieee_div_zero 0
		.amdhsa_exception_fp_ieee_overflow 0
		.amdhsa_exception_fp_ieee_underflow 0
		.amdhsa_exception_fp_ieee_inexact 0
		.amdhsa_exception_int_div_zero 0
	.end_amdhsa_kernel
	.section	.text._ZN9rocsparseL18bsrxmvn_4x4_kernelILj128ELj32E21rocsparse_complex_numIfEllfS2_S2_EEvT3_20rocsparse_direction_NS_24const_host_device_scalarIT1_EES3_PKS3_PKT2_SC_S9_PKT4_PKT5_S7_PT6_21rocsparse_index_base_b,"axG",@progbits,_ZN9rocsparseL18bsrxmvn_4x4_kernelILj128ELj32E21rocsparse_complex_numIfEllfS2_S2_EEvT3_20rocsparse_direction_NS_24const_host_device_scalarIT1_EES3_PKS3_PKT2_SC_S9_PKT4_PKT5_S7_PT6_21rocsparse_index_base_b,comdat
.Lfunc_end133:
	.size	_ZN9rocsparseL18bsrxmvn_4x4_kernelILj128ELj32E21rocsparse_complex_numIfEllfS2_S2_EEvT3_20rocsparse_direction_NS_24const_host_device_scalarIT1_EES3_PKS3_PKT2_SC_S9_PKT4_PKT5_S7_PT6_21rocsparse_index_base_b, .Lfunc_end133-_ZN9rocsparseL18bsrxmvn_4x4_kernelILj128ELj32E21rocsparse_complex_numIfEllfS2_S2_EEvT3_20rocsparse_direction_NS_24const_host_device_scalarIT1_EES3_PKS3_PKT2_SC_S9_PKT4_PKT5_S7_PT6_21rocsparse_index_base_b
                                        ; -- End function
	.set _ZN9rocsparseL18bsrxmvn_4x4_kernelILj128ELj32E21rocsparse_complex_numIfEllfS2_S2_EEvT3_20rocsparse_direction_NS_24const_host_device_scalarIT1_EES3_PKS3_PKT2_SC_S9_PKT4_PKT5_S7_PT6_21rocsparse_index_base_b.num_vgpr, 126
	.set _ZN9rocsparseL18bsrxmvn_4x4_kernelILj128ELj32E21rocsparse_complex_numIfEllfS2_S2_EEvT3_20rocsparse_direction_NS_24const_host_device_scalarIT1_EES3_PKS3_PKT2_SC_S9_PKT4_PKT5_S7_PT6_21rocsparse_index_base_b.num_agpr, 0
	.set _ZN9rocsparseL18bsrxmvn_4x4_kernelILj128ELj32E21rocsparse_complex_numIfEllfS2_S2_EEvT3_20rocsparse_direction_NS_24const_host_device_scalarIT1_EES3_PKS3_PKT2_SC_S9_PKT4_PKT5_S7_PT6_21rocsparse_index_base_b.numbered_sgpr, 14
	.set _ZN9rocsparseL18bsrxmvn_4x4_kernelILj128ELj32E21rocsparse_complex_numIfEllfS2_S2_EEvT3_20rocsparse_direction_NS_24const_host_device_scalarIT1_EES3_PKS3_PKT2_SC_S9_PKT4_PKT5_S7_PT6_21rocsparse_index_base_b.num_named_barrier, 0
	.set _ZN9rocsparseL18bsrxmvn_4x4_kernelILj128ELj32E21rocsparse_complex_numIfEllfS2_S2_EEvT3_20rocsparse_direction_NS_24const_host_device_scalarIT1_EES3_PKS3_PKT2_SC_S9_PKT4_PKT5_S7_PT6_21rocsparse_index_base_b.private_seg_size, 0
	.set _ZN9rocsparseL18bsrxmvn_4x4_kernelILj128ELj32E21rocsparse_complex_numIfEllfS2_S2_EEvT3_20rocsparse_direction_NS_24const_host_device_scalarIT1_EES3_PKS3_PKT2_SC_S9_PKT4_PKT5_S7_PT6_21rocsparse_index_base_b.uses_vcc, 1
	.set _ZN9rocsparseL18bsrxmvn_4x4_kernelILj128ELj32E21rocsparse_complex_numIfEllfS2_S2_EEvT3_20rocsparse_direction_NS_24const_host_device_scalarIT1_EES3_PKS3_PKT2_SC_S9_PKT4_PKT5_S7_PT6_21rocsparse_index_base_b.uses_flat_scratch, 1
	.set _ZN9rocsparseL18bsrxmvn_4x4_kernelILj128ELj32E21rocsparse_complex_numIfEllfS2_S2_EEvT3_20rocsparse_direction_NS_24const_host_device_scalarIT1_EES3_PKS3_PKT2_SC_S9_PKT4_PKT5_S7_PT6_21rocsparse_index_base_b.has_dyn_sized_stack, 0
	.set _ZN9rocsparseL18bsrxmvn_4x4_kernelILj128ELj32E21rocsparse_complex_numIfEllfS2_S2_EEvT3_20rocsparse_direction_NS_24const_host_device_scalarIT1_EES3_PKS3_PKT2_SC_S9_PKT4_PKT5_S7_PT6_21rocsparse_index_base_b.has_recursion, 0
	.set _ZN9rocsparseL18bsrxmvn_4x4_kernelILj128ELj32E21rocsparse_complex_numIfEllfS2_S2_EEvT3_20rocsparse_direction_NS_24const_host_device_scalarIT1_EES3_PKS3_PKT2_SC_S9_PKT4_PKT5_S7_PT6_21rocsparse_index_base_b.has_indirect_call, 0
	.section	.AMDGPU.csdata,"",@progbits
; Kernel info:
; codeLenInByte = 8412
; TotalNumSgprs: 16
; NumVgprs: 126
; ScratchSize: 0
; MemoryBound: 0
; FloatMode: 240
; IeeeMode: 1
; LDSByteSize: 0 bytes/workgroup (compile time only)
; SGPRBlocks: 0
; VGPRBlocks: 7
; NumSGPRsForWavesPerEU: 16
; NumVGPRsForWavesPerEU: 126
; NamedBarCnt: 0
; Occupancy: 8
; WaveLimiterHint : 1
; COMPUTE_PGM_RSRC2:SCRATCH_EN: 0
; COMPUTE_PGM_RSRC2:USER_SGPR: 2
; COMPUTE_PGM_RSRC2:TRAP_HANDLER: 0
; COMPUTE_PGM_RSRC2:TGID_X_EN: 1
; COMPUTE_PGM_RSRC2:TGID_Y_EN: 0
; COMPUTE_PGM_RSRC2:TGID_Z_EN: 0
; COMPUTE_PGM_RSRC2:TIDIG_COMP_CNT: 0
	.section	.text._ZN9rocsparseL18bsrxmvn_4x4_kernelILj128ELj64E21rocsparse_complex_numIfEllfS2_S2_EEvT3_20rocsparse_direction_NS_24const_host_device_scalarIT1_EES3_PKS3_PKT2_SC_S9_PKT4_PKT5_S7_PT6_21rocsparse_index_base_b,"axG",@progbits,_ZN9rocsparseL18bsrxmvn_4x4_kernelILj128ELj64E21rocsparse_complex_numIfEllfS2_S2_EEvT3_20rocsparse_direction_NS_24const_host_device_scalarIT1_EES3_PKS3_PKT2_SC_S9_PKT4_PKT5_S7_PT6_21rocsparse_index_base_b,comdat
	.globl	_ZN9rocsparseL18bsrxmvn_4x4_kernelILj128ELj64E21rocsparse_complex_numIfEllfS2_S2_EEvT3_20rocsparse_direction_NS_24const_host_device_scalarIT1_EES3_PKS3_PKT2_SC_S9_PKT4_PKT5_S7_PT6_21rocsparse_index_base_b ; -- Begin function _ZN9rocsparseL18bsrxmvn_4x4_kernelILj128ELj64E21rocsparse_complex_numIfEllfS2_S2_EEvT3_20rocsparse_direction_NS_24const_host_device_scalarIT1_EES3_PKS3_PKT2_SC_S9_PKT4_PKT5_S7_PT6_21rocsparse_index_base_b
	.p2align	8
	.type	_ZN9rocsparseL18bsrxmvn_4x4_kernelILj128ELj64E21rocsparse_complex_numIfEllfS2_S2_EEvT3_20rocsparse_direction_NS_24const_host_device_scalarIT1_EES3_PKS3_PKT2_SC_S9_PKT4_PKT5_S7_PT6_21rocsparse_index_base_b,@function
_ZN9rocsparseL18bsrxmvn_4x4_kernelILj128ELj64E21rocsparse_complex_numIfEllfS2_S2_EEvT3_20rocsparse_direction_NS_24const_host_device_scalarIT1_EES3_PKS3_PKT2_SC_S9_PKT4_PKT5_S7_PT6_21rocsparse_index_base_b: ; @_ZN9rocsparseL18bsrxmvn_4x4_kernelILj128ELj64E21rocsparse_complex_numIfEllfS2_S2_EEvT3_20rocsparse_direction_NS_24const_host_device_scalarIT1_EES3_PKS3_PKT2_SC_S9_PKT4_PKT5_S7_PT6_21rocsparse_index_base_b
; %bb.0:
	s_clause 0x2
	s_load_b64 s[8:9], s[0:1], 0x60
	s_load_b128 s[4:7], s[0:1], 0x10
	s_load_b64 s[2:3], s[0:1], 0x50
	v_mov_b32_e32 v11, 0
	s_add_nc_u64 s[10:11], s[0:1], 16
	s_add_nc_u64 s[12:13], s[0:1], 0x50
	s_wait_kmcnt 0x0
	s_bitcmp1_b32 s9, 0
	s_cselect_b32 s5, s11, s5
	s_cselect_b32 s4, s10, s4
	;; [unrolled: 1-line block ×4, first 2 shown]
	s_clause 0x1
	flat_load_b64 v[2:3], v11, s[4:5]
	flat_load_b64 v[4:5], v11, s[2:3]
	s_wait_loadcnt_dscnt 0x101
	v_cmp_neq_f32_e32 vcc_lo, 0, v2
	s_wait_xcnt 0x0
	v_cmp_neq_f32_e64 s3, 0, v3
	s_wait_loadcnt_dscnt 0x0
	v_cmp_neq_f32_e64 s4, 1.0, v4
	v_cmp_neq_f32_e64 s2, 0, v5
	s_or_b32 s5, vcc_lo, s3
	s_mov_b32 s3, 0
	s_or_b32 s4, s4, s2
	s_delay_alu instid0(SALU_CYCLE_1) | instskip(NEXT) | instid1(SALU_CYCLE_1)
	s_or_b32 s4, s5, s4
	s_and_saveexec_b32 s5, s4
	s_cbranch_execz .LBB134_6
; %bb.1:
	s_load_b64 s[4:5], s[0:1], 0x20
	s_bfe_u32 s9, ttmp6, 0x4000c
	s_and_b32 s10, ttmp6, 15
	s_add_co_i32 s9, s9, 1
	s_getreg_b32 s11, hwreg(HW_REG_IB_STS2, 6, 4)
	s_mul_i32 s9, ttmp9, s9
	v_lshrrev_b32_e32 v1, 6, v0
	s_add_co_i32 s10, s10, s9
	s_cmp_eq_u32 s11, 0
	s_cselect_b32 s9, ttmp9, s10
	s_delay_alu instid0(VALU_DEP_1) | instid1(SALU_CYCLE_1)
	v_lshl_or_b32 v10, s9, 1, v1
	s_wait_kmcnt 0x0
	s_cmp_lg_u64 s[4:5], 0
	s_cbranch_scc0 .LBB134_7
; %bb.2:
	s_delay_alu instid0(VALU_DEP_1) | instskip(SKIP_2) | instid1(SALU_CYCLE_1)
	v_cmp_gt_i64_e32 vcc_lo, s[6:7], v[10:11]
	s_mov_b32 s6, 0
                                        ; implicit-def: $vgpr6_vgpr7
                                        ; implicit-def: $vgpr8_vgpr9
	s_and_saveexec_b32 s7, vcc_lo
	s_xor_b32 s7, exec_lo, s7
	s_cbranch_execz .LBB134_4
; %bb.3:
	v_lshl_add_u64 v[6:7], v[10:11], 3, s[4:5]
	s_mov_b32 s9, 0
	s_mov_b32 s3, exec_lo
	v_mov_b64_e32 v[8:9], s[8:9]
	global_load_b64 v[6:7], v[6:7], off
	s_wait_loadcnt 0x0
	v_sub_nc_u64_e64 v[6:7], v[6:7], s[8:9]
.LBB134_4:
	s_or_b32 exec_lo, exec_lo, s7
	s_delay_alu instid0(SALU_CYCLE_1)
	s_and_b32 vcc_lo, exec_lo, s6
	s_cbranch_vccnz .LBB134_8
.LBB134_5:
	s_and_b32 exec_lo, exec_lo, s3
	s_cbranch_execnz .LBB134_11
.LBB134_6:
	s_sendmsg sendmsg(MSG_DEALLOC_VGPRS)
	s_endpgm
.LBB134_7:
                                        ; implicit-def: $vgpr6_vgpr7
                                        ; implicit-def: $vgpr8_vgpr9
	s_cbranch_execz .LBB134_5
.LBB134_8:
	s_load_b64 s[4:5], s[0:1], 0x0
	s_wait_kmcnt 0x0
	v_cmp_gt_i64_e32 vcc_lo, s[4:5], v[10:11]
	s_and_saveexec_b32 s4, vcc_lo
; %bb.9:
	s_mov_b32 s9, 0
	s_or_b32 s3, s3, exec_lo
; %bb.10:
	s_or_b32 exec_lo, exec_lo, s4
	v_mov_b64_e32 v[8:9], s[8:9]
	v_mov_b64_e32 v[6:7], v[10:11]
	s_and_b32 exec_lo, exec_lo, s3
	s_cbranch_execz .LBB134_6
.LBB134_11:
	s_load_b256 s[4:11], s[0:1], 0x28
	s_delay_alu instid0(VALU_DEP_1) | instskip(SKIP_2) | instid1(VALU_DEP_2)
	v_lshlrev_b64_e32 v[10:11], 3, v[6:7]
	v_dual_mov_b32 v1, 0 :: v_dual_bitop2_b32 v0, 63, v0 bitop3:0x40
	s_wait_kmcnt 0x0
	v_add_nc_u64_e32 v[12:13], s[4:5], v[10:11]
	v_add_nc_u64_e32 v[10:11], s[6:7], v[10:11]
	s_cmp_eq_u64 s[6:7], 0
	s_clause 0x1
	s_load_b32 s6, s[0:1], 0x8
	s_load_b64 s[4:5], s[0:1], 0x48
	s_cselect_b32 vcc_lo, -1, 0
	global_load_b64 v[24:25], v[12:13], off
	s_wait_xcnt 0x0
	v_add_nc_u64_e32 v[12:13], 8, v[12:13]
	s_delay_alu instid0(VALU_DEP_1)
	v_dual_cndmask_b32 v11, v11, v13 :: v_dual_cndmask_b32 v10, v10, v12
	global_load_b64 v[12:13], v[10:11], off
	s_wait_kmcnt 0x0
	s_cmp_eq_u32 s6, 1
	s_wait_loadcnt 0x1
	s_wait_xcnt 0x0
	v_sub_nc_u64_e32 v[10:11], v[24:25], v[8:9]
	s_delay_alu instid0(VALU_DEP_1) | instskip(SKIP_2) | instid1(VALU_DEP_2)
	v_add_nc_u64_e32 v[10:11], v[10:11], v[0:1]
	s_wait_loadcnt 0x0
	v_sub_nc_u64_e32 v[12:13], v[12:13], v[8:9]
	v_lshlrev_b64_e32 v[14:15], 6, v[10:11]
	s_delay_alu instid0(VALU_DEP_2) | instskip(NEXT) | instid1(VALU_DEP_2)
	v_cmp_lt_i64_e64 s3, v[10:11], v[12:13]
	v_add_nc_u64_e32 v[14:15], s[10:11], v[14:15]
	s_cbranch_scc1 .LBB134_23
; %bb.12:
	v_dual_mov_b32 v17, v1 :: v_dual_mov_b32 v16, v1
	v_dual_mov_b32 v21, v1 :: v_dual_mov_b32 v20, v1
	;; [unrolled: 1-line block ×4, first 2 shown]
	s_and_saveexec_b32 s6, s3
	s_cbranch_execz .LBB134_22
; %bb.13:
	v_dual_mov_b32 v17, v1 :: v_dual_bitop2_b32 v16, 64, v0 bitop3:0x54
	v_sub_nc_u64_e32 v[18:19], v[8:9], v[0:1]
	v_not_b32_e32 v21, v25
	v_not_b32_e32 v20, v24
	v_mov_b32_e32 v23, 0
	v_sub_nc_u64_e32 v[16:17], v[16:17], v[8:9]
	v_mov_b64_e32 v[26:27], v[14:15]
	v_mov_b64_e32 v[28:29], v[10:11]
	v_add_nc_u64_e32 v[18:19], v[18:19], v[20:21]
	v_dual_mov_b32 v20, v23 :: v_dual_mov_b32 v21, v23
	v_add_nc_u64_e32 v[16:17], v[16:17], v[24:25]
	s_delay_alu instid0(VALU_DEP_1) | instskip(NEXT) | instid1(VALU_DEP_1)
	v_max_i64 v[16:17], v[16:17], v[12:13]
	v_add_nc_u64_e32 v[30:31], v[18:19], v[16:17]
	v_dual_mov_b32 v18, v23 :: v_dual_mov_b32 v19, v23
	v_dual_mov_b32 v16, v23 :: v_dual_mov_b32 v17, v23
	s_delay_alu instid0(VALU_DEP_3) | instskip(NEXT) | instid1(VALU_DEP_1)
	v_and_b32_e32 v22, 0xc0, v30
	v_cmp_ne_u64_e32 vcc_lo, 0xc0, v[22:23]
	v_mov_b32_e32 v22, v23
	s_and_saveexec_b32 s7, vcc_lo
	s_cbranch_execz .LBB134_17
; %bb.14:
	v_dual_mov_b32 v33, 0 :: v_dual_lshrrev_b32 v16, 6, v30
	v_mov_b64_e32 v[28:29], v[10:11]
	v_mov_b64_e32 v[26:27], v[14:15]
	v_lshl_add_u64 v[34:35], v[10:11], 3, s[8:9]
	s_delay_alu instid0(VALU_DEP_4) | instskip(SKIP_2) | instid1(VALU_DEP_3)
	v_dual_add_nc_u32 v16, 1, v16 :: v_dual_mov_b32 v22, v33
	v_bfrev_b32_e32 v36, 1
	v_dual_mov_b32 v18, v33 :: v_dual_mov_b32 v19, v33
	v_dual_mov_b32 v23, v33 :: v_dual_bitop2_b32 v32, 3, v16 bitop3:0x40
	v_dual_mov_b32 v20, v33 :: v_dual_mov_b32 v21, v33
	v_dual_mov_b32 v16, v33 :: v_dual_mov_b32 v17, v33
	s_delay_alu instid0(VALU_DEP_3)
	v_sub_nc_u64_e32 v[38:39], 0, v[32:33]
	s_mov_b32 s10, 0
.LBB134_15:                             ; =>This Inner Loop Header: Depth=1
	global_load_b64 v[48:49], v[34:35], off
	s_clause 0x1
	global_load_b128 v[40:43], v[26:27], off offset:16
	global_load_b128 v[44:47], v[26:27], off
	v_add_nc_u64_e32 v[38:39], 1, v[38:39]
	v_add_nc_u64_e32 v[28:29], 64, v[28:29]
	s_wait_xcnt 0x2
	v_add_nc_u64_e32 v[34:35], 0x200, v[34:35]
	s_delay_alu instid0(VALU_DEP_3)
	v_cmp_eq_u64_e32 vcc_lo, 0, v[38:39]
	s_or_b32 s10, vcc_lo, s10
	s_wait_loadcnt 0x2
	v_sub_nc_u64_e32 v[48:49], v[48:49], v[8:9]
	s_wait_loadcnt 0x0
	v_dual_mov_b32 v32, v44 :: v_dual_mov_b32 v37, v44
	s_delay_alu instid0(VALU_DEP_2) | instskip(NEXT) | instid1(VALU_DEP_1)
	v_lshlrev_b64_e32 v[48:49], 5, v[48:49]
	v_add_nc_u64_e32 v[64:65], s[4:5], v[48:49]
	s_clause 0x1
	global_load_b128 v[48:51], v[64:65], off
	global_load_b128 v[52:55], v[64:65], off offset:16
	s_clause 0x1
	global_load_b128 v[56:59], v[26:27], off offset:32
	global_load_b128 v[60:63], v[26:27], off offset:48
	s_wait_xcnt 0x0
	v_add_nc_u64_e32 v[26:27], 0x1000, v[26:27]
	s_wait_loadcnt 0x3
	v_pk_fma_f32 v[16:17], v[48:49], v[32:33], v[16:17] op_sel_hi:[0,1,1]
	v_dual_mov_b32 v32, v45 :: v_dual_mov_b32 v44, v51
	s_wait_loadcnt 0x2
	v_mov_b32_e32 v64, v55
	s_delay_alu instid0(VALU_DEP_3) | instskip(SKIP_1) | instid1(VALU_DEP_2)
	v_pk_fma_f32 v[16:17], v[48:49], v[36:37], v[16:17] op_sel:[1,0,0]
	v_mov_b32_e32 v37, v45
	v_pk_fma_f32 v[16:17], v[50:51], v[32:33], v[16:17] op_sel_hi:[0,1,1]
	v_mov_b32_e32 v32, v46
	s_delay_alu instid0(VALU_DEP_2) | instskip(SKIP_1) | instid1(VALU_DEP_2)
	v_pk_fma_f32 v[16:17], v[44:45], v[36:37], v[16:17] op_sel_hi:[0,1,1]
	v_mov_b32_e32 v37, v46
	v_pk_fma_f32 v[16:17], v[52:53], v[32:33], v[16:17] op_sel_hi:[0,1,1]
	v_mov_b32_e32 v32, v47
	s_delay_alu instid0(VALU_DEP_2) | instskip(SKIP_1) | instid1(VALU_DEP_2)
	v_pk_fma_f32 v[16:17], v[52:53], v[36:37], v[16:17] op_sel:[1,0,0]
	v_mov_b32_e32 v37, v47
	v_pk_fma_f32 v[16:17], v[54:55], v[32:33], v[16:17] op_sel_hi:[0,1,1]
	v_mov_b32_e32 v32, v40
	s_delay_alu instid0(VALU_DEP_2) | instskip(SKIP_1) | instid1(VALU_DEP_3)
	v_pk_fma_f32 v[16:17], v[64:65], v[36:37], v[16:17] op_sel_hi:[0,1,1]
	v_mov_b32_e32 v37, v40
	v_pk_fma_f32 v[20:21], v[48:49], v[32:33], v[20:21] op_sel_hi:[0,1,1]
	v_mov_b32_e32 v32, v41
	s_delay_alu instid0(VALU_DEP_2) | instskip(SKIP_1) | instid1(VALU_DEP_2)
	v_pk_fma_f32 v[20:21], v[48:49], v[36:37], v[20:21] op_sel:[1,0,0]
	v_mov_b32_e32 v37, v41
	v_pk_fma_f32 v[20:21], v[50:51], v[32:33], v[20:21] op_sel_hi:[0,1,1]
	v_mov_b32_e32 v32, v42
	s_delay_alu instid0(VALU_DEP_2) | instskip(SKIP_1) | instid1(VALU_DEP_2)
	v_pk_fma_f32 v[20:21], v[44:45], v[36:37], v[20:21] op_sel_hi:[0,1,1]
	v_mov_b32_e32 v37, v42
	v_pk_fma_f32 v[20:21], v[52:53], v[32:33], v[20:21] op_sel_hi:[0,1,1]
	v_mov_b32_e32 v32, v43
	s_delay_alu instid0(VALU_DEP_2) | instskip(SKIP_1) | instid1(VALU_DEP_2)
	v_pk_fma_f32 v[20:21], v[52:53], v[36:37], v[20:21] op_sel:[1,0,0]
	v_mov_b32_e32 v37, v43
	v_pk_fma_f32 v[20:21], v[54:55], v[32:33], v[20:21] op_sel_hi:[0,1,1]
	s_wait_loadcnt 0x1
	v_mov_b32_e32 v32, v56
	s_delay_alu instid0(VALU_DEP_2) | instskip(SKIP_1) | instid1(VALU_DEP_3)
	v_pk_fma_f32 v[20:21], v[64:65], v[36:37], v[20:21] op_sel_hi:[0,1,1]
	v_mov_b32_e32 v37, v56
	v_pk_fma_f32 v[18:19], v[48:49], v[32:33], v[18:19] op_sel_hi:[0,1,1]
	v_mov_b32_e32 v32, v57
	s_delay_alu instid0(VALU_DEP_2) | instskip(SKIP_1) | instid1(VALU_DEP_2)
	v_pk_fma_f32 v[18:19], v[48:49], v[36:37], v[18:19] op_sel:[1,0,0]
	v_mov_b32_e32 v37, v57
	v_pk_fma_f32 v[18:19], v[50:51], v[32:33], v[18:19] op_sel_hi:[0,1,1]
	v_mov_b32_e32 v32, v58
	s_delay_alu instid0(VALU_DEP_2) | instskip(SKIP_1) | instid1(VALU_DEP_2)
	v_pk_fma_f32 v[18:19], v[44:45], v[36:37], v[18:19] op_sel_hi:[0,1,1]
	v_mov_b32_e32 v37, v58
	v_pk_fma_f32 v[18:19], v[52:53], v[32:33], v[18:19] op_sel_hi:[0,1,1]
	v_mov_b32_e32 v32, v59
	s_delay_alu instid0(VALU_DEP_2) | instskip(SKIP_1) | instid1(VALU_DEP_2)
	v_pk_fma_f32 v[18:19], v[52:53], v[36:37], v[18:19] op_sel:[1,0,0]
	v_mov_b32_e32 v37, v59
	v_pk_fma_f32 v[18:19], v[54:55], v[32:33], v[18:19] op_sel_hi:[0,1,1]
	s_wait_loadcnt 0x0
	v_mov_b32_e32 v32, v60
	s_delay_alu instid0(VALU_DEP_2) | instskip(SKIP_1) | instid1(VALU_DEP_3)
	v_pk_fma_f32 v[18:19], v[64:65], v[36:37], v[18:19] op_sel_hi:[0,1,1]
	v_mov_b32_e32 v37, v60
	v_pk_fma_f32 v[22:23], v[48:49], v[32:33], v[22:23] op_sel_hi:[0,1,1]
	v_mov_b32_e32 v32, v61
	s_delay_alu instid0(VALU_DEP_2) | instskip(SKIP_1) | instid1(VALU_DEP_2)
	v_pk_fma_f32 v[22:23], v[48:49], v[36:37], v[22:23] op_sel:[1,0,0]
	v_mov_b32_e32 v37, v61
	v_pk_fma_f32 v[22:23], v[50:51], v[32:33], v[22:23] op_sel_hi:[0,1,1]
	v_mov_b32_e32 v32, v62
	s_delay_alu instid0(VALU_DEP_2) | instskip(SKIP_1) | instid1(VALU_DEP_2)
	v_pk_fma_f32 v[22:23], v[44:45], v[36:37], v[22:23] op_sel_hi:[0,1,1]
	v_mov_b32_e32 v37, v62
	v_pk_fma_f32 v[22:23], v[52:53], v[32:33], v[22:23] op_sel_hi:[0,1,1]
	v_mov_b32_e32 v32, v63
	s_delay_alu instid0(VALU_DEP_2) | instskip(SKIP_1) | instid1(VALU_DEP_2)
	v_pk_fma_f32 v[22:23], v[52:53], v[36:37], v[22:23] op_sel:[1,0,0]
	v_mov_b32_e32 v37, v63
	v_pk_fma_f32 v[22:23], v[54:55], v[32:33], v[22:23] op_sel_hi:[0,1,1]
	s_delay_alu instid0(VALU_DEP_1)
	v_pk_fma_f32 v[22:23], v[64:65], v[36:37], v[22:23] op_sel_hi:[0,1,1]
	s_and_not1_b32 exec_lo, exec_lo, s10
	s_cbranch_execnz .LBB134_15
; %bb.16:
	s_or_b32 exec_lo, exec_lo, s10
.LBB134_17:
	s_delay_alu instid0(SALU_CYCLE_1) | instskip(NEXT) | instid1(SALU_CYCLE_1)
	s_or_b32 exec_lo, exec_lo, s7
	s_mov_b32 s7, exec_lo
	v_cmpx_lt_u64_e32 0xbf, v[30:31]
	s_cbranch_execz .LBB134_21
; %bb.18:
	v_lshl_add_u64 v[30:31], v[28:29], 3, s[8:9]
	v_mov_b32_e32 v33, 0
	v_bfrev_b32_e32 v34, 1
	s_mov_b32 s10, 0
	s_delay_alu instid0(VALU_DEP_3)
	v_add_nc_u64_e32 v[30:31], 0x400, v[30:31]
.LBB134_19:                             ; =>This Inner Loop Header: Depth=1
	s_clause 0x3
	global_load_b64 v[52:53], v[30:31], off offset:-1024
	global_load_b64 v[54:55], v[30:31], off offset:-512
	global_load_b64 v[92:93], v[30:31], off
	global_load_b64 v[94:95], v[30:31], off offset:512
	s_clause 0x3
	global_load_b128 v[36:39], v[26:27], off offset:4112
	global_load_b128 v[40:43], v[26:27], off offset:4096
	global_load_b128 v[44:47], v[26:27], off
	global_load_b128 v[48:51], v[26:27], off offset:16
	v_add_nc_u64_e32 v[28:29], 0x100, v[28:29]
	s_wait_xcnt 0x4
	v_add_nc_u64_e32 v[30:31], 0x800, v[30:31]
	s_delay_alu instid0(VALU_DEP_2)
	v_cmp_ge_i64_e32 vcc_lo, v[28:29], v[12:13]
	s_or_b32 s10, vcc_lo, s10
	s_wait_loadcnt 0x7
	v_sub_nc_u64_e32 v[52:53], v[52:53], v[8:9]
	s_wait_loadcnt 0x6
	v_sub_nc_u64_e32 v[54:55], v[54:55], v[8:9]
	;; [unrolled: 2-line block ×4, first 2 shown]
	s_wait_loadcnt 0x1
	v_dual_mov_b32 v32, v44 :: v_dual_mov_b32 v35, v44
	v_lshlrev_b64_e32 v[52:53], 5, v[52:53]
	v_lshlrev_b64_e32 v[54:55], 5, v[54:55]
	v_lshlrev_b64_e32 v[92:93], 5, v[92:93]
	v_lshlrev_b64_e32 v[94:95], 5, v[94:95]
	s_delay_alu instid0(VALU_DEP_4) | instskip(NEXT) | instid1(VALU_DEP_4)
	v_add_nc_u64_e32 v[96:97], s[4:5], v[52:53]
	v_add_nc_u64_e32 v[120:121], s[4:5], v[54:55]
	s_delay_alu instid0(VALU_DEP_4) | instskip(NEXT) | instid1(VALU_DEP_4)
	v_add_nc_u64_e32 v[122:123], s[4:5], v[92:93]
	v_add_nc_u64_e32 v[124:125], s[4:5], v[94:95]
	s_clause 0x2
	global_load_b128 v[52:55], v[96:97], off
	global_load_b128 v[56:59], v[96:97], off offset:16
	global_load_b128 v[60:63], v[120:121], off
	s_clause 0x6
	global_load_b128 v[64:67], v[26:27], off offset:32
	global_load_b128 v[68:71], v[26:27], off offset:48
	;; [unrolled: 1-line block ×7, first 2 shown]
	s_clause 0x4
	global_load_b128 v[92:95], v[120:121], off offset:16
	global_load_b128 v[96:99], v[122:123], off
	global_load_b128 v[100:103], v[122:123], off offset:16
	global_load_b128 v[104:107], v[124:125], off
	global_load_b128 v[108:111], v[124:125], off offset:16
	s_clause 0x1
	global_load_b128 v[112:115], v[26:27], off offset:12304
	global_load_b128 v[116:119], v[26:27], off offset:8224
	s_wait_loadcnt 0x10
	v_pk_fma_f32 v[16:17], v[52:53], v[32:33], v[16:17] op_sel_hi:[0,1,1]
	s_wait_xcnt 0x6
	v_dual_mov_b32 v32, v45 :: v_dual_mov_b32 v120, v55
	s_wait_loadcnt 0xf
	s_wait_xcnt 0x4
	v_mov_b32_e32 v122, v59
	v_pk_fma_f32 v[16:17], v[52:53], v[34:35], v[16:17] op_sel:[1,0,0]
	v_mov_b32_e32 v35, v45
	s_delay_alu instid0(VALU_DEP_2) | instskip(SKIP_1) | instid1(VALU_DEP_2)
	v_pk_fma_f32 v[16:17], v[54:55], v[32:33], v[16:17] op_sel_hi:[0,1,1]
	v_mov_b32_e32 v32, v46
	v_pk_fma_f32 v[16:17], v[120:121], v[34:35], v[16:17] op_sel_hi:[0,1,1]
	v_mov_b32_e32 v35, v46
	s_delay_alu instid0(VALU_DEP_2) | instskip(SKIP_1) | instid1(VALU_DEP_2)
	v_pk_fma_f32 v[16:17], v[56:57], v[32:33], v[16:17] op_sel_hi:[0,1,1]
	v_mov_b32_e32 v32, v47
	v_pk_fma_f32 v[16:17], v[56:57], v[34:35], v[16:17] op_sel:[1,0,0]
	v_mov_b32_e32 v35, v47
	global_load_b128 v[44:47], v[26:27], off offset:12320
	v_pk_fma_f32 v[16:17], v[58:59], v[32:33], v[16:17] op_sel_hi:[0,1,1]
	v_mov_b32_e32 v32, v40
	s_delay_alu instid0(VALU_DEP_2) | instskip(SKIP_2) | instid1(VALU_DEP_2)
	v_pk_fma_f32 v[16:17], v[122:123], v[34:35], v[16:17] op_sel_hi:[0,1,1]
	s_wait_loadcnt 0x7
	v_dual_mov_b32 v35, v40 :: v_dual_mov_b32 v40, v95
	v_pk_fma_f32 v[16:17], v[60:61], v[32:33], v[16:17] op_sel_hi:[0,1,1]
	v_mov_b32_e32 v32, v48
	s_delay_alu instid0(VALU_DEP_2) | instskip(SKIP_1) | instid1(VALU_DEP_3)
	v_pk_fma_f32 v[16:17], v[60:61], v[34:35], v[16:17] op_sel:[1,0,0]
	v_mov_b32_e32 v35, v48
	v_pk_fma_f32 v[20:21], v[52:53], v[32:33], v[20:21] op_sel_hi:[0,1,1]
	v_mov_b32_e32 v32, v49
	s_delay_alu instid0(VALU_DEP_2) | instskip(SKIP_1) | instid1(VALU_DEP_2)
	v_pk_fma_f32 v[20:21], v[52:53], v[34:35], v[20:21] op_sel:[1,0,0]
	v_mov_b32_e32 v35, v49
	v_pk_fma_f32 v[20:21], v[54:55], v[32:33], v[20:21] op_sel_hi:[0,1,1]
	v_mov_b32_e32 v32, v50
	s_delay_alu instid0(VALU_DEP_2) | instskip(SKIP_1) | instid1(VALU_DEP_2)
	v_pk_fma_f32 v[20:21], v[120:121], v[34:35], v[20:21] op_sel_hi:[0,1,1]
	v_mov_b32_e32 v35, v50
	v_pk_fma_f32 v[20:21], v[56:57], v[32:33], v[20:21] op_sel_hi:[0,1,1]
	v_mov_b32_e32 v32, v51
	s_delay_alu instid0(VALU_DEP_2) | instskip(SKIP_4) | instid1(VALU_DEP_2)
	v_pk_fma_f32 v[20:21], v[56:57], v[34:35], v[20:21] op_sel:[1,0,0]
	v_mov_b32_e32 v35, v51
	global_load_b128 v[48:51], v[26:27], off offset:8240
	v_pk_fma_f32 v[20:21], v[58:59], v[32:33], v[20:21] op_sel_hi:[0,1,1]
	v_mov_b32_e32 v32, v36
	v_pk_fma_f32 v[20:21], v[122:123], v[34:35], v[20:21] op_sel_hi:[0,1,1]
	v_dual_mov_b32 v35, v36 :: v_dual_mov_b32 v36, v63
	s_delay_alu instid0(VALU_DEP_2) | instskip(SKIP_1) | instid1(VALU_DEP_2)
	v_pk_fma_f32 v[20:21], v[60:61], v[32:33], v[20:21] op_sel_hi:[0,1,1]
	v_mov_b32_e32 v32, v64
	v_pk_fma_f32 v[20:21], v[60:61], v[34:35], v[20:21] op_sel:[1,0,0]
	v_mov_b32_e32 v35, v64
	s_delay_alu instid0(VALU_DEP_3) | instskip(SKIP_2) | instid1(VALU_DEP_2)
	v_pk_fma_f32 v[18:19], v[52:53], v[32:33], v[18:19] op_sel_hi:[0,1,1]
	s_wait_loadcnt 0x6
	v_dual_mov_b32 v32, v65 :: v_dual_mov_b32 v64, v103
	v_pk_fma_f32 v[18:19], v[52:53], v[34:35], v[18:19] op_sel:[1,0,0]
	v_mov_b32_e32 v35, v65
	s_delay_alu instid0(VALU_DEP_2) | instskip(SKIP_1) | instid1(VALU_DEP_2)
	v_pk_fma_f32 v[18:19], v[54:55], v[32:33], v[18:19] op_sel_hi:[0,1,1]
	v_mov_b32_e32 v32, v66
	v_pk_fma_f32 v[18:19], v[120:121], v[34:35], v[18:19] op_sel_hi:[0,1,1]
	s_wait_loadcnt 0x4
	v_dual_mov_b32 v35, v66 :: v_dual_mov_b32 v66, v111
	s_delay_alu instid0(VALU_DEP_2) | instskip(SKIP_1) | instid1(VALU_DEP_2)
	v_pk_fma_f32 v[18:19], v[56:57], v[32:33], v[18:19] op_sel_hi:[0,1,1]
	v_mov_b32_e32 v32, v67
	v_pk_fma_f32 v[18:19], v[56:57], v[34:35], v[18:19] op_sel:[1,0,0]
	v_mov_b32_e32 v35, v67
	s_delay_alu instid0(VALU_DEP_2) | instskip(SKIP_1) | instid1(VALU_DEP_2)
	v_pk_fma_f32 v[18:19], v[58:59], v[32:33], v[18:19] op_sel_hi:[0,1,1]
	v_mov_b32_e32 v32, v72
	v_pk_fma_f32 v[18:19], v[122:123], v[34:35], v[18:19] op_sel_hi:[0,1,1]
	v_mov_b32_e32 v35, v72
	s_delay_alu instid0(VALU_DEP_2) | instskip(SKIP_1) | instid1(VALU_DEP_2)
	v_pk_fma_f32 v[18:19], v[60:61], v[32:33], v[18:19] op_sel_hi:[0,1,1]
	v_mov_b32_e32 v32, v68
	v_pk_fma_f32 v[18:19], v[60:61], v[34:35], v[18:19] op_sel:[1,0,0]
	v_mov_b32_e32 v35, v68
	s_delay_alu instid0(VALU_DEP_3) | instskip(SKIP_1) | instid1(VALU_DEP_2)
	v_pk_fma_f32 v[22:23], v[52:53], v[32:33], v[22:23] op_sel_hi:[0,1,1]
	v_mov_b32_e32 v32, v69
	v_pk_fma_f32 v[22:23], v[52:53], v[34:35], v[22:23] op_sel:[1,0,0]
	v_mov_b32_e32 v35, v69
	s_delay_alu instid0(VALU_DEP_2)
	v_pk_fma_f32 v[22:23], v[54:55], v[32:33], v[22:23] op_sel_hi:[0,1,1]
	v_mov_b32_e32 v32, v70
	global_load_b128 v[52:55], v[26:27], off offset:12336
	s_wait_xcnt 0x0
	v_add_nc_u64_e32 v[26:27], 0x4000, v[26:27]
	v_pk_fma_f32 v[22:23], v[120:121], v[34:35], v[22:23] op_sel_hi:[0,1,1]
	v_mov_b32_e32 v35, v70
	s_delay_alu instid0(VALU_DEP_2) | instskip(SKIP_1) | instid1(VALU_DEP_2)
	v_pk_fma_f32 v[22:23], v[56:57], v[32:33], v[22:23] op_sel_hi:[0,1,1]
	v_mov_b32_e32 v32, v71
	v_pk_fma_f32 v[22:23], v[56:57], v[34:35], v[22:23] op_sel:[1,0,0]
	v_dual_mov_b32 v35, v71 :: v_dual_mov_b32 v56, v99
	s_delay_alu instid0(VALU_DEP_2) | instskip(SKIP_1) | instid1(VALU_DEP_2)
	v_pk_fma_f32 v[22:23], v[58:59], v[32:33], v[22:23] op_sel_hi:[0,1,1]
	v_dual_mov_b32 v32, v76 :: v_dual_mov_b32 v58, v107
	v_pk_fma_f32 v[22:23], v[122:123], v[34:35], v[22:23] op_sel_hi:[0,1,1]
	v_mov_b32_e32 v35, v76
	s_delay_alu instid0(VALU_DEP_2) | instskip(SKIP_1) | instid1(VALU_DEP_2)
	v_pk_fma_f32 v[22:23], v[60:61], v[32:33], v[22:23] op_sel_hi:[0,1,1]
	v_mov_b32_e32 v32, v41
	v_pk_fma_f32 v[22:23], v[60:61], v[34:35], v[22:23] op_sel:[1,0,0]
	v_mov_b32_e32 v35, v41
	s_delay_alu instid0(VALU_DEP_3) | instskip(SKIP_1) | instid1(VALU_DEP_2)
	v_pk_fma_f32 v[16:17], v[62:63], v[32:33], v[16:17] op_sel_hi:[0,1,1]
	v_mov_b32_e32 v32, v42
	v_pk_fma_f32 v[16:17], v[36:37], v[34:35], v[16:17] op_sel_hi:[0,1,1]
	v_mov_b32_e32 v35, v42
	s_delay_alu instid0(VALU_DEP_2) | instskip(SKIP_1) | instid1(VALU_DEP_2)
	v_pk_fma_f32 v[16:17], v[92:93], v[32:33], v[16:17] op_sel_hi:[0,1,1]
	v_mov_b32_e32 v32, v43
	v_pk_fma_f32 v[16:17], v[92:93], v[34:35], v[16:17] op_sel:[1,0,0]
	v_mov_b32_e32 v35, v43
	s_delay_alu instid0(VALU_DEP_2) | instskip(SKIP_1) | instid1(VALU_DEP_2)
	v_pk_fma_f32 v[16:17], v[94:95], v[32:33], v[16:17] op_sel_hi:[0,1,1]
	v_mov_b32_e32 v32, v84
	v_pk_fma_f32 v[16:17], v[40:41], v[34:35], v[16:17] op_sel_hi:[0,1,1]
	v_mov_b32_e32 v35, v84
	s_delay_alu instid0(VALU_DEP_2) | instskip(SKIP_1) | instid1(VALU_DEP_2)
	v_pk_fma_f32 v[16:17], v[96:97], v[32:33], v[16:17] op_sel_hi:[0,1,1]
	v_mov_b32_e32 v32, v85
	v_pk_fma_f32 v[16:17], v[96:97], v[34:35], v[16:17] op_sel:[1,0,0]
	v_mov_b32_e32 v35, v85
	s_delay_alu instid0(VALU_DEP_2) | instskip(SKIP_1) | instid1(VALU_DEP_2)
	;; [unrolled: 10-line block ×5, first 2 shown]
	v_pk_fma_f32 v[16:17], v[110:111], v[32:33], v[16:17] op_sel_hi:[0,1,1]
	v_mov_b32_e32 v32, v37
	v_pk_fma_f32 v[16:17], v[66:67], v[34:35], v[16:17] op_sel_hi:[0,1,1]
	v_mov_b32_e32 v35, v37
	s_delay_alu instid0(VALU_DEP_3) | instskip(SKIP_1) | instid1(VALU_DEP_2)
	v_pk_fma_f32 v[20:21], v[62:63], v[32:33], v[20:21] op_sel_hi:[0,1,1]
	v_mov_b32_e32 v32, v38
	v_pk_fma_f32 v[20:21], v[36:37], v[34:35], v[20:21] op_sel_hi:[0,1,1]
	v_mov_b32_e32 v35, v38
	s_delay_alu instid0(VALU_DEP_2) | instskip(SKIP_1) | instid1(VALU_DEP_2)
	v_pk_fma_f32 v[20:21], v[92:93], v[32:33], v[20:21] op_sel_hi:[0,1,1]
	v_mov_b32_e32 v32, v39
	v_pk_fma_f32 v[20:21], v[92:93], v[34:35], v[20:21] op_sel:[1,0,0]
	v_mov_b32_e32 v35, v39
	s_delay_alu instid0(VALU_DEP_2) | instskip(SKIP_1) | instid1(VALU_DEP_2)
	v_pk_fma_f32 v[20:21], v[94:95], v[32:33], v[20:21] op_sel_hi:[0,1,1]
	v_mov_b32_e32 v32, v80
	v_pk_fma_f32 v[20:21], v[40:41], v[34:35], v[20:21] op_sel_hi:[0,1,1]
	v_mov_b32_e32 v35, v80
	s_delay_alu instid0(VALU_DEP_2) | instskip(SKIP_1) | instid1(VALU_DEP_2)
	v_pk_fma_f32 v[20:21], v[96:97], v[32:33], v[20:21] op_sel_hi:[0,1,1]
	v_mov_b32_e32 v32, v81
	v_pk_fma_f32 v[20:21], v[96:97], v[34:35], v[20:21] op_sel:[1,0,0]
	v_mov_b32_e32 v35, v81
	s_delay_alu instid0(VALU_DEP_2) | instskip(SKIP_1) | instid1(VALU_DEP_2)
	v_pk_fma_f32 v[20:21], v[98:99], v[32:33], v[20:21] op_sel_hi:[0,1,1]
	v_mov_b32_e32 v32, v82
	v_pk_fma_f32 v[20:21], v[56:57], v[34:35], v[20:21] op_sel_hi:[0,1,1]
	v_mov_b32_e32 v35, v82
	s_delay_alu instid0(VALU_DEP_2) | instskip(SKIP_1) | instid1(VALU_DEP_2)
	v_pk_fma_f32 v[20:21], v[32:33], v[100:101], v[20:21] op_sel_hi:[1,0,1]
	v_mov_b32_e32 v32, v83
	v_pk_fma_f32 v[20:21], v[100:101], v[34:35], v[20:21] op_sel:[1,0,0]
	v_mov_b32_e32 v35, v83
	s_delay_alu instid0(VALU_DEP_2) | instskip(SKIP_2) | instid1(VALU_DEP_2)
	v_pk_fma_f32 v[20:21], v[102:103], v[32:33], v[20:21] op_sel_hi:[0,1,1]
	s_wait_loadcnt 0x4
	v_mov_b32_e32 v32, v112
	v_pk_fma_f32 v[20:21], v[64:65], v[34:35], v[20:21] op_sel_hi:[0,1,1]
	v_mov_b32_e32 v35, v112
	s_delay_alu instid0(VALU_DEP_2) | instskip(SKIP_1) | instid1(VALU_DEP_2)
	v_pk_fma_f32 v[20:21], v[104:105], v[32:33], v[20:21] op_sel_hi:[0,1,1]
	v_mov_b32_e32 v32, v113
	v_pk_fma_f32 v[20:21], v[104:105], v[34:35], v[20:21] op_sel:[1,0,0]
	v_mov_b32_e32 v35, v113
	s_delay_alu instid0(VALU_DEP_2) | instskip(SKIP_1) | instid1(VALU_DEP_2)
	v_pk_fma_f32 v[20:21], v[106:107], v[32:33], v[20:21] op_sel_hi:[0,1,1]
	v_mov_b32_e32 v32, v114
	v_pk_fma_f32 v[20:21], v[58:59], v[34:35], v[20:21] op_sel_hi:[0,1,1]
	v_mov_b32_e32 v35, v114
	s_delay_alu instid0(VALU_DEP_2) | instskip(SKIP_1) | instid1(VALU_DEP_2)
	v_pk_fma_f32 v[20:21], v[108:109], v[32:33], v[20:21] op_sel_hi:[0,1,1]
	v_mov_b32_e32 v32, v115
	v_pk_fma_f32 v[20:21], v[108:109], v[34:35], v[20:21] op_sel:[1,0,0]
	v_mov_b32_e32 v35, v115
	s_delay_alu instid0(VALU_DEP_2) | instskip(SKIP_1) | instid1(VALU_DEP_2)
	v_pk_fma_f32 v[20:21], v[110:111], v[32:33], v[20:21] op_sel_hi:[0,1,1]
	v_mov_b32_e32 v32, v73
	v_pk_fma_f32 v[20:21], v[66:67], v[34:35], v[20:21] op_sel_hi:[0,1,1]
	v_mov_b32_e32 v35, v73
	s_delay_alu instid0(VALU_DEP_3) | instskip(SKIP_1) | instid1(VALU_DEP_2)
	v_pk_fma_f32 v[18:19], v[62:63], v[32:33], v[18:19] op_sel_hi:[0,1,1]
	v_mov_b32_e32 v32, v74
	v_pk_fma_f32 v[18:19], v[36:37], v[34:35], v[18:19] op_sel_hi:[0,1,1]
	v_mov_b32_e32 v35, v74
	s_delay_alu instid0(VALU_DEP_2) | instskip(SKIP_1) | instid1(VALU_DEP_2)
	v_pk_fma_f32 v[18:19], v[92:93], v[32:33], v[18:19] op_sel_hi:[0,1,1]
	v_mov_b32_e32 v32, v75
	v_pk_fma_f32 v[18:19], v[92:93], v[34:35], v[18:19] op_sel:[1,0,0]
	v_mov_b32_e32 v35, v75
	s_delay_alu instid0(VALU_DEP_2) | instskip(SKIP_2) | instid1(VALU_DEP_2)
	v_pk_fma_f32 v[18:19], v[94:95], v[32:33], v[18:19] op_sel_hi:[0,1,1]
	s_wait_loadcnt 0x3
	v_mov_b32_e32 v32, v116
	v_pk_fma_f32 v[18:19], v[40:41], v[34:35], v[18:19] op_sel_hi:[0,1,1]
	v_mov_b32_e32 v35, v116
	s_delay_alu instid0(VALU_DEP_2) | instskip(SKIP_1) | instid1(VALU_DEP_2)
	v_pk_fma_f32 v[18:19], v[96:97], v[32:33], v[18:19] op_sel_hi:[0,1,1]
	v_mov_b32_e32 v32, v117
	v_pk_fma_f32 v[18:19], v[96:97], v[34:35], v[18:19] op_sel:[1,0,0]
	v_mov_b32_e32 v35, v117
	s_delay_alu instid0(VALU_DEP_2) | instskip(SKIP_1) | instid1(VALU_DEP_2)
	v_pk_fma_f32 v[18:19], v[98:99], v[32:33], v[18:19] op_sel_hi:[0,1,1]
	v_mov_b32_e32 v32, v118
	v_pk_fma_f32 v[18:19], v[56:57], v[34:35], v[18:19] op_sel_hi:[0,1,1]
	v_mov_b32_e32 v35, v118
	s_delay_alu instid0(VALU_DEP_2) | instskip(SKIP_1) | instid1(VALU_DEP_2)
	v_pk_fma_f32 v[18:19], v[32:33], v[100:101], v[18:19] op_sel_hi:[1,0,1]
	v_mov_b32_e32 v32, v119
	v_pk_fma_f32 v[18:19], v[100:101], v[34:35], v[18:19] op_sel:[1,0,0]
	v_mov_b32_e32 v35, v119
	s_delay_alu instid0(VALU_DEP_2) | instskip(SKIP_2) | instid1(VALU_DEP_2)
	v_pk_fma_f32 v[18:19], v[102:103], v[32:33], v[18:19] op_sel_hi:[0,1,1]
	s_wait_loadcnt 0x2
	v_mov_b32_e32 v32, v44
	v_pk_fma_f32 v[18:19], v[64:65], v[34:35], v[18:19] op_sel_hi:[0,1,1]
	v_mov_b32_e32 v35, v44
	s_delay_alu instid0(VALU_DEP_2) | instskip(SKIP_1) | instid1(VALU_DEP_2)
	v_pk_fma_f32 v[18:19], v[104:105], v[32:33], v[18:19] op_sel_hi:[0,1,1]
	v_mov_b32_e32 v32, v45
	v_pk_fma_f32 v[18:19], v[104:105], v[34:35], v[18:19] op_sel:[1,0,0]
	v_mov_b32_e32 v35, v45
	s_delay_alu instid0(VALU_DEP_2) | instskip(SKIP_1) | instid1(VALU_DEP_2)
	v_pk_fma_f32 v[18:19], v[106:107], v[32:33], v[18:19] op_sel_hi:[0,1,1]
	v_mov_b32_e32 v32, v46
	v_pk_fma_f32 v[18:19], v[58:59], v[34:35], v[18:19] op_sel_hi:[0,1,1]
	v_mov_b32_e32 v35, v46
	s_delay_alu instid0(VALU_DEP_2) | instskip(SKIP_1) | instid1(VALU_DEP_2)
	v_pk_fma_f32 v[18:19], v[108:109], v[32:33], v[18:19] op_sel_hi:[0,1,1]
	v_mov_b32_e32 v32, v47
	v_pk_fma_f32 v[18:19], v[108:109], v[34:35], v[18:19] op_sel:[1,0,0]
	v_mov_b32_e32 v35, v47
	s_delay_alu instid0(VALU_DEP_2) | instskip(SKIP_1) | instid1(VALU_DEP_2)
	v_pk_fma_f32 v[18:19], v[110:111], v[32:33], v[18:19] op_sel_hi:[0,1,1]
	v_mov_b32_e32 v32, v77
	v_pk_fma_f32 v[18:19], v[66:67], v[34:35], v[18:19] op_sel_hi:[0,1,1]
	v_mov_b32_e32 v35, v77
	s_delay_alu instid0(VALU_DEP_3) | instskip(SKIP_1) | instid1(VALU_DEP_2)
	v_pk_fma_f32 v[22:23], v[62:63], v[32:33], v[22:23] op_sel_hi:[0,1,1]
	v_mov_b32_e32 v32, v78
	v_pk_fma_f32 v[22:23], v[36:37], v[34:35], v[22:23] op_sel_hi:[0,1,1]
	v_mov_b32_e32 v35, v78
	s_delay_alu instid0(VALU_DEP_2) | instskip(SKIP_1) | instid1(VALU_DEP_2)
	v_pk_fma_f32 v[22:23], v[92:93], v[32:33], v[22:23] op_sel_hi:[0,1,1]
	v_mov_b32_e32 v32, v79
	v_pk_fma_f32 v[22:23], v[92:93], v[34:35], v[22:23] op_sel:[1,0,0]
	v_mov_b32_e32 v35, v79
	s_delay_alu instid0(VALU_DEP_2) | instskip(SKIP_2) | instid1(VALU_DEP_2)
	v_pk_fma_f32 v[22:23], v[94:95], v[32:33], v[22:23] op_sel_hi:[0,1,1]
	s_wait_loadcnt 0x1
	v_mov_b32_e32 v32, v48
	v_pk_fma_f32 v[22:23], v[40:41], v[34:35], v[22:23] op_sel_hi:[0,1,1]
	v_mov_b32_e32 v35, v48
	s_delay_alu instid0(VALU_DEP_2) | instskip(SKIP_1) | instid1(VALU_DEP_2)
	v_pk_fma_f32 v[22:23], v[96:97], v[32:33], v[22:23] op_sel_hi:[0,1,1]
	v_mov_b32_e32 v32, v49
	v_pk_fma_f32 v[22:23], v[96:97], v[34:35], v[22:23] op_sel:[1,0,0]
	v_mov_b32_e32 v35, v49
	s_delay_alu instid0(VALU_DEP_2) | instskip(SKIP_1) | instid1(VALU_DEP_2)
	v_pk_fma_f32 v[22:23], v[98:99], v[32:33], v[22:23] op_sel_hi:[0,1,1]
	v_mov_b32_e32 v32, v50
	v_pk_fma_f32 v[22:23], v[56:57], v[34:35], v[22:23] op_sel_hi:[0,1,1]
	v_mov_b32_e32 v35, v50
	s_delay_alu instid0(VALU_DEP_2) | instskip(SKIP_1) | instid1(VALU_DEP_2)
	v_pk_fma_f32 v[22:23], v[32:33], v[100:101], v[22:23] op_sel_hi:[1,0,1]
	v_mov_b32_e32 v32, v51
	v_pk_fma_f32 v[22:23], v[100:101], v[34:35], v[22:23] op_sel:[1,0,0]
	v_mov_b32_e32 v35, v51
	s_delay_alu instid0(VALU_DEP_2) | instskip(SKIP_2) | instid1(VALU_DEP_2)
	v_pk_fma_f32 v[22:23], v[102:103], v[32:33], v[22:23] op_sel_hi:[0,1,1]
	s_wait_loadcnt 0x0
	v_mov_b32_e32 v32, v52
	v_pk_fma_f32 v[22:23], v[64:65], v[34:35], v[22:23] op_sel_hi:[0,1,1]
	v_mov_b32_e32 v35, v52
	s_delay_alu instid0(VALU_DEP_2) | instskip(SKIP_1) | instid1(VALU_DEP_2)
	v_pk_fma_f32 v[22:23], v[104:105], v[32:33], v[22:23] op_sel_hi:[0,1,1]
	v_mov_b32_e32 v32, v53
	v_pk_fma_f32 v[22:23], v[104:105], v[34:35], v[22:23] op_sel:[1,0,0]
	v_mov_b32_e32 v35, v53
	s_delay_alu instid0(VALU_DEP_2) | instskip(SKIP_1) | instid1(VALU_DEP_2)
	v_pk_fma_f32 v[22:23], v[106:107], v[32:33], v[22:23] op_sel_hi:[0,1,1]
	v_mov_b32_e32 v32, v54
	v_pk_fma_f32 v[22:23], v[58:59], v[34:35], v[22:23] op_sel_hi:[0,1,1]
	v_mov_b32_e32 v35, v54
	s_delay_alu instid0(VALU_DEP_2) | instskip(SKIP_1) | instid1(VALU_DEP_2)
	v_pk_fma_f32 v[22:23], v[108:109], v[32:33], v[22:23] op_sel_hi:[0,1,1]
	v_mov_b32_e32 v32, v55
	v_pk_fma_f32 v[22:23], v[108:109], v[34:35], v[22:23] op_sel:[1,0,0]
	v_mov_b32_e32 v35, v55
	s_delay_alu instid0(VALU_DEP_2) | instskip(NEXT) | instid1(VALU_DEP_1)
	v_pk_fma_f32 v[22:23], v[110:111], v[32:33], v[22:23] op_sel_hi:[0,1,1]
	v_pk_fma_f32 v[22:23], v[66:67], v[34:35], v[22:23] op_sel_hi:[0,1,1]
	s_and_not1_b32 exec_lo, exec_lo, s10
	s_cbranch_execnz .LBB134_19
; %bb.20:
	s_or_b32 exec_lo, exec_lo, s10
.LBB134_21:
	s_delay_alu instid0(SALU_CYCLE_1)
	s_or_b32 exec_lo, exec_lo, s7
.LBB134_22:
	s_delay_alu instid0(SALU_CYCLE_1)
	s_or_b32 exec_lo, exec_lo, s6
	s_cbranch_execz .LBB134_24
	s_branch .LBB134_35
.LBB134_23:
                                        ; implicit-def: $vgpr17
                                        ; implicit-def: $vgpr21
                                        ; implicit-def: $vgpr19
                                        ; implicit-def: $vgpr23
.LBB134_24:
	v_dual_mov_b32 v17, 0 :: v_dual_mov_b32 v16, 0
	v_dual_mov_b32 v21, 0 :: v_dual_mov_b32 v20, 0
	;; [unrolled: 1-line block ×4, first 2 shown]
	s_and_saveexec_b32 s6, s3
	s_cbranch_execz .LBB134_34
; %bb.25:
	v_dual_mov_b32 v17, v1 :: v_dual_bitop2_b32 v16, 64, v0 bitop3:0x54
	v_sub_nc_u64_e32 v[18:19], v[8:9], v[0:1]
	v_not_b32_e32 v21, v25
	v_not_b32_e32 v20, v24
	v_mov_b32_e32 v23, 0
	v_sub_nc_u64_e32 v[16:17], v[16:17], v[8:9]
	s_delay_alu instid0(VALU_DEP_3) | instskip(NEXT) | instid1(VALU_DEP_3)
	v_add_nc_u64_e32 v[18:19], v[18:19], v[20:21]
	v_dual_mov_b32 v20, v23 :: v_dual_mov_b32 v21, v23
	s_delay_alu instid0(VALU_DEP_3) | instskip(NEXT) | instid1(VALU_DEP_1)
	v_add_nc_u64_e32 v[16:17], v[16:17], v[24:25]
	v_max_i64 v[16:17], v[16:17], v[12:13]
	s_delay_alu instid0(VALU_DEP_1) | instskip(SKIP_2) | instid1(VALU_DEP_3)
	v_add_nc_u64_e32 v[24:25], v[18:19], v[16:17]
	v_dual_mov_b32 v18, v23 :: v_dual_mov_b32 v19, v23
	v_dual_mov_b32 v16, v23 :: v_dual_mov_b32 v17, v23
	v_and_b32_e32 v22, 0xc0, v24
	s_delay_alu instid0(VALU_DEP_1)
	v_cmp_ne_u64_e32 vcc_lo, 0xc0, v[22:23]
	v_mov_b32_e32 v22, v23
	s_and_saveexec_b32 s3, vcc_lo
	s_cbranch_execz .LBB134_29
; %bb.26:
	v_dual_lshrrev_b32 v1, 6, v24 :: v_dual_mov_b32 v27, 0
	v_lshl_add_u64 v[28:29], v[10:11], 3, s[8:9]
	v_bfrev_b32_e32 v30, 1
	s_mov_b32 s7, 0
	s_delay_alu instid0(VALU_DEP_3) | instskip(SKIP_2) | instid1(VALU_DEP_3)
	v_dual_mov_b32 v22, v27 :: v_dual_add_nc_u32 v1, 1, v1
	v_dual_mov_b32 v18, v27 :: v_dual_mov_b32 v19, v27
	v_dual_mov_b32 v20, v27 :: v_dual_mov_b32 v21, v27
	v_dual_mov_b32 v23, v27 :: v_dual_bitop2_b32 v26, 3, v1 bitop3:0x40
	v_dual_mov_b32 v16, v27 :: v_dual_mov_b32 v17, v27
	s_delay_alu instid0(VALU_DEP_2)
	v_sub_nc_u64_e32 v[32:33], 0, v[26:27]
.LBB134_27:                             ; =>This Inner Loop Header: Depth=1
	global_load_b64 v[42:43], v[28:29], off
	s_clause 0x1
	global_load_b128 v[34:37], v[14:15], off offset:16
	global_load_b128 v[38:41], v[14:15], off
	v_add_nc_u64_e32 v[32:33], 1, v[32:33]
	v_add_nc_u64_e32 v[10:11], 64, v[10:11]
	s_wait_xcnt 0x2
	v_add_nc_u64_e32 v[28:29], 0x200, v[28:29]
	s_delay_alu instid0(VALU_DEP_3)
	v_cmp_eq_u64_e32 vcc_lo, 0, v[32:33]
	s_or_b32 s7, vcc_lo, s7
	s_wait_loadcnt 0x2
	v_sub_nc_u64_e32 v[42:43], v[42:43], v[8:9]
	s_wait_loadcnt 0x0
	v_dual_mov_b32 v26, v38 :: v_dual_mov_b32 v31, v38
	s_delay_alu instid0(VALU_DEP_2) | instskip(NEXT) | instid1(VALU_DEP_1)
	v_lshlrev_b64_e32 v[42:43], 5, v[42:43]
	v_add_nc_u64_e32 v[58:59], s[4:5], v[42:43]
	s_clause 0x1
	global_load_b128 v[42:45], v[58:59], off
	global_load_b128 v[46:49], v[58:59], off offset:16
	s_clause 0x1
	global_load_b128 v[50:53], v[14:15], off offset:32
	global_load_b128 v[54:57], v[14:15], off offset:48
	s_wait_xcnt 0x0
	v_add_nc_u64_e32 v[14:15], 0x1000, v[14:15]
	s_wait_loadcnt 0x3
	v_pk_fma_f32 v[16:17], v[42:43], v[26:27], v[16:17] op_sel_hi:[0,1,1]
	v_dual_mov_b32 v26, v34 :: v_dual_mov_b32 v38, v45
	s_wait_loadcnt 0x2
	v_mov_b32_e32 v58, v49
	s_delay_alu instid0(VALU_DEP_3) | instskip(SKIP_1) | instid1(VALU_DEP_2)
	v_pk_fma_f32 v[16:17], v[42:43], v[30:31], v[16:17] op_sel:[1,0,0]
	v_mov_b32_e32 v31, v34
	v_pk_fma_f32 v[16:17], v[44:45], v[26:27], v[16:17] op_sel_hi:[0,1,1]
	s_wait_loadcnt 0x1
	v_mov_b32_e32 v26, v50
	s_delay_alu instid0(VALU_DEP_2) | instskip(SKIP_1) | instid1(VALU_DEP_2)
	v_pk_fma_f32 v[16:17], v[38:39], v[30:31], v[16:17] op_sel_hi:[0,1,1]
	v_mov_b32_e32 v31, v50
	v_pk_fma_f32 v[16:17], v[46:47], v[26:27], v[16:17] op_sel_hi:[0,1,1]
	s_wait_loadcnt 0x0
	v_mov_b32_e32 v26, v54
	s_delay_alu instid0(VALU_DEP_2) | instskip(SKIP_1) | instid1(VALU_DEP_2)
	v_pk_fma_f32 v[16:17], v[46:47], v[30:31], v[16:17] op_sel:[1,0,0]
	v_mov_b32_e32 v31, v54
	v_pk_fma_f32 v[16:17], v[48:49], v[26:27], v[16:17] op_sel_hi:[0,1,1]
	v_mov_b32_e32 v26, v39
	s_delay_alu instid0(VALU_DEP_2) | instskip(SKIP_1) | instid1(VALU_DEP_3)
	v_pk_fma_f32 v[16:17], v[58:59], v[30:31], v[16:17] op_sel_hi:[0,1,1]
	v_mov_b32_e32 v31, v39
	v_pk_fma_f32 v[20:21], v[42:43], v[26:27], v[20:21] op_sel_hi:[0,1,1]
	v_mov_b32_e32 v26, v35
	s_delay_alu instid0(VALU_DEP_2) | instskip(SKIP_1) | instid1(VALU_DEP_2)
	v_pk_fma_f32 v[20:21], v[42:43], v[30:31], v[20:21] op_sel:[1,0,0]
	v_mov_b32_e32 v31, v35
	v_pk_fma_f32 v[20:21], v[44:45], v[26:27], v[20:21] op_sel_hi:[0,1,1]
	v_mov_b32_e32 v26, v51
	s_delay_alu instid0(VALU_DEP_2) | instskip(SKIP_1) | instid1(VALU_DEP_2)
	v_pk_fma_f32 v[20:21], v[38:39], v[30:31], v[20:21] op_sel_hi:[0,1,1]
	v_mov_b32_e32 v31, v51
	v_pk_fma_f32 v[20:21], v[46:47], v[26:27], v[20:21] op_sel_hi:[0,1,1]
	v_mov_b32_e32 v26, v55
	s_delay_alu instid0(VALU_DEP_2) | instskip(SKIP_1) | instid1(VALU_DEP_2)
	v_pk_fma_f32 v[20:21], v[46:47], v[30:31], v[20:21] op_sel:[1,0,0]
	v_mov_b32_e32 v31, v55
	v_pk_fma_f32 v[20:21], v[48:49], v[26:27], v[20:21] op_sel_hi:[0,1,1]
	v_mov_b32_e32 v26, v40
	s_delay_alu instid0(VALU_DEP_2) | instskip(SKIP_1) | instid1(VALU_DEP_3)
	v_pk_fma_f32 v[20:21], v[58:59], v[30:31], v[20:21] op_sel_hi:[0,1,1]
	v_mov_b32_e32 v31, v40
	v_pk_fma_f32 v[18:19], v[42:43], v[26:27], v[18:19] op_sel_hi:[0,1,1]
	v_mov_b32_e32 v26, v36
	s_delay_alu instid0(VALU_DEP_2) | instskip(SKIP_1) | instid1(VALU_DEP_2)
	v_pk_fma_f32 v[18:19], v[42:43], v[30:31], v[18:19] op_sel:[1,0,0]
	v_mov_b32_e32 v31, v36
	v_pk_fma_f32 v[18:19], v[44:45], v[26:27], v[18:19] op_sel_hi:[0,1,1]
	v_mov_b32_e32 v26, v52
	s_delay_alu instid0(VALU_DEP_2) | instskip(SKIP_1) | instid1(VALU_DEP_2)
	v_pk_fma_f32 v[18:19], v[38:39], v[30:31], v[18:19] op_sel_hi:[0,1,1]
	v_mov_b32_e32 v31, v52
	v_pk_fma_f32 v[18:19], v[46:47], v[26:27], v[18:19] op_sel_hi:[0,1,1]
	;; [unrolled: 20-line block ×3, first 2 shown]
	v_mov_b32_e32 v26, v57
	s_delay_alu instid0(VALU_DEP_2) | instskip(SKIP_1) | instid1(VALU_DEP_2)
	v_pk_fma_f32 v[22:23], v[46:47], v[30:31], v[22:23] op_sel:[1,0,0]
	v_mov_b32_e32 v31, v57
	v_pk_fma_f32 v[22:23], v[48:49], v[26:27], v[22:23] op_sel_hi:[0,1,1]
	s_delay_alu instid0(VALU_DEP_1)
	v_pk_fma_f32 v[22:23], v[58:59], v[30:31], v[22:23] op_sel_hi:[0,1,1]
	s_and_not1_b32 exec_lo, exec_lo, s7
	s_cbranch_execnz .LBB134_27
; %bb.28:
	s_or_b32 exec_lo, exec_lo, s7
.LBB134_29:
	s_delay_alu instid0(SALU_CYCLE_1) | instskip(NEXT) | instid1(SALU_CYCLE_1)
	s_or_b32 exec_lo, exec_lo, s3
	s_mov_b32 s3, exec_lo
	v_cmpx_lt_u64_e32 0xbf, v[24:25]
	s_cbranch_execz .LBB134_33
; %bb.30:
	v_lshl_add_u64 v[24:25], v[10:11], 3, s[8:9]
	v_mov_b32_e32 v27, 0
	v_bfrev_b32_e32 v28, 1
	s_mov_b32 s7, 0
	s_delay_alu instid0(VALU_DEP_3)
	v_add_nc_u64_e32 v[24:25], 0x400, v[24:25]
.LBB134_31:                             ; =>This Inner Loop Header: Depth=1
	s_clause 0x1
	global_load_b64 v[90:91], v[24:25], off offset:-1024
	global_load_b64 v[92:93], v[24:25], off offset:-512
	global_load_b128 v[30:33], v[14:15], off
	s_clause 0x1
	global_load_b64 v[94:95], v[24:25], off
	global_load_b64 v[96:97], v[24:25], off offset:512
	s_clause 0xd
	global_load_b128 v[34:37], v[14:15], off offset:16
	global_load_b128 v[38:41], v[14:15], off offset:48
	;; [unrolled: 1-line block ×14, first 2 shown]
	v_add_nc_u64_e32 v[10:11], 0x100, v[10:11]
	s_wait_xcnt 0xe
	v_add_nc_u64_e32 v[24:25], 0x800, v[24:25]
	s_delay_alu instid0(VALU_DEP_2)
	v_cmp_ge_i64_e32 vcc_lo, v[10:11], v[12:13]
	s_or_b32 s7, vcc_lo, s7
	s_wait_loadcnt 0x12
	v_sub_nc_u64_e32 v[90:91], v[90:91], v[8:9]
	s_wait_loadcnt 0x11
	v_sub_nc_u64_e32 v[92:93], v[92:93], v[8:9]
	s_wait_loadcnt 0x10
	v_dual_mov_b32 v26, v30 :: v_dual_mov_b32 v29, v30
	s_wait_loadcnt 0xf
	v_sub_nc_u64_e32 v[94:95], v[94:95], v[8:9]
	s_wait_loadcnt 0xe
	v_sub_nc_u64_e32 v[96:97], v[96:97], v[8:9]
	v_lshlrev_b64_e32 v[90:91], 5, v[90:91]
	v_lshlrev_b64_e32 v[92:93], 5, v[92:93]
	s_delay_alu instid0(VALU_DEP_4) | instskip(NEXT) | instid1(VALU_DEP_4)
	v_lshlrev_b64_e32 v[94:95], 5, v[94:95]
	v_lshlrev_b64_e32 v[96:97], 5, v[96:97]
	s_delay_alu instid0(VALU_DEP_4) | instskip(NEXT) | instid1(VALU_DEP_4)
	v_add_nc_u64_e32 v[106:107], s[4:5], v[90:91]
	v_add_nc_u64_e32 v[108:109], s[4:5], v[92:93]
	s_delay_alu instid0(VALU_DEP_4) | instskip(NEXT) | instid1(VALU_DEP_4)
	v_add_nc_u64_e32 v[110:111], s[4:5], v[94:95]
	v_add_nc_u64_e32 v[112:113], s[4:5], v[96:97]
	s_clause 0x3
	global_load_b128 v[90:93], v[106:107], off
	global_load_b128 v[94:97], v[106:107], off offset:16
	global_load_b128 v[98:101], v[108:109], off
	global_load_b128 v[102:105], v[108:109], off offset:16
	s_wait_loadcnt 0x3
	v_pk_fma_f32 v[16:17], v[90:91], v[26:27], v[16:17] op_sel_hi:[0,1,1]
	s_wait_xcnt 0x2
	v_dual_mov_b32 v26, v34 :: v_dual_mov_b32 v106, v93
	s_wait_loadcnt 0x2
	s_wait_xcnt 0x0
	v_mov_b32_e32 v108, v97
	v_pk_fma_f32 v[16:17], v[90:91], v[28:29], v[16:17] op_sel:[1,0,0]
	v_mov_b32_e32 v29, v34
	s_delay_alu instid0(VALU_DEP_2) | instskip(SKIP_1) | instid1(VALU_DEP_2)
	v_pk_fma_f32 v[16:17], v[92:93], v[26:27], v[16:17] op_sel_hi:[0,1,1]
	v_mov_b32_e32 v26, v42
	v_pk_fma_f32 v[16:17], v[106:107], v[28:29], v[16:17] op_sel_hi:[0,1,1]
	v_mov_b32_e32 v29, v42
	s_delay_alu instid0(VALU_DEP_2) | instskip(SKIP_1) | instid1(VALU_DEP_2)
	v_pk_fma_f32 v[16:17], v[94:95], v[26:27], v[16:17] op_sel_hi:[0,1,1]
	v_mov_b32_e32 v26, v38
	v_pk_fma_f32 v[16:17], v[94:95], v[28:29], v[16:17] op_sel:[1,0,0]
	v_mov_b32_e32 v29, v38
	s_delay_alu instid0(VALU_DEP_2) | instskip(SKIP_1) | instid1(VALU_DEP_2)
	v_pk_fma_f32 v[16:17], v[96:97], v[26:27], v[16:17] op_sel_hi:[0,1,1]
	v_mov_b32_e32 v26, v58
	v_pk_fma_f32 v[16:17], v[108:109], v[28:29], v[16:17] op_sel_hi:[0,1,1]
	v_mov_b32_e32 v29, v58
	s_wait_loadcnt 0x1
	s_delay_alu instid0(VALU_DEP_2) | instskip(SKIP_1) | instid1(VALU_DEP_2)
	v_pk_fma_f32 v[16:17], v[98:99], v[26:27], v[16:17] op_sel_hi:[0,1,1]
	v_mov_b32_e32 v26, v31
	v_pk_fma_f32 v[114:115], v[98:99], v[28:29], v[16:17] op_sel:[1,0,0]
	v_mov_b32_e32 v29, v31
	s_delay_alu instid0(VALU_DEP_3) | instskip(SKIP_1) | instid1(VALU_DEP_2)
	v_pk_fma_f32 v[16:17], v[90:91], v[26:27], v[20:21] op_sel_hi:[0,1,1]
	v_mov_b32_e32 v26, v35
	v_pk_fma_f32 v[16:17], v[90:91], v[28:29], v[16:17] op_sel:[1,0,0]
	v_mov_b32_e32 v29, v35
	s_delay_alu instid0(VALU_DEP_2) | instskip(SKIP_1) | instid1(VALU_DEP_2)
	v_pk_fma_f32 v[16:17], v[92:93], v[26:27], v[16:17] op_sel_hi:[0,1,1]
	v_mov_b32_e32 v26, v43
	v_pk_fma_f32 v[16:17], v[106:107], v[28:29], v[16:17] op_sel_hi:[0,1,1]
	v_mov_b32_e32 v29, v43
	s_delay_alu instid0(VALU_DEP_2) | instskip(SKIP_1) | instid1(VALU_DEP_2)
	v_pk_fma_f32 v[16:17], v[94:95], v[26:27], v[16:17] op_sel_hi:[0,1,1]
	v_mov_b32_e32 v26, v39
	v_pk_fma_f32 v[16:17], v[94:95], v[28:29], v[16:17] op_sel:[1,0,0]
	v_mov_b32_e32 v29, v39
	s_delay_alu instid0(VALU_DEP_2) | instskip(SKIP_1) | instid1(VALU_DEP_2)
	v_pk_fma_f32 v[16:17], v[96:97], v[26:27], v[16:17] op_sel_hi:[0,1,1]
	v_mov_b32_e32 v26, v59
	v_pk_fma_f32 v[16:17], v[108:109], v[28:29], v[16:17] op_sel_hi:[0,1,1]
	v_mov_b32_e32 v29, v59
	s_delay_alu instid0(VALU_DEP_2) | instskip(SKIP_1) | instid1(VALU_DEP_2)
	v_pk_fma_f32 v[16:17], v[98:99], v[26:27], v[16:17] op_sel_hi:[0,1,1]
	v_mov_b32_e32 v26, v32
	v_pk_fma_f32 v[38:39], v[98:99], v[28:29], v[16:17] op_sel:[1,0,0]
	v_mov_b32_e32 v29, v32
	s_delay_alu instid0(VALU_DEP_3) | instskip(SKIP_1) | instid1(VALU_DEP_2)
	v_pk_fma_f32 v[16:17], v[90:91], v[26:27], v[18:19] op_sel_hi:[0,1,1]
	v_mov_b32_e32 v26, v36
	v_pk_fma_f32 v[16:17], v[90:91], v[28:29], v[16:17] op_sel:[1,0,0]
	v_mov_b32_e32 v29, v36
	s_delay_alu instid0(VALU_DEP_2) | instskip(SKIP_1) | instid1(VALU_DEP_2)
	v_pk_fma_f32 v[16:17], v[92:93], v[26:27], v[16:17] op_sel_hi:[0,1,1]
	v_mov_b32_e32 v26, v44
	v_pk_fma_f32 v[16:17], v[106:107], v[28:29], v[16:17] op_sel_hi:[0,1,1]
	s_wait_loadcnt 0x0
	v_dual_mov_b32 v29, v44 :: v_dual_mov_b32 v44, v105
	s_delay_alu instid0(VALU_DEP_2) | instskip(SKIP_1) | instid1(VALU_DEP_2)
	v_pk_fma_f32 v[16:17], v[94:95], v[26:27], v[16:17] op_sel_hi:[0,1,1]
	v_mov_b32_e32 v26, v40
	v_pk_fma_f32 v[16:17], v[94:95], v[28:29], v[16:17] op_sel:[1,0,0]
	v_dual_mov_b32 v29, v40 :: v_dual_mov_b32 v40, v101
	s_delay_alu instid0(VALU_DEP_2) | instskip(SKIP_1) | instid1(VALU_DEP_2)
	v_pk_fma_f32 v[16:17], v[96:97], v[26:27], v[16:17] op_sel_hi:[0,1,1]
	v_mov_b32_e32 v26, v60
	v_pk_fma_f32 v[16:17], v[108:109], v[28:29], v[16:17] op_sel_hi:[0,1,1]
	v_mov_b32_e32 v29, v60
	s_delay_alu instid0(VALU_DEP_2) | instskip(SKIP_1) | instid1(VALU_DEP_2)
	v_pk_fma_f32 v[16:17], v[98:99], v[26:27], v[16:17] op_sel_hi:[0,1,1]
	v_mov_b32_e32 v26, v33
	v_pk_fma_f32 v[42:43], v[98:99], v[28:29], v[16:17] op_sel:[1,0,0]
	v_mov_b32_e32 v29, v33
	s_clause 0x1
	global_load_b128 v[16:19], v[110:111], off
	global_load_b128 v[30:33], v[110:111], off offset:16
	v_pk_fma_f32 v[20:21], v[90:91], v[26:27], v[22:23] op_sel_hi:[0,1,1]
	v_mov_b32_e32 v26, v37
	s_delay_alu instid0(VALU_DEP_2)
	v_pk_fma_f32 v[20:21], v[90:91], v[28:29], v[20:21] op_sel:[1,0,0]
	v_mov_b32_e32 v29, v37
	global_load_b128 v[34:37], v[112:113], off
	v_pk_fma_f32 v[20:21], v[92:93], v[26:27], v[20:21] op_sel_hi:[0,1,1]
	global_load_b128 v[90:93], v[112:113], off offset:16
	v_mov_b32_e32 v26, v45
	v_pk_fma_f32 v[58:59], v[106:107], v[28:29], v[20:21] op_sel_hi:[0,1,1]
	global_load_b128 v[20:23], v[14:15], off offset:12336
	v_mov_b32_e32 v29, v45
	s_wait_xcnt 0x0
	v_add_nc_u64_e32 v[14:15], 0x4000, v[14:15]
	v_pk_fma_f32 v[58:59], v[94:95], v[26:27], v[58:59] op_sel_hi:[0,1,1]
	v_mov_b32_e32 v26, v41
	s_delay_alu instid0(VALU_DEP_2) | instskip(SKIP_1) | instid1(VALU_DEP_2)
	v_pk_fma_f32 v[58:59], v[94:95], v[28:29], v[58:59] op_sel:[1,0,0]
	v_mov_b32_e32 v29, v41
	v_pk_fma_f32 v[58:59], v[96:97], v[26:27], v[58:59] op_sel_hi:[0,1,1]
	v_mov_b32_e32 v26, v61
	s_delay_alu instid0(VALU_DEP_2) | instskip(SKIP_1) | instid1(VALU_DEP_2)
	v_pk_fma_f32 v[58:59], v[108:109], v[28:29], v[58:59] op_sel_hi:[0,1,1]
	v_mov_b32_e32 v29, v61
	v_pk_fma_f32 v[58:59], v[98:99], v[26:27], v[58:59] op_sel_hi:[0,1,1]
	v_mov_b32_e32 v26, v54
	s_delay_alu instid0(VALU_DEP_2) | instskip(SKIP_1) | instid1(VALU_DEP_3)
	v_pk_fma_f32 v[58:59], v[98:99], v[28:29], v[58:59] op_sel:[1,0,0]
	v_mov_b32_e32 v29, v54
	v_pk_fma_f32 v[98:99], v[100:101], v[26:27], v[114:115] op_sel_hi:[0,1,1]
	v_mov_b32_e32 v26, v50
	s_delay_alu instid0(VALU_DEP_2) | instskip(SKIP_1) | instid1(VALU_DEP_2)
	v_pk_fma_f32 v[98:99], v[40:41], v[28:29], v[98:99] op_sel_hi:[0,1,1]
	v_mov_b32_e32 v29, v50
	v_pk_fma_f32 v[98:99], v[102:103], v[26:27], v[98:99] op_sel_hi:[0,1,1]
	v_mov_b32_e32 v26, v46
	s_delay_alu instid0(VALU_DEP_2) | instskip(SKIP_1) | instid1(VALU_DEP_2)
	v_pk_fma_f32 v[98:99], v[102:103], v[28:29], v[98:99] op_sel:[1,0,0]
	v_mov_b32_e32 v29, v46
	v_pk_fma_f32 v[98:99], v[104:105], v[26:27], v[98:99] op_sel_hi:[0,1,1]
	v_mov_b32_e32 v26, v74
	s_delay_alu instid0(VALU_DEP_2) | instskip(SKIP_2) | instid1(VALU_DEP_2)
	v_pk_fma_f32 v[98:99], v[44:45], v[28:29], v[98:99] op_sel_hi:[0,1,1]
	v_mov_b32_e32 v29, v74
	s_wait_loadcnt 0x4
	v_pk_fma_f32 v[98:99], v[16:17], v[26:27], v[98:99] op_sel_hi:[0,1,1]
	v_dual_mov_b32 v26, v70 :: v_dual_mov_b32 v60, v19
	s_wait_loadcnt 0x3
	v_mov_b32_e32 v94, v33
	s_delay_alu instid0(VALU_DEP_3) | instskip(SKIP_2) | instid1(VALU_DEP_2)
	v_pk_fma_f32 v[98:99], v[16:17], v[28:29], v[98:99] op_sel:[1,0,0]
	s_wait_loadcnt 0x2
	v_dual_mov_b32 v29, v70 :: v_dual_mov_b32 v96, v37
	v_pk_fma_f32 v[98:99], v[18:19], v[26:27], v[98:99] op_sel_hi:[0,1,1]
	s_wait_loadcnt 0x1
	v_dual_mov_b32 v26, v66 :: v_dual_mov_b32 v106, v93
	s_delay_alu instid0(VALU_DEP_2) | instskip(SKIP_1) | instid1(VALU_DEP_2)
	v_pk_fma_f32 v[98:99], v[60:61], v[28:29], v[98:99] op_sel_hi:[0,1,1]
	v_mov_b32_e32 v29, v55
	v_pk_fma_f32 v[98:99], v[30:31], v[26:27], v[98:99] op_sel_hi:[0,1,1]
	v_mov_b32_e32 v26, v55
	s_delay_alu instid0(VALU_DEP_1) | instskip(SKIP_1) | instid1(VALU_DEP_2)
	v_pk_fma_f32 v[38:39], v[100:101], v[26:27], v[38:39] op_sel_hi:[0,1,1]
	v_mov_b32_e32 v26, v51
	v_pk_fma_f32 v[38:39], v[40:41], v[28:29], v[38:39] op_sel_hi:[0,1,1]
	v_mov_b32_e32 v29, v51
	s_delay_alu instid0(VALU_DEP_2) | instskip(SKIP_1) | instid1(VALU_DEP_2)
	v_pk_fma_f32 v[38:39], v[102:103], v[26:27], v[38:39] op_sel_hi:[0,1,1]
	v_mov_b32_e32 v26, v47
	v_pk_fma_f32 v[38:39], v[102:103], v[28:29], v[38:39] op_sel:[1,0,0]
	v_mov_b32_e32 v29, v47
	s_delay_alu instid0(VALU_DEP_2) | instskip(SKIP_1) | instid1(VALU_DEP_2)
	v_pk_fma_f32 v[38:39], v[104:105], v[26:27], v[38:39] op_sel_hi:[0,1,1]
	v_mov_b32_e32 v26, v75
	v_pk_fma_f32 v[38:39], v[44:45], v[28:29], v[38:39] op_sel_hi:[0,1,1]
	v_mov_b32_e32 v29, v75
	s_delay_alu instid0(VALU_DEP_2) | instskip(SKIP_1) | instid1(VALU_DEP_2)
	v_pk_fma_f32 v[38:39], v[16:17], v[26:27], v[38:39] op_sel_hi:[0,1,1]
	v_mov_b32_e32 v26, v71
	v_pk_fma_f32 v[38:39], v[16:17], v[28:29], v[38:39] op_sel:[1,0,0]
	v_mov_b32_e32 v29, v71
	s_delay_alu instid0(VALU_DEP_2) | instskip(SKIP_1) | instid1(VALU_DEP_2)
	v_pk_fma_f32 v[38:39], v[18:19], v[26:27], v[38:39] op_sel_hi:[0,1,1]
	v_mov_b32_e32 v26, v67
	v_pk_fma_f32 v[38:39], v[60:61], v[28:29], v[38:39] op_sel_hi:[0,1,1]
	v_mov_b32_e32 v29, v56
	s_delay_alu instid0(VALU_DEP_2) | instskip(SKIP_1) | instid1(VALU_DEP_1)
	v_pk_fma_f32 v[38:39], v[30:31], v[26:27], v[38:39] op_sel_hi:[0,1,1]
	v_mov_b32_e32 v26, v56
	v_pk_fma_f32 v[42:43], v[100:101], v[26:27], v[42:43] op_sel_hi:[0,1,1]
	v_mov_b32_e32 v26, v52
	s_delay_alu instid0(VALU_DEP_2) | instskip(SKIP_1) | instid1(VALU_DEP_2)
	v_pk_fma_f32 v[42:43], v[40:41], v[28:29], v[42:43] op_sel_hi:[0,1,1]
	v_mov_b32_e32 v29, v52
	v_pk_fma_f32 v[42:43], v[102:103], v[26:27], v[42:43] op_sel_hi:[0,1,1]
	v_mov_b32_e32 v26, v48
	s_delay_alu instid0(VALU_DEP_2) | instskip(SKIP_1) | instid1(VALU_DEP_2)
	v_pk_fma_f32 v[42:43], v[102:103], v[28:29], v[42:43] op_sel:[1,0,0]
	v_mov_b32_e32 v29, v48
	v_pk_fma_f32 v[42:43], v[104:105], v[26:27], v[42:43] op_sel_hi:[0,1,1]
	v_mov_b32_e32 v26, v76
	s_delay_alu instid0(VALU_DEP_2) | instskip(SKIP_1) | instid1(VALU_DEP_2)
	v_pk_fma_f32 v[42:43], v[44:45], v[28:29], v[42:43] op_sel_hi:[0,1,1]
	v_mov_b32_e32 v29, v76
	v_pk_fma_f32 v[42:43], v[16:17], v[26:27], v[42:43] op_sel_hi:[0,1,1]
	v_mov_b32_e32 v26, v72
	s_delay_alu instid0(VALU_DEP_2) | instskip(SKIP_1) | instid1(VALU_DEP_2)
	v_pk_fma_f32 v[42:43], v[16:17], v[28:29], v[42:43] op_sel:[1,0,0]
	v_mov_b32_e32 v29, v72
	v_pk_fma_f32 v[42:43], v[18:19], v[26:27], v[42:43] op_sel_hi:[0,1,1]
	v_mov_b32_e32 v26, v68
	s_delay_alu instid0(VALU_DEP_2) | instskip(SKIP_1) | instid1(VALU_DEP_2)
	v_pk_fma_f32 v[42:43], v[60:61], v[28:29], v[42:43] op_sel_hi:[0,1,1]
	v_mov_b32_e32 v29, v57
	v_pk_fma_f32 v[42:43], v[30:31], v[26:27], v[42:43] op_sel_hi:[0,1,1]
	v_mov_b32_e32 v26, v57
	s_delay_alu instid0(VALU_DEP_1) | instskip(SKIP_1) | instid1(VALU_DEP_2)
	v_pk_fma_f32 v[46:47], v[100:101], v[26:27], v[58:59] op_sel_hi:[0,1,1]
	v_mov_b32_e32 v26, v53
	v_pk_fma_f32 v[40:41], v[40:41], v[28:29], v[46:47] op_sel_hi:[0,1,1]
	v_mov_b32_e32 v29, v53
	s_delay_alu instid0(VALU_DEP_2) | instskip(SKIP_1) | instid1(VALU_DEP_2)
	v_pk_fma_f32 v[40:41], v[102:103], v[26:27], v[40:41] op_sel_hi:[0,1,1]
	v_mov_b32_e32 v26, v49
	v_pk_fma_f32 v[40:41], v[102:103], v[28:29], v[40:41] op_sel:[1,0,0]
	v_mov_b32_e32 v29, v49
	s_delay_alu instid0(VALU_DEP_2) | instskip(SKIP_1) | instid1(VALU_DEP_2)
	v_pk_fma_f32 v[40:41], v[104:105], v[26:27], v[40:41] op_sel_hi:[0,1,1]
	v_mov_b32_e32 v26, v77
	v_pk_fma_f32 v[40:41], v[44:45], v[28:29], v[40:41] op_sel_hi:[0,1,1]
	v_mov_b32_e32 v29, v77
	s_delay_alu instid0(VALU_DEP_2) | instskip(SKIP_1) | instid1(VALU_DEP_2)
	v_pk_fma_f32 v[40:41], v[16:17], v[26:27], v[40:41] op_sel_hi:[0,1,1]
	v_mov_b32_e32 v26, v73
	v_pk_fma_f32 v[16:17], v[16:17], v[28:29], v[40:41] op_sel:[1,0,0]
	v_mov_b32_e32 v29, v73
	s_delay_alu instid0(VALU_DEP_2) | instskip(SKIP_1) | instid1(VALU_DEP_2)
	v_pk_fma_f32 v[16:17], v[18:19], v[26:27], v[16:17] op_sel_hi:[0,1,1]
	v_mov_b32_e32 v26, v69
	v_pk_fma_f32 v[16:17], v[60:61], v[28:29], v[16:17] op_sel_hi:[0,1,1]
	v_mov_b32_e32 v29, v66
	s_delay_alu instid0(VALU_DEP_2) | instskip(NEXT) | instid1(VALU_DEP_2)
	v_pk_fma_f32 v[40:41], v[30:31], v[26:27], v[16:17] op_sel_hi:[0,1,1]
	v_pk_fma_f32 v[16:17], v[30:31], v[28:29], v[98:99] op_sel:[1,0,0]
	v_dual_mov_b32 v26, v62 :: v_dual_mov_b32 v29, v62
	s_delay_alu instid0(VALU_DEP_1) | instskip(SKIP_1) | instid1(VALU_DEP_2)
	v_pk_fma_f32 v[16:17], v[32:33], v[26:27], v[16:17] op_sel_hi:[0,1,1]
	v_mov_b32_e32 v26, v82
	v_pk_fma_f32 v[16:17], v[94:95], v[28:29], v[16:17] op_sel_hi:[0,1,1]
	v_mov_b32_e32 v29, v82
	s_delay_alu instid0(VALU_DEP_2) | instskip(SKIP_1) | instid1(VALU_DEP_2)
	v_pk_fma_f32 v[16:17], v[34:35], v[26:27], v[16:17] op_sel_hi:[0,1,1]
	v_mov_b32_e32 v26, v78
	v_pk_fma_f32 v[16:17], v[34:35], v[28:29], v[16:17] op_sel:[1,0,0]
	v_mov_b32_e32 v29, v78
	s_delay_alu instid0(VALU_DEP_2) | instskip(SKIP_1) | instid1(VALU_DEP_2)
	v_pk_fma_f32 v[16:17], v[36:37], v[26:27], v[16:17] op_sel_hi:[0,1,1]
	v_mov_b32_e32 v26, v86
	v_pk_fma_f32 v[16:17], v[96:97], v[28:29], v[16:17] op_sel_hi:[0,1,1]
	v_mov_b32_e32 v29, v86
	s_delay_alu instid0(VALU_DEP_2) | instskip(SKIP_2) | instid1(VALU_DEP_2)
	v_pk_fma_f32 v[16:17], v[90:91], v[26:27], v[16:17] op_sel_hi:[0,1,1]
	s_wait_loadcnt 0x0
	v_mov_b32_e32 v26, v20
	v_pk_fma_f32 v[16:17], v[90:91], v[28:29], v[16:17] op_sel:[1,0,0]
	v_mov_b32_e32 v29, v20
	s_delay_alu instid0(VALU_DEP_2) | instskip(SKIP_1) | instid1(VALU_DEP_2)
	v_pk_fma_f32 v[16:17], v[92:93], v[26:27], v[16:17] op_sel_hi:[0,1,1]
	v_mov_b32_e32 v26, v63
	v_pk_fma_f32 v[16:17], v[106:107], v[28:29], v[16:17] op_sel_hi:[0,1,1]
	v_mov_b32_e32 v29, v67
	s_delay_alu instid0(VALU_DEP_1) | instskip(SKIP_1) | instid1(VALU_DEP_2)
	v_pk_fma_f32 v[18:19], v[30:31], v[28:29], v[38:39] op_sel:[1,0,0]
	v_mov_b32_e32 v29, v63
	v_pk_fma_f32 v[18:19], v[32:33], v[26:27], v[18:19] op_sel_hi:[0,1,1]
	v_mov_b32_e32 v26, v83
	s_delay_alu instid0(VALU_DEP_2) | instskip(SKIP_1) | instid1(VALU_DEP_2)
	v_pk_fma_f32 v[18:19], v[94:95], v[28:29], v[18:19] op_sel_hi:[0,1,1]
	v_mov_b32_e32 v29, v83
	v_pk_fma_f32 v[18:19], v[34:35], v[26:27], v[18:19] op_sel_hi:[0,1,1]
	v_mov_b32_e32 v26, v79
	s_delay_alu instid0(VALU_DEP_2) | instskip(SKIP_1) | instid1(VALU_DEP_2)
	v_pk_fma_f32 v[18:19], v[34:35], v[28:29], v[18:19] op_sel:[1,0,0]
	v_mov_b32_e32 v29, v79
	v_pk_fma_f32 v[18:19], v[36:37], v[26:27], v[18:19] op_sel_hi:[0,1,1]
	v_mov_b32_e32 v26, v87
	s_delay_alu instid0(VALU_DEP_2) | instskip(SKIP_1) | instid1(VALU_DEP_2)
	v_pk_fma_f32 v[18:19], v[96:97], v[28:29], v[18:19] op_sel_hi:[0,1,1]
	v_mov_b32_e32 v29, v87
	v_pk_fma_f32 v[18:19], v[90:91], v[26:27], v[18:19] op_sel_hi:[0,1,1]
	v_mov_b32_e32 v26, v21
	s_delay_alu instid0(VALU_DEP_2) | instskip(SKIP_1) | instid1(VALU_DEP_2)
	v_pk_fma_f32 v[18:19], v[90:91], v[28:29], v[18:19] op_sel:[1,0,0]
	v_mov_b32_e32 v29, v21
	v_pk_fma_f32 v[18:19], v[92:93], v[26:27], v[18:19] op_sel_hi:[0,1,1]
	v_mov_b32_e32 v26, v64
	s_delay_alu instid0(VALU_DEP_2) | instskip(SKIP_1) | instid1(VALU_DEP_1)
	v_pk_fma_f32 v[20:21], v[106:107], v[28:29], v[18:19] op_sel_hi:[0,1,1]
	v_mov_b32_e32 v29, v68
	v_pk_fma_f32 v[18:19], v[30:31], v[28:29], v[42:43] op_sel:[1,0,0]
	v_mov_b32_e32 v29, v64
	s_delay_alu instid0(VALU_DEP_2) | instskip(SKIP_1) | instid1(VALU_DEP_2)
	v_pk_fma_f32 v[18:19], v[32:33], v[26:27], v[18:19] op_sel_hi:[0,1,1]
	v_mov_b32_e32 v26, v84
	v_pk_fma_f32 v[18:19], v[94:95], v[28:29], v[18:19] op_sel_hi:[0,1,1]
	v_mov_b32_e32 v29, v84
	s_delay_alu instid0(VALU_DEP_2) | instskip(SKIP_1) | instid1(VALU_DEP_2)
	v_pk_fma_f32 v[18:19], v[34:35], v[26:27], v[18:19] op_sel_hi:[0,1,1]
	v_mov_b32_e32 v26, v80
	v_pk_fma_f32 v[18:19], v[34:35], v[28:29], v[18:19] op_sel:[1,0,0]
	v_mov_b32_e32 v29, v80
	s_delay_alu instid0(VALU_DEP_2) | instskip(SKIP_1) | instid1(VALU_DEP_2)
	v_pk_fma_f32 v[18:19], v[36:37], v[26:27], v[18:19] op_sel_hi:[0,1,1]
	v_mov_b32_e32 v26, v88
	v_pk_fma_f32 v[18:19], v[96:97], v[28:29], v[18:19] op_sel_hi:[0,1,1]
	v_mov_b32_e32 v29, v88
	s_delay_alu instid0(VALU_DEP_2) | instskip(SKIP_1) | instid1(VALU_DEP_2)
	v_pk_fma_f32 v[18:19], v[90:91], v[26:27], v[18:19] op_sel_hi:[0,1,1]
	v_mov_b32_e32 v26, v22
	v_pk_fma_f32 v[18:19], v[90:91], v[28:29], v[18:19] op_sel:[1,0,0]
	v_mov_b32_e32 v29, v22
	s_delay_alu instid0(VALU_DEP_2) | instskip(SKIP_1) | instid1(VALU_DEP_2)
	v_pk_fma_f32 v[18:19], v[92:93], v[26:27], v[18:19] op_sel_hi:[0,1,1]
	v_mov_b32_e32 v26, v65
	v_pk_fma_f32 v[18:19], v[106:107], v[28:29], v[18:19] op_sel_hi:[0,1,1]
	v_mov_b32_e32 v29, v69
	s_delay_alu instid0(VALU_DEP_1) | instskip(SKIP_1) | instid1(VALU_DEP_2)
	v_pk_fma_f32 v[30:31], v[30:31], v[28:29], v[40:41] op_sel:[1,0,0]
	v_mov_b32_e32 v29, v65
	v_pk_fma_f32 v[30:31], v[32:33], v[26:27], v[30:31] op_sel_hi:[0,1,1]
	v_mov_b32_e32 v26, v85
	s_delay_alu instid0(VALU_DEP_2) | instskip(SKIP_1) | instid1(VALU_DEP_2)
	v_pk_fma_f32 v[30:31], v[94:95], v[28:29], v[30:31] op_sel_hi:[0,1,1]
	v_mov_b32_e32 v29, v85
	v_pk_fma_f32 v[30:31], v[34:35], v[26:27], v[30:31] op_sel_hi:[0,1,1]
	v_mov_b32_e32 v26, v81
	s_delay_alu instid0(VALU_DEP_2) | instskip(SKIP_1) | instid1(VALU_DEP_2)
	v_pk_fma_f32 v[30:31], v[34:35], v[28:29], v[30:31] op_sel:[1,0,0]
	v_mov_b32_e32 v29, v81
	v_pk_fma_f32 v[30:31], v[36:37], v[26:27], v[30:31] op_sel_hi:[0,1,1]
	v_mov_b32_e32 v26, v89
	s_delay_alu instid0(VALU_DEP_2) | instskip(SKIP_1) | instid1(VALU_DEP_2)
	v_pk_fma_f32 v[30:31], v[96:97], v[28:29], v[30:31] op_sel_hi:[0,1,1]
	v_mov_b32_e32 v29, v89
	v_pk_fma_f32 v[30:31], v[90:91], v[26:27], v[30:31] op_sel_hi:[0,1,1]
	v_mov_b32_e32 v26, v23
	s_delay_alu instid0(VALU_DEP_2) | instskip(SKIP_1) | instid1(VALU_DEP_2)
	v_pk_fma_f32 v[30:31], v[90:91], v[28:29], v[30:31] op_sel:[1,0,0]
	v_mov_b32_e32 v29, v23
	v_pk_fma_f32 v[22:23], v[92:93], v[26:27], v[30:31] op_sel_hi:[0,1,1]
	s_delay_alu instid0(VALU_DEP_1)
	v_pk_fma_f32 v[22:23], v[106:107], v[28:29], v[22:23] op_sel_hi:[0,1,1]
	s_and_not1_b32 exec_lo, exec_lo, s7
	s_cbranch_execnz .LBB134_31
; %bb.32:
	s_or_b32 exec_lo, exec_lo, s7
.LBB134_33:
	s_delay_alu instid0(SALU_CYCLE_1)
	s_or_b32 exec_lo, exec_lo, s3
.LBB134_34:
	s_delay_alu instid0(SALU_CYCLE_1)
	s_or_b32 exec_lo, exec_lo, s6
.LBB134_35:
	v_mbcnt_lo_u32_b32 v1, -1, 0
	s_delay_alu instid0(VALU_DEP_1) | instskip(SKIP_1) | instid1(VALU_DEP_1)
	v_xor_b32_e32 v24, 16, v1
	v_or_b32_e32 v8, 32, v1
	v_cmp_gt_i32_e32 vcc_lo, 32, v8
	v_cndmask_b32_e32 v8, v1, v8, vcc_lo
	s_delay_alu instid0(VALU_DEP_1)
	v_lshlrev_b32_e32 v8, 2, v8
	ds_bpermute_b32 v10, v8, v17
	s_wait_dscnt 0x0
	v_add_f32_e32 v10, v17, v10
	ds_bpermute_b32 v11, v8, v20
	ds_bpermute_b32 v9, v8, v16
	;; [unrolled: 1-line block ×7, first 2 shown]
	s_wait_dscnt 0x6
	v_add_f32_e32 v11, v20, v11
	v_cmp_gt_i32_e32 vcc_lo, 32, v24
	s_wait_dscnt 0x3
	v_dual_add_f32 v9, v16, v9 :: v_dual_add_f32 v12, v21, v12
	s_wait_dscnt 0x1
	v_dual_add_f32 v14, v19, v14 :: v_dual_add_f32 v15, v22, v15
	s_wait_dscnt 0x0
	v_add_f32_e32 v8, v23, v8
	v_dual_cndmask_b32 v24, v1, v24 :: v_dual_add_f32 v13, v18, v13
	s_delay_alu instid0(VALU_DEP_1)
	v_lshlrev_b32_e32 v24, 2, v24
	ds_bpermute_b32 v16, v24, v9
	ds_bpermute_b32 v17, v24, v10
	;; [unrolled: 1-line block ×8, first 2 shown]
	s_wait_dscnt 0x7
	v_dual_add_f32 v9, v9, v16 :: v_dual_bitop2_b32 v24, 8, v1 bitop3:0x14
	s_delay_alu instid0(VALU_DEP_1)
	v_cmp_gt_i32_e32 vcc_lo, 32, v24
	s_wait_dscnt 0x4
	v_dual_add_f32 v10, v10, v17 :: v_dual_add_f32 v12, v12, v19
	s_wait_dscnt 0x2
	v_dual_add_f32 v13, v13, v20 :: v_dual_add_f32 v14, v14, v21
	s_wait_dscnt 0x1
	v_dual_add_f32 v15, v15, v22 :: v_dual_cndmask_b32 v24, v1, v24
	s_wait_dscnt 0x0
	v_dual_add_f32 v11, v11, v18 :: v_dual_add_f32 v8, v8, v23
	s_delay_alu instid0(VALU_DEP_2)
	v_lshlrev_b32_e32 v24, 2, v24
	ds_bpermute_b32 v16, v24, v9
	ds_bpermute_b32 v17, v24, v10
	;; [unrolled: 1-line block ×8, first 2 shown]
	v_xor_b32_e32 v24, 4, v1
	s_delay_alu instid0(VALU_DEP_1) | instskip(SKIP_4) | instid1(VALU_DEP_2)
	v_cmp_gt_i32_e32 vcc_lo, 32, v24
	v_cndmask_b32_e32 v24, v1, v24, vcc_lo
	s_wait_dscnt 0x6
	v_dual_add_f32 v9, v9, v16 :: v_dual_add_f32 v10, v10, v17
	s_wait_dscnt 0x5
	v_dual_add_f32 v11, v11, v18 :: v_dual_lshlrev_b32 v24, 2, v24
	s_wait_dscnt 0x3
	v_dual_add_f32 v12, v12, v19 :: v_dual_add_f32 v13, v13, v20
	s_wait_dscnt 0x1
	v_dual_add_f32 v14, v14, v21 :: v_dual_add_f32 v15, v15, v22
	s_wait_dscnt 0x0
	v_add_f32_e32 v8, v8, v23
	ds_bpermute_b32 v16, v24, v9
	ds_bpermute_b32 v17, v24, v10
	;; [unrolled: 1-line block ×8, first 2 shown]
	s_wait_dscnt 0x7
	v_dual_add_f32 v9, v9, v16 :: v_dual_bitop2_b32 v24, 2, v1 bitop3:0x14
	s_delay_alu instid0(VALU_DEP_1)
	v_cmp_gt_i32_e32 vcc_lo, 32, v24
	s_wait_dscnt 0x5
	v_dual_add_f32 v10, v10, v17 :: v_dual_add_f32 v11, v11, v18
	s_wait_dscnt 0x3
	v_dual_add_f32 v12, v12, v19 :: v_dual_add_f32 v13, v13, v20
	s_wait_dscnt 0x2
	v_dual_cndmask_b32 v24, v1, v24, vcc_lo :: v_dual_add_f32 v14, v14, v21
	s_wait_dscnt 0x0
	v_dual_add_f32 v15, v15, v22 :: v_dual_add_f32 v16, v8, v23
	s_delay_alu instid0(VALU_DEP_2)
	v_lshlrev_b32_e32 v24, 2, v24
	ds_bpermute_b32 v8, v24, v9
	ds_bpermute_b32 v17, v24, v10
	;; [unrolled: 1-line block ×8, first 2 shown]
	v_xor_b32_e32 v24, 1, v1
	s_delay_alu instid0(VALU_DEP_1)
	v_cmp_gt_i32_e32 vcc_lo, 32, v24
	v_cndmask_b32_e32 v1, v1, v24, vcc_lo
	v_cmp_eq_u32_e32 vcc_lo, 63, v0
	s_wait_dscnt 0x6
	v_dual_add_f32 v8, v9, v8 :: v_dual_add_f32 v9, v10, v17
	s_wait_dscnt 0x5
	v_dual_add_f32 v10, v11, v18 :: v_dual_lshlrev_b32 v24, 2, v1
	s_wait_dscnt 0x3
	v_dual_add_f32 v11, v12, v19 :: v_dual_add_f32 v12, v13, v20
	s_wait_dscnt 0x1
	v_dual_add_f32 v13, v14, v21 :: v_dual_add_f32 v15, v15, v22
	s_wait_dscnt 0x0
	v_add_f32_e32 v1, v16, v23
	ds_bpermute_b32 v14, v24, v8
	ds_bpermute_b32 v17, v24, v9
	ds_bpermute_b32 v18, v24, v10
	ds_bpermute_b32 v19, v24, v11
	ds_bpermute_b32 v21, v24, v12
	ds_bpermute_b32 v22, v24, v13
	ds_bpermute_b32 v23, v24, v15
	ds_bpermute_b32 v16, v24, v1
	s_and_b32 exec_lo, exec_lo, vcc_lo
	s_cbranch_execz .LBB134_6
; %bb.36:
	s_load_b64 s[0:1], s[0:1], 0x58
	s_wait_dscnt 0x6
	v_dual_add_f32 v0, v8, v14 :: v_dual_add_f32 v20, v9, v17
	s_wait_dscnt 0x4
	v_dual_add_f32 v8, v10, v18 :: v_dual_add_f32 v18, v11, v19
	;; [unrolled: 2-line block ×3, first 2 shown]
	s_wait_dscnt 0x1
	v_add_f32_e32 v12, v15, v23
	v_cmp_eq_f32_e32 vcc_lo, 0, v4
	v_lshlrev_b64_e32 v[22:23], 5, v[6:7]
	s_wait_dscnt 0x0
	v_add_f32_e32 v6, v1, v16
	v_xor_b32_e32 v16, 0x80000000, v3
	s_xor_b32 s2, s2, -1
	s_delay_alu instid0(SALU_CYCLE_1) | instskip(NEXT) | instid1(SALU_CYCLE_1)
	s_and_b32 s2, vcc_lo, s2
	s_and_saveexec_b32 s3, s2
	s_delay_alu instid0(SALU_CYCLE_1)
	s_xor_b32 s2, exec_lo, s3
	s_cbranch_execz .LBB134_38
; %bb.37:
	v_mov_b32_e32 v17, v2
	s_delay_alu instid0(VALU_DEP_1)
	v_pk_mul_f32 v[4:5], v[20:21], v[16:17] op_sel_hi:[0,1]
	v_pk_mul_f32 v[18:19], v[18:19], v[16:17] op_sel_hi:[0,1]
	v_pk_mul_f32 v[14:15], v[14:15], v[16:17] op_sel_hi:[0,1]
	v_pk_mul_f32 v[16:17], v[6:7], v[16:17] op_sel_hi:[0,1]
	s_wait_kmcnt 0x0
	v_add_nc_u64_e32 v[20:21], s[0:1], v[22:23]
	v_pk_fma_f32 v[4:5], v[2:3], v[0:1], v[4:5] op_sel_hi:[1,0,1]
	v_pk_fma_f32 v[6:7], v[2:3], v[8:9], v[18:19] op_sel_hi:[1,0,1]
	;; [unrolled: 1-line block ×4, first 2 shown]
                                        ; implicit-def: $vgpr8
                                        ; implicit-def: $vgpr18
                                        ; implicit-def: $vgpr10
                                        ; implicit-def: $vgpr14
                                        ; implicit-def: $vgpr12
                                        ; implicit-def: $vgpr16
                                        ; implicit-def: $vgpr22_vgpr23
	s_clause 0x1
	global_store_b128 v[20:21], v[4:7], off
	global_store_b128 v[20:21], v[0:3], off offset:16
                                        ; implicit-def: $vgpr0
                                        ; implicit-def: $vgpr20
                                        ; implicit-def: $vgpr6
                                        ; implicit-def: $vgpr2_vgpr3
                                        ; implicit-def: $vgpr4_vgpr5
.LBB134_38:
	s_wait_xcnt 0x0
	s_and_not1_saveexec_b32 s2, s2
	s_cbranch_execz .LBB134_6
; %bb.39:
	s_wait_kmcnt 0x0
	v_add_nc_u64_e32 v[30:31], s[0:1], v[22:23]
	v_dual_mov_b32 v17, v2 :: v_dual_mov_b32 v33, v4
	v_xor_b32_e32 v32, 0x80000000, v5
	s_clause 0x1
	global_load_b128 v[22:25], v[30:31], off
	global_load_b128 v[26:29], v[30:31], off offset:16
	v_pk_mul_f32 v[20:21], v[20:21], v[16:17] op_sel_hi:[0,1]
	v_pk_mul_f32 v[18:19], v[18:19], v[16:17] op_sel_hi:[0,1]
	;; [unrolled: 1-line block ×4, first 2 shown]
	s_delay_alu instid0(VALU_DEP_4) | instskip(NEXT) | instid1(VALU_DEP_4)
	v_pk_fma_f32 v[0:1], v[2:3], v[0:1], v[20:21] op_sel_hi:[1,0,1]
	v_pk_fma_f32 v[8:9], v[2:3], v[8:9], v[18:19] op_sel_hi:[1,0,1]
	s_delay_alu instid0(VALU_DEP_4) | instskip(NEXT) | instid1(VALU_DEP_4)
	v_pk_fma_f32 v[10:11], v[2:3], v[10:11], v[14:15] op_sel_hi:[1,0,1]
	v_pk_fma_f32 v[2:3], v[2:3], v[12:13], v[6:7] op_sel_hi:[1,0,1]
	s_wait_loadcnt 0x1
	v_pk_fma_f32 v[0:1], v[4:5], v[22:23], v[0:1] op_sel_hi:[1,0,1]
	v_pk_fma_f32 v[6:7], v[4:5], v[24:25], v[8:9] op_sel_hi:[1,0,1]
	s_wait_loadcnt 0x0
	v_dual_mov_b32 v8, v25 :: v_dual_mov_b32 v14, v29
	v_pk_fma_f32 v[10:11], v[4:5], v[26:27], v[10:11] op_sel_hi:[1,0,1]
	v_pk_fma_f32 v[12:13], v[4:5], v[28:29], v[2:3] op_sel_hi:[1,0,1]
	v_pk_fma_f32 v[0:1], v[32:33], v[22:23], v[0:1] op_sel:[0,1,0]
	s_delay_alu instid0(VALU_DEP_4) | instskip(NEXT) | instid1(VALU_DEP_4)
	v_pk_fma_f32 v[2:3], v[32:33], v[8:9], v[6:7] op_sel_hi:[1,0,1]
	v_pk_fma_f32 v[4:5], v[32:33], v[26:27], v[10:11] op_sel:[0,1,0]
	s_delay_alu instid0(VALU_DEP_4)
	v_pk_fma_f32 v[6:7], v[32:33], v[14:15], v[12:13] op_sel_hi:[1,0,1]
	s_clause 0x1
	global_store_b128 v[30:31], v[0:3], off
	global_store_b128 v[30:31], v[4:7], off offset:16
	s_sendmsg sendmsg(MSG_DEALLOC_VGPRS)
	s_endpgm
	.section	.rodata,"a",@progbits
	.p2align	6, 0x0
	.amdhsa_kernel _ZN9rocsparseL18bsrxmvn_4x4_kernelILj128ELj64E21rocsparse_complex_numIfEllfS2_S2_EEvT3_20rocsparse_direction_NS_24const_host_device_scalarIT1_EES3_PKS3_PKT2_SC_S9_PKT4_PKT5_S7_PT6_21rocsparse_index_base_b
		.amdhsa_group_segment_fixed_size 0
		.amdhsa_private_segment_fixed_size 0
		.amdhsa_kernarg_size 104
		.amdhsa_user_sgpr_count 2
		.amdhsa_user_sgpr_dispatch_ptr 0
		.amdhsa_user_sgpr_queue_ptr 0
		.amdhsa_user_sgpr_kernarg_segment_ptr 1
		.amdhsa_user_sgpr_dispatch_id 0
		.amdhsa_user_sgpr_kernarg_preload_length 0
		.amdhsa_user_sgpr_kernarg_preload_offset 0
		.amdhsa_user_sgpr_private_segment_size 0
		.amdhsa_wavefront_size32 1
		.amdhsa_uses_dynamic_stack 0
		.amdhsa_enable_private_segment 0
		.amdhsa_system_sgpr_workgroup_id_x 1
		.amdhsa_system_sgpr_workgroup_id_y 0
		.amdhsa_system_sgpr_workgroup_id_z 0
		.amdhsa_system_sgpr_workgroup_info 0
		.amdhsa_system_vgpr_workitem_id 0
		.amdhsa_next_free_vgpr 126
		.amdhsa_next_free_sgpr 14
		.amdhsa_named_barrier_count 0
		.amdhsa_reserve_vcc 1
		.amdhsa_float_round_mode_32 0
		.amdhsa_float_round_mode_16_64 0
		.amdhsa_float_denorm_mode_32 3
		.amdhsa_float_denorm_mode_16_64 3
		.amdhsa_fp16_overflow 0
		.amdhsa_memory_ordered 1
		.amdhsa_forward_progress 1
		.amdhsa_inst_pref_size 67
		.amdhsa_round_robin_scheduling 0
		.amdhsa_exception_fp_ieee_invalid_op 0
		.amdhsa_exception_fp_denorm_src 0
		.amdhsa_exception_fp_ieee_div_zero 0
		.amdhsa_exception_fp_ieee_overflow 0
		.amdhsa_exception_fp_ieee_underflow 0
		.amdhsa_exception_fp_ieee_inexact 0
		.amdhsa_exception_int_div_zero 0
	.end_amdhsa_kernel
	.section	.text._ZN9rocsparseL18bsrxmvn_4x4_kernelILj128ELj64E21rocsparse_complex_numIfEllfS2_S2_EEvT3_20rocsparse_direction_NS_24const_host_device_scalarIT1_EES3_PKS3_PKT2_SC_S9_PKT4_PKT5_S7_PT6_21rocsparse_index_base_b,"axG",@progbits,_ZN9rocsparseL18bsrxmvn_4x4_kernelILj128ELj64E21rocsparse_complex_numIfEllfS2_S2_EEvT3_20rocsparse_direction_NS_24const_host_device_scalarIT1_EES3_PKS3_PKT2_SC_S9_PKT4_PKT5_S7_PT6_21rocsparse_index_base_b,comdat
.Lfunc_end134:
	.size	_ZN9rocsparseL18bsrxmvn_4x4_kernelILj128ELj64E21rocsparse_complex_numIfEllfS2_S2_EEvT3_20rocsparse_direction_NS_24const_host_device_scalarIT1_EES3_PKS3_PKT2_SC_S9_PKT4_PKT5_S7_PT6_21rocsparse_index_base_b, .Lfunc_end134-_ZN9rocsparseL18bsrxmvn_4x4_kernelILj128ELj64E21rocsparse_complex_numIfEllfS2_S2_EEvT3_20rocsparse_direction_NS_24const_host_device_scalarIT1_EES3_PKS3_PKT2_SC_S9_PKT4_PKT5_S7_PT6_21rocsparse_index_base_b
                                        ; -- End function
	.set _ZN9rocsparseL18bsrxmvn_4x4_kernelILj128ELj64E21rocsparse_complex_numIfEllfS2_S2_EEvT3_20rocsparse_direction_NS_24const_host_device_scalarIT1_EES3_PKS3_PKT2_SC_S9_PKT4_PKT5_S7_PT6_21rocsparse_index_base_b.num_vgpr, 126
	.set _ZN9rocsparseL18bsrxmvn_4x4_kernelILj128ELj64E21rocsparse_complex_numIfEllfS2_S2_EEvT3_20rocsparse_direction_NS_24const_host_device_scalarIT1_EES3_PKS3_PKT2_SC_S9_PKT4_PKT5_S7_PT6_21rocsparse_index_base_b.num_agpr, 0
	.set _ZN9rocsparseL18bsrxmvn_4x4_kernelILj128ELj64E21rocsparse_complex_numIfEllfS2_S2_EEvT3_20rocsparse_direction_NS_24const_host_device_scalarIT1_EES3_PKS3_PKT2_SC_S9_PKT4_PKT5_S7_PT6_21rocsparse_index_base_b.numbered_sgpr, 14
	.set _ZN9rocsparseL18bsrxmvn_4x4_kernelILj128ELj64E21rocsparse_complex_numIfEllfS2_S2_EEvT3_20rocsparse_direction_NS_24const_host_device_scalarIT1_EES3_PKS3_PKT2_SC_S9_PKT4_PKT5_S7_PT6_21rocsparse_index_base_b.num_named_barrier, 0
	.set _ZN9rocsparseL18bsrxmvn_4x4_kernelILj128ELj64E21rocsparse_complex_numIfEllfS2_S2_EEvT3_20rocsparse_direction_NS_24const_host_device_scalarIT1_EES3_PKS3_PKT2_SC_S9_PKT4_PKT5_S7_PT6_21rocsparse_index_base_b.private_seg_size, 0
	.set _ZN9rocsparseL18bsrxmvn_4x4_kernelILj128ELj64E21rocsparse_complex_numIfEllfS2_S2_EEvT3_20rocsparse_direction_NS_24const_host_device_scalarIT1_EES3_PKS3_PKT2_SC_S9_PKT4_PKT5_S7_PT6_21rocsparse_index_base_b.uses_vcc, 1
	.set _ZN9rocsparseL18bsrxmvn_4x4_kernelILj128ELj64E21rocsparse_complex_numIfEllfS2_S2_EEvT3_20rocsparse_direction_NS_24const_host_device_scalarIT1_EES3_PKS3_PKT2_SC_S9_PKT4_PKT5_S7_PT6_21rocsparse_index_base_b.uses_flat_scratch, 1
	.set _ZN9rocsparseL18bsrxmvn_4x4_kernelILj128ELj64E21rocsparse_complex_numIfEllfS2_S2_EEvT3_20rocsparse_direction_NS_24const_host_device_scalarIT1_EES3_PKS3_PKT2_SC_S9_PKT4_PKT5_S7_PT6_21rocsparse_index_base_b.has_dyn_sized_stack, 0
	.set _ZN9rocsparseL18bsrxmvn_4x4_kernelILj128ELj64E21rocsparse_complex_numIfEllfS2_S2_EEvT3_20rocsparse_direction_NS_24const_host_device_scalarIT1_EES3_PKS3_PKT2_SC_S9_PKT4_PKT5_S7_PT6_21rocsparse_index_base_b.has_recursion, 0
	.set _ZN9rocsparseL18bsrxmvn_4x4_kernelILj128ELj64E21rocsparse_complex_numIfEllfS2_S2_EEvT3_20rocsparse_direction_NS_24const_host_device_scalarIT1_EES3_PKS3_PKT2_SC_S9_PKT4_PKT5_S7_PT6_21rocsparse_index_base_b.has_indirect_call, 0
	.section	.AMDGPU.csdata,"",@progbits
; Kernel info:
; codeLenInByte = 8556
; TotalNumSgprs: 16
; NumVgprs: 126
; ScratchSize: 0
; MemoryBound: 0
; FloatMode: 240
; IeeeMode: 1
; LDSByteSize: 0 bytes/workgroup (compile time only)
; SGPRBlocks: 0
; VGPRBlocks: 7
; NumSGPRsForWavesPerEU: 16
; NumVGPRsForWavesPerEU: 126
; NamedBarCnt: 0
; Occupancy: 8
; WaveLimiterHint : 1
; COMPUTE_PGM_RSRC2:SCRATCH_EN: 0
; COMPUTE_PGM_RSRC2:USER_SGPR: 2
; COMPUTE_PGM_RSRC2:TRAP_HANDLER: 0
; COMPUTE_PGM_RSRC2:TGID_X_EN: 1
; COMPUTE_PGM_RSRC2:TGID_Y_EN: 0
; COMPUTE_PGM_RSRC2:TGID_Z_EN: 0
; COMPUTE_PGM_RSRC2:TIDIG_COMP_CNT: 0
	.section	.text._ZN9rocsparseL18bsrxmvn_4x4_kernelILj128ELj4E21rocsparse_complex_numIdEiidS2_S2_EEvT3_20rocsparse_direction_NS_24const_host_device_scalarIT1_EES3_PKS3_PKT2_SC_S9_PKT4_PKT5_S7_PT6_21rocsparse_index_base_b,"axG",@progbits,_ZN9rocsparseL18bsrxmvn_4x4_kernelILj128ELj4E21rocsparse_complex_numIdEiidS2_S2_EEvT3_20rocsparse_direction_NS_24const_host_device_scalarIT1_EES3_PKS3_PKT2_SC_S9_PKT4_PKT5_S7_PT6_21rocsparse_index_base_b,comdat
	.globl	_ZN9rocsparseL18bsrxmvn_4x4_kernelILj128ELj4E21rocsparse_complex_numIdEiidS2_S2_EEvT3_20rocsparse_direction_NS_24const_host_device_scalarIT1_EES3_PKS3_PKT2_SC_S9_PKT4_PKT5_S7_PT6_21rocsparse_index_base_b ; -- Begin function _ZN9rocsparseL18bsrxmvn_4x4_kernelILj128ELj4E21rocsparse_complex_numIdEiidS2_S2_EEvT3_20rocsparse_direction_NS_24const_host_device_scalarIT1_EES3_PKS3_PKT2_SC_S9_PKT4_PKT5_S7_PT6_21rocsparse_index_base_b
	.p2align	8
	.type	_ZN9rocsparseL18bsrxmvn_4x4_kernelILj128ELj4E21rocsparse_complex_numIdEiidS2_S2_EEvT3_20rocsparse_direction_NS_24const_host_device_scalarIT1_EES3_PKS3_PKT2_SC_S9_PKT4_PKT5_S7_PT6_21rocsparse_index_base_b,@function
_ZN9rocsparseL18bsrxmvn_4x4_kernelILj128ELj4E21rocsparse_complex_numIdEiidS2_S2_EEvT3_20rocsparse_direction_NS_24const_host_device_scalarIT1_EES3_PKS3_PKT2_SC_S9_PKT4_PKT5_S7_PT6_21rocsparse_index_base_b: ; @_ZN9rocsparseL18bsrxmvn_4x4_kernelILj128ELj4E21rocsparse_complex_numIdEiidS2_S2_EEvT3_20rocsparse_direction_NS_24const_host_device_scalarIT1_EES3_PKS3_PKT2_SC_S9_PKT4_PKT5_S7_PT6_21rocsparse_index_base_b
; %bb.0:
	s_clause 0x1
	s_load_b64 s[12:13], s[0:1], 0x68
	s_load_b64 s[2:3], s[0:1], 0x8
	v_mov_b32_e32 v1, 0
	s_add_nc_u64 s[4:5], s[0:1], 8
	s_load_b64 s[6:7], s[0:1], 0x50
	s_wait_kmcnt 0x0
	s_bitcmp1_b32 s13, 0
	s_cselect_b32 s3, s5, s3
	s_cselect_b32 s2, s4, s2
	flat_load_b128 v[6:9], v1, s[2:3]
	s_wait_xcnt 0x0
	s_add_nc_u64 s[2:3], s[0:1], 0x50
	s_delay_alu instid0(SALU_CYCLE_1)
	s_cselect_b32 s3, s3, s7
	s_cselect_b32 s2, s2, s6
	flat_load_b128 v[2:5], v1, s[2:3]
	s_wait_loadcnt_dscnt 0x101
	v_cmp_eq_f64_e32 vcc_lo, 0, v[6:7]
	s_wait_xcnt 0x0
	v_cmp_eq_f64_e64 s2, 0, v[8:9]
	s_and_b32 s4, vcc_lo, s2
	s_mov_b32 s2, -1
	s_and_saveexec_b32 s3, s4
	s_cbranch_execz .LBB135_2
; %bb.1:
	s_wait_loadcnt_dscnt 0x0
	v_cmp_neq_f64_e32 vcc_lo, 1.0, v[2:3]
	v_cmp_neq_f64_e64 s2, 0, v[4:5]
	s_or_b32 s2, vcc_lo, s2
	s_delay_alu instid0(SALU_CYCLE_1)
	s_or_not1_b32 s2, s2, exec_lo
.LBB135_2:
	s_or_b32 exec_lo, exec_lo, s3
	s_and_saveexec_b32 s3, s2
	s_cbranch_execz .LBB135_8
; %bb.3:
	s_clause 0x1
	s_load_b64 s[4:5], s[0:1], 0x20
	s_load_b64 s[2:3], s[0:1], 0x0
	s_bfe_u32 s6, ttmp6, 0x4000c
	s_and_b32 s7, ttmp6, 15
	s_add_co_i32 s6, s6, 1
	s_getreg_b32 s8, hwreg(HW_REG_IB_STS2, 6, 4)
	s_mul_i32 s6, ttmp9, s6
	v_lshrrev_b32_e32 v1, 2, v0
	s_add_co_i32 s7, s7, s6
	s_cmp_eq_u32 s8, 0
	s_cselect_b32 s6, ttmp9, s7
	s_delay_alu instid0(VALU_DEP_1) | instid1(SALU_CYCLE_1)
	v_lshl_or_b32 v26, s6, 5, v1
	s_mov_b32 s6, 0
	s_wait_kmcnt 0x0
	s_cmp_lg_u64 s[4:5], 0
	s_cbranch_scc0 .LBB135_9
; %bb.4:
	s_load_b32 s6, s[0:1], 0x18
	s_mov_b32 s7, 0
                                        ; implicit-def: $vgpr1
	s_wait_kmcnt 0x0
	v_cmp_gt_i32_e32 vcc_lo, s6, v26
	s_mov_b32 s6, 0
	s_and_saveexec_b32 s8, vcc_lo
	s_delay_alu instid0(SALU_CYCLE_1)
	s_xor_b32 s8, exec_lo, s8
	s_cbranch_execz .LBB135_6
; %bb.5:
	global_load_b32 v1, v26, s[4:5] scale_offset
	s_mov_b32 s6, exec_lo
	s_wait_loadcnt 0x0
	v_subrev_nc_u32_e32 v1, s12, v1
.LBB135_6:
	s_or_b32 exec_lo, exec_lo, s8
	s_delay_alu instid0(SALU_CYCLE_1)
	s_and_b32 vcc_lo, exec_lo, s7
	s_cbranch_vccz .LBB135_10
.LBB135_7:
	v_cmp_gt_i32_e32 vcc_lo, s2, v26
	s_and_not1_b32 s2, s6, exec_lo
	s_and_b32 s4, vcc_lo, exec_lo
	s_delay_alu instid0(SALU_CYCLE_1) | instskip(NEXT) | instid1(SALU_CYCLE_1)
	s_or_b32 s6, s2, s4
	s_and_b32 exec_lo, exec_lo, s6
	s_cbranch_execnz .LBB135_11
.LBB135_8:
	s_sendmsg sendmsg(MSG_DEALLOC_VGPRS)
	s_endpgm
.LBB135_9:
                                        ; implicit-def: $vgpr1
	s_cbranch_execnz .LBB135_7
.LBB135_10:
	s_delay_alu instid0(VALU_DEP_1)
	v_mov_b32_e32 v26, v1
	s_and_b32 exec_lo, exec_lo, s6
	s_cbranch_execz .LBB135_8
.LBB135_11:
	s_load_b256 s[4:11], s[0:1], 0x28
	s_wait_kmcnt 0x0
	global_load_b32 v32, v26, s[4:5] scale_offset
	s_cmp_eq_u64 s[6:7], 0
	s_cselect_b32 vcc_lo, -1, 0
	v_ashrrev_i32_e32 v27, 31, v26
	s_cmp_eq_u32 s3, 1
	s_delay_alu instid0(VALU_DEP_1) | instskip(SKIP_1) | instid1(VALU_DEP_2)
	v_lshlrev_b64_e32 v[10:11], 2, v[26:27]
	v_and_b32_e32 v27, 3, v0
	v_add_nc_u64_e32 v[12:13], s[4:5], v[10:11]
	v_add_nc_u64_e32 v[10:11], s[6:7], v[10:11]
	s_wait_xcnt 0x0
	s_load_b64 s[4:5], s[0:1], 0x48
	s_delay_alu instid0(VALU_DEP_2) | instskip(NEXT) | instid1(VALU_DEP_1)
	v_add_nc_u64_e32 v[12:13], 4, v[12:13]
	v_cndmask_b32_e32 v11, v11, v13, vcc_lo
	s_wait_loadcnt 0x0
	v_subrev_nc_u32_e32 v0, s12, v32
	s_delay_alu instid0(VALU_DEP_1) | instskip(SKIP_2) | instid1(VALU_DEP_1)
	v_dual_cndmask_b32 v10, v10, v12, vcc_lo :: v_dual_add_nc_u32 v24, v0, v27
	global_load_b32 v10, v[10:11], off
	v_ashrrev_i32_e32 v25, 31, v24
	v_lshlrev_b64_e32 v[0:1], 7, v[24:25]
	s_delay_alu instid0(VALU_DEP_1) | instskip(SKIP_2) | instid1(VALU_DEP_1)
	v_add_nc_u64_e32 v[28:29], s[10:11], v[0:1]
	s_wait_loadcnt 0x0
	v_subrev_nc_u32_e32 v25, s12, v10
	v_cmp_lt_i32_e64 s2, v24, v25
	s_cbranch_scc1 .LBB135_23
; %bb.12:
	v_mov_b64_e32 v[0:1], 0
	v_mov_b64_e32 v[12:13], 0
	;; [unrolled: 1-line block ×8, first 2 shown]
	s_and_saveexec_b32 s3, s2
	s_cbranch_execz .LBB135_22
; %bb.13:
	v_add_nc_u32_e32 v0, v32, v27
	v_not_b32_e32 v1, v32
	v_mov_b64_e32 v[10:11], 0
	v_mov_b64_e32 v[20:21], 0
	;; [unrolled: 1-line block ×3, first 2 shown]
	v_subrev_nc_u32_e32 v0, s12, v0
	v_mov_b64_e32 v[18:19], 0
	v_mov_b64_e32 v[16:17], 0
	;; [unrolled: 1-line block ×4, first 2 shown]
	v_add_max_i32_e64 v0, v0, 4, v25
	v_mov_b64_e32 v[30:31], v[28:29]
	s_delay_alu instid0(VALU_DEP_2) | instskip(NEXT) | instid1(VALU_DEP_1)
	v_add3_u32 v0, s12, v0, v1
	v_sub_nc_u32_e32 v34, v0, v27
	v_mov_b64_e32 v[0:1], 0
	s_delay_alu instid0(VALU_DEP_2) | instskip(NEXT) | instid1(VALU_DEP_1)
	v_and_b32_e32 v33, 12, v34
	v_cmp_ne_u32_e32 vcc_lo, 12, v33
	v_mov_b32_e32 v33, v24
	s_and_saveexec_b32 s6, vcc_lo
	s_cbranch_execz .LBB135_17
; %bb.14:
	v_dual_mov_b32 v33, v24 :: v_dual_lshrrev_b32 v10, 2, v34
	v_mov_b64_e32 v[0:1], 0
	v_mov_b64_e32 v[12:13], 0
	;; [unrolled: 1-line block ×3, first 2 shown]
	s_delay_alu instid0(VALU_DEP_4)
	v_add_nc_u32_e32 v10, 1, v10
	v_mov_b64_e32 v[16:17], 0
	v_mov_b64_e32 v[18:19], 0
	;; [unrolled: 1-line block ×4, first 2 shown]
	v_and_b32_e32 v30, 3, v10
	v_mov_b64_e32 v[10:11], 0
	s_mov_b32 s7, 0
	s_delay_alu instid0(VALU_DEP_2)
	v_sub_nc_u32_e32 v35, 0, v30
	v_mov_b64_e32 v[30:31], v[28:29]
.LBB135_15:                             ; =>This Inner Loop Header: Depth=1
	global_load_b32 v68, v33, s[8:9] scale_offset
	s_clause 0x7
	global_load_b128 v[36:39], v[30:31], off offset:48
	global_load_b128 v[40:43], v[30:31], off offset:32
	;; [unrolled: 1-line block ×3, first 2 shown]
	global_load_b128 v[48:51], v[30:31], off
	global_load_b128 v[52:55], v[30:31], off offset:112
	global_load_b128 v[56:59], v[30:31], off offset:96
	;; [unrolled: 1-line block ×4, first 2 shown]
	s_wait_xcnt 0x0
	v_add_nc_u64_e32 v[30:31], 0x200, v[30:31]
	v_add_co_u32 v35, s10, v35, 1
	s_or_b32 s7, s10, s7
	v_add_nc_u32_e32 v33, 4, v33
	s_wait_loadcnt 0x8
	v_subrev_nc_u32_e32 v68, s12, v68
	s_delay_alu instid0(VALU_DEP_1)
	v_lshlrev_b32_e32 v84, 2, v68
	s_wait_kmcnt 0x0
	s_clause 0x3
	global_load_b128 v[68:71], v84, s[4:5] scale_offset
	global_load_b128 v[72:75], v84, s[4:5] offset:16 scale_offset
	global_load_b128 v[76:79], v84, s[4:5] offset:32 scale_offset
	;; [unrolled: 1-line block ×3, first 2 shown]
	s_wait_loadcnt 0x3
	v_fmac_f64_e32 v[12:13], v[48:49], v[68:69]
	v_fmac_f64_e32 v[0:1], 0, v[68:69]
	v_fmac_f64_e32 v[16:17], v[40:41], v[68:69]
	v_fmac_f64_e32 v[14:15], 0, v[68:69]
	v_fmac_f64_e32 v[22:23], v[64:65], v[68:69]
	v_fmac_f64_e32 v[18:19], 0, v[68:69]
	v_fmac_f64_e32 v[10:11], v[56:57], v[68:69]
	v_fmac_f64_e32 v[20:21], 0, v[68:69]
	v_fmac_f64_e32 v[12:13], 0x80000000, v[70:71]
	v_fmac_f64_e32 v[0:1], v[48:49], v[70:71]
	v_fmac_f64_e32 v[16:17], 0x80000000, v[70:71]
	v_fmac_f64_e32 v[14:15], v[40:41], v[70:71]
	v_fmac_f64_e32 v[22:23], 0x80000000, v[70:71]
	v_fmac_f64_e32 v[18:19], v[64:65], v[70:71]
	v_fmac_f64_e32 v[10:11], 0x80000000, v[70:71]
	v_fmac_f64_e32 v[20:21], v[56:57], v[70:71]
	s_wait_loadcnt 0x2
	v_fmac_f64_e32 v[12:13], v[50:51], v[72:73]
	v_fmac_f64_e32 v[0:1], 0, v[72:73]
	v_fmac_f64_e32 v[16:17], v[42:43], v[72:73]
	v_fmac_f64_e32 v[14:15], 0, v[72:73]
	v_fmac_f64_e32 v[22:23], v[66:67], v[72:73]
	v_fmac_f64_e32 v[18:19], 0, v[72:73]
	v_fmac_f64_e32 v[10:11], v[58:59], v[72:73]
	v_fmac_f64_e32 v[20:21], 0, v[72:73]
	v_fmac_f64_e32 v[12:13], 0x80000000, v[74:75]
	v_fmac_f64_e32 v[0:1], v[50:51], v[74:75]
	v_fmac_f64_e32 v[16:17], 0x80000000, v[74:75]
	v_fmac_f64_e32 v[14:15], v[42:43], v[74:75]
	v_fmac_f64_e32 v[22:23], 0x80000000, v[74:75]
	v_fmac_f64_e32 v[18:19], v[66:67], v[74:75]
	v_fmac_f64_e32 v[10:11], 0x80000000, v[74:75]
	v_fmac_f64_e32 v[20:21], v[58:59], v[74:75]
	;; [unrolled: 17-line block ×4, first 2 shown]
	s_and_not1_b32 exec_lo, exec_lo, s7
	s_cbranch_execnz .LBB135_15
; %bb.16:
	s_or_b32 exec_lo, exec_lo, s7
.LBB135_17:
	s_delay_alu instid0(SALU_CYCLE_1) | instskip(NEXT) | instid1(SALU_CYCLE_1)
	s_or_b32 exec_lo, exec_lo, s6
	s_mov_b32 s6, exec_lo
	v_cmpx_lt_u32_e32 11, v34
	s_cbranch_execz .LBB135_21
; %bb.18:
	s_mov_b32 s7, 0
.LBB135_19:                             ; =>This Inner Loop Header: Depth=1
	global_load_b32 v110, v33, s[8:9] scale_offset
	s_clause 0xf
	global_load_b128 v[34:37], v[30:31], off offset:48
	global_load_b128 v[38:41], v[30:31], off offset:32
	;; [unrolled: 1-line block ×3, first 2 shown]
	global_load_b128 v[46:49], v[30:31], off
	global_load_b128 v[50:53], v[30:31], off offset:112
	global_load_b128 v[54:57], v[30:31], off offset:96
	;; [unrolled: 1-line block ×12, first 2 shown]
	s_clause 0x2
	global_load_b32 v118, v33, s[8:9] offset:16 scale_offset
	global_load_b32 v119, v33, s[8:9] offset:32 scale_offset
	;; [unrolled: 1-line block ×3, first 2 shown]
	s_clause 0x2
	global_load_b128 v[98:101], v[30:31], off offset:1072
	global_load_b128 v[102:105], v[30:31], off offset:1056
	;; [unrolled: 1-line block ×3, first 2 shown]
	s_wait_xcnt 0x3
	v_add_nc_u32_e32 v33, 16, v33
	s_delay_alu instid0(VALU_DEP_1) | instskip(SKIP_3) | instid1(VALU_DEP_1)
	v_cmp_ge_i32_e32 vcc_lo, v33, v25
	s_or_b32 s7, vcc_lo, s7
	s_wait_loadcnt 0x16
	v_subrev_nc_u32_e32 v110, s12, v110
	v_lshlrev_b32_e32 v121, 2, v110
	s_wait_kmcnt 0x0
	s_clause 0x1
	global_load_b128 v[110:113], v121, s[4:5] scale_offset
	global_load_b128 v[114:117], v121, s[4:5] offset:16 scale_offset
	s_wait_loadcnt 0x1
	v_fmac_f64_e32 v[20:21], 0, v[110:111]
	v_fmac_f64_e32 v[10:11], v[54:55], v[110:111]
	;; [unrolled: 1-line block ×16, first 2 shown]
	global_load_b128 v[110:113], v[30:31], off offset:1024
	s_wait_loadcnt 0x1
	v_fmac_f64_e32 v[20:21], 0, v[114:115]
	v_fmac_f64_e32 v[10:11], v[56:57], v[114:115]
	;; [unrolled: 1-line block ×9, first 2 shown]
	global_load_b128 v[54:57], v121, s[4:5] offset:32 scale_offset
	v_fmac_f64_e32 v[0:1], v[48:49], v[116:117]
	v_fmac_f64_e32 v[12:13], 0x80000000, v[116:117]
	;; [unrolled: 1-line block ×7, first 2 shown]
	global_load_b128 v[114:117], v121, s[4:5] offset:48 scale_offset
	s_clause 0x2
	global_load_b128 v[38:41], v[30:31], off offset:1120
	global_load_b128 v[62:65], v[30:31], off offset:1104
	;; [unrolled: 1-line block ×3, first 2 shown]
	s_wait_loadcnt 0x4
	v_fmac_f64_e32 v[20:21], 0, v[54:55]
	v_fmac_f64_e32 v[10:11], v[50:51], v[54:55]
	v_fmac_f64_e32 v[0:1], 0, v[54:55]
	v_fmac_f64_e32 v[12:13], v[42:43], v[54:55]
	v_fmac_f64_e32 v[16:17], v[34:35], v[54:55]
	v_fmac_f64_e32 v[14:15], 0, v[54:55]
	v_fmac_f64_e32 v[22:23], v[58:59], v[54:55]
	v_fmac_f64_e32 v[18:19], 0, v[54:55]
	v_fmac_f64_e32 v[20:21], v[50:51], v[56:57]
	v_fmac_f64_e32 v[10:11], 0x80000000, v[56:57]
	v_subrev_nc_u32_e32 v50, s12, v118
	v_fmac_f64_e32 v[0:1], v[42:43], v[56:57]
	v_fmac_f64_e32 v[12:13], 0x80000000, v[56:57]
	;; [unrolled: 1-line block ×4, first 2 shown]
	v_lshlrev_b32_e32 v118, 2, v50
	v_fmac_f64_e32 v[22:23], 0x80000000, v[56:57]
	v_fmac_f64_e32 v[18:19], v[58:59], v[56:57]
	global_load_b128 v[54:57], v[30:31], off offset:1088
	s_wait_loadcnt 0x4
	v_fmac_f64_e32 v[20:21], 0, v[114:115]
	v_fmac_f64_e32 v[10:11], v[52:53], v[114:115]
	;; [unrolled: 1-line block ×9, first 2 shown]
	global_load_b128 v[50:53], v118, s[4:5] scale_offset
	v_fmac_f64_e32 v[10:11], 0x80000000, v[116:117]
	v_fmac_f64_e32 v[0:1], v[44:45], v[116:117]
	;; [unrolled: 1-line block ×5, first 2 shown]
	global_load_b128 v[42:45], v[30:31], off offset:1584
	v_fmac_f64_e32 v[22:23], 0x80000000, v[116:117]
	v_fmac_f64_e32 v[18:19], v[60:61], v[116:117]
	global_load_b128 v[114:117], v118, s[4:5] offset:16 scale_offset
	s_clause 0x1
	global_load_b128 v[34:37], v[30:31], off offset:1568
	global_load_b128 v[58:61], v[30:31], off offset:1552
	s_wait_loadcnt 0x4
	v_fmac_f64_e32 v[0:1], 0, v[50:51]
	v_fmac_f64_e32 v[12:13], v[78:79], v[50:51]
	;; [unrolled: 1-line block ×12, first 2 shown]
	v_subrev_nc_u32_e32 v70, s12, v119
	v_fmac_f64_e32 v[18:19], v[94:95], v[52:53]
	v_fmac_f64_e32 v[22:23], 0x80000000, v[52:53]
	;; [unrolled: 1-line block ×4, first 2 shown]
	v_lshlrev_b32_e32 v119, 2, v70
	global_load_b128 v[50:53], v[30:31], off offset:1536
	s_wait_loadcnt 0x3
	v_fmac_f64_e32 v[0:1], 0, v[114:115]
	v_fmac_f64_e32 v[12:13], v[80:81], v[114:115]
	v_fmac_f64_e32 v[14:15], 0, v[114:115]
	v_fmac_f64_e32 v[16:17], v[72:73], v[114:115]
	v_fmac_f64_e32 v[18:19], 0, v[114:115]
	v_fmac_f64_e32 v[22:23], v[96:97], v[114:115]
	v_fmac_f64_e32 v[20:21], 0, v[114:115]
	v_fmac_f64_e32 v[10:11], v[88:89], v[114:115]
	v_fmac_f64_e32 v[0:1], v[80:81], v[116:117]
	global_load_b128 v[78:81], v118, s[4:5] offset:32 scale_offset
	v_fmac_f64_e32 v[14:15], v[72:73], v[116:117]
	global_load_b128 v[70:73], v118, s[4:5] offset:48 scale_offset
	v_fmac_f64_e32 v[12:13], 0x80000000, v[116:117]
	v_fmac_f64_e32 v[18:19], v[96:97], v[116:117]
	global_load_b128 v[94:97], v119, s[4:5] scale_offset
	v_fmac_f64_e32 v[20:21], v[88:89], v[116:117]
	global_load_b128 v[86:89], v119, s[4:5] offset:16 scale_offset
	v_fmac_f64_e32 v[16:17], 0x80000000, v[116:117]
	v_fmac_f64_e32 v[22:23], 0x80000000, v[116:117]
	;; [unrolled: 1-line block ×3, first 2 shown]
	global_load_b128 v[114:117], v119, s[4:5] offset:32 scale_offset
	s_wait_loadcnt 0x4
	v_fmac_f64_e32 v[0:1], 0, v[78:79]
	v_fmac_f64_e32 v[12:13], v[74:75], v[78:79]
	;; [unrolled: 1-line block ×16, first 2 shown]
	v_subrev_nc_u32_e32 v82, s12, v120
	global_load_b128 v[78:81], v[30:31], off offset:1632
	s_wait_xcnt 0x4
	v_lshlrev_b32_e32 v118, 2, v82
	s_wait_loadcnt 0x4
	v_fmac_f64_e32 v[0:1], 0, v[70:71]
	v_fmac_f64_e32 v[12:13], v[76:77], v[70:71]
	;; [unrolled: 1-line block ×9, first 2 shown]
	global_load_b128 v[74:77], v119, s[4:5] offset:48 scale_offset
	v_fmac_f64_e32 v[14:15], v[68:69], v[72:73]
	global_load_b128 v[66:69], v[30:31], off offset:1600
	v_fmac_f64_e32 v[18:19], v[92:93], v[72:73]
	global_load_b128 v[90:93], v118, s[4:5] scale_offset
	v_fmac_f64_e32 v[12:13], 0x80000000, v[72:73]
	v_fmac_f64_e32 v[20:21], v[84:85], v[72:73]
	;; [unrolled: 1-line block ×5, first 2 shown]
	global_load_b128 v[70:73], v118, s[4:5] offset:16 scale_offset
	global_load_b128 v[82:85], v[30:31], off offset:1648
	s_wait_loadcnt 0x8
	v_fmac_f64_e32 v[0:1], 0, v[94:95]
	v_fmac_f64_e32 v[14:15], 0, v[94:95]
	v_fmac_f64_e32 v[18:19], 0, v[94:95]
	v_fmac_f64_e32 v[12:13], v[110:111], v[94:95]
	v_fmac_f64_e32 v[20:21], 0, v[94:95]
	v_fmac_f64_e32 v[16:17], v[102:103], v[94:95]
	v_fmac_f64_e32 v[22:23], v[54:55], v[94:95]
	v_fmac_f64_e32 v[10:11], v[38:39], v[94:95]
	v_fmac_f64_e32 v[0:1], v[110:111], v[96:97]
	v_fmac_f64_e32 v[14:15], v[102:103], v[96:97]
	v_fmac_f64_e32 v[18:19], v[54:55], v[96:97]
	v_fmac_f64_e32 v[12:13], 0x80000000, v[96:97]
	v_fmac_f64_e32 v[20:21], v[38:39], v[96:97]
	v_fmac_f64_e32 v[16:17], 0x80000000, v[96:97]
	v_fmac_f64_e32 v[22:23], 0x80000000, v[96:97]
	v_fmac_f64_e32 v[10:11], 0x80000000, v[96:97]
	global_load_b128 v[94:97], v[30:31], off offset:1616
	s_wait_xcnt 0x0
	v_add_nc_u64_e32 v[30:31], 0x800, v[30:31]
	s_wait_loadcnt 0x8
	v_fmac_f64_e32 v[0:1], 0, v[86:87]
	v_fmac_f64_e32 v[14:15], 0, v[86:87]
	;; [unrolled: 1-line block ×9, first 2 shown]
	global_load_b128 v[110:113], v118, s[4:5] offset:32 scale_offset
	v_fmac_f64_e32 v[14:15], v[104:105], v[88:89]
	v_fmac_f64_e32 v[18:19], v[56:57], v[88:89]
	;; [unrolled: 1-line block ×7, first 2 shown]
	global_load_b128 v[38:41], v118, s[4:5] offset:48 scale_offset
	s_wait_loadcnt 0x9
	v_fmac_f64_e32 v[0:1], 0, v[114:115]
	v_fmac_f64_e32 v[14:15], 0, v[114:115]
	v_fmac_f64_e32 v[18:19], 0, v[114:115]
	v_fmac_f64_e32 v[12:13], v[106:107], v[114:115]
	v_fmac_f64_e32 v[20:21], 0, v[114:115]
	v_fmac_f64_e32 v[16:17], v[98:99], v[114:115]
	v_fmac_f64_e32 v[22:23], v[62:63], v[114:115]
	v_fmac_f64_e32 v[10:11], v[46:47], v[114:115]
	v_fmac_f64_e32 v[0:1], v[106:107], v[116:117]
	v_fmac_f64_e32 v[14:15], v[98:99], v[116:117]
	v_fmac_f64_e32 v[18:19], v[62:63], v[116:117]
	v_fmac_f64_e32 v[12:13], 0x80000000, v[116:117]
	v_fmac_f64_e32 v[20:21], v[46:47], v[116:117]
	v_fmac_f64_e32 v[16:17], 0x80000000, v[116:117]
	v_fmac_f64_e32 v[22:23], 0x80000000, v[116:117]
	v_fmac_f64_e32 v[10:11], 0x80000000, v[116:117]
	s_wait_loadcnt 0x7
	v_fmac_f64_e32 v[12:13], v[108:109], v[74:75]
	v_fmac_f64_e32 v[0:1], 0, v[74:75]
	v_fmac_f64_e32 v[16:17], v[100:101], v[74:75]
	v_fmac_f64_e32 v[14:15], 0, v[74:75]
	v_fmac_f64_e32 v[22:23], v[64:65], v[74:75]
	v_fmac_f64_e32 v[18:19], 0, v[74:75]
	v_fmac_f64_e32 v[10:11], v[48:49], v[74:75]
	v_fmac_f64_e32 v[20:21], 0, v[74:75]
	v_fmac_f64_e32 v[12:13], 0x80000000, v[76:77]
	v_fmac_f64_e32 v[0:1], v[108:109], v[76:77]
	v_fmac_f64_e32 v[16:17], 0x80000000, v[76:77]
	v_fmac_f64_e32 v[14:15], v[100:101], v[76:77]
	v_fmac_f64_e32 v[22:23], 0x80000000, v[76:77]
	v_fmac_f64_e32 v[18:19], v[64:65], v[76:77]
	v_fmac_f64_e32 v[10:11], 0x80000000, v[76:77]
	v_fmac_f64_e32 v[20:21], v[48:49], v[76:77]
	;; [unrolled: 17-line block ×6, first 2 shown]
	s_and_not1_b32 exec_lo, exec_lo, s7
	s_cbranch_execnz .LBB135_19
; %bb.20:
	s_or_b32 exec_lo, exec_lo, s7
.LBB135_21:
	s_delay_alu instid0(SALU_CYCLE_1)
	s_or_b32 exec_lo, exec_lo, s6
.LBB135_22:
	s_delay_alu instid0(SALU_CYCLE_1)
	s_or_b32 exec_lo, exec_lo, s3
	s_cbranch_execz .LBB135_24
	s_branch .LBB135_35
.LBB135_23:
                                        ; implicit-def: $vgpr0_vgpr1
                                        ; implicit-def: $vgpr12_vgpr13
                                        ; implicit-def: $vgpr14_vgpr15
                                        ; implicit-def: $vgpr16_vgpr17
                                        ; implicit-def: $vgpr18_vgpr19
                                        ; implicit-def: $vgpr22_vgpr23
                                        ; implicit-def: $vgpr20_vgpr21
                                        ; implicit-def: $vgpr10_vgpr11
.LBB135_24:
	v_mov_b64_e32 v[0:1], 0
	v_mov_b64_e32 v[12:13], 0
	;; [unrolled: 1-line block ×8, first 2 shown]
	s_and_saveexec_b32 s3, s2
	s_cbranch_execz .LBB135_34
; %bb.25:
	v_add_nc_u32_e32 v0, v32, v27
	v_not_b32_e32 v1, v32
	v_mov_b64_e32 v[10:11], 0
	v_mov_b64_e32 v[20:21], 0
	;; [unrolled: 1-line block ×3, first 2 shown]
	v_subrev_nc_u32_e32 v0, s12, v0
	v_mov_b64_e32 v[18:19], 0
	v_mov_b64_e32 v[16:17], 0
	;; [unrolled: 1-line block ×4, first 2 shown]
	v_add_max_i32_e64 v0, v0, 4, v25
	s_mov_b32 s2, exec_lo
	s_delay_alu instid0(VALU_DEP_1) | instskip(NEXT) | instid1(VALU_DEP_1)
	v_add3_u32 v0, s12, v0, v1
	v_sub_nc_u32_e32 v30, v0, v27
	v_mov_b64_e32 v[0:1], 0
	s_delay_alu instid0(VALU_DEP_2) | instskip(NEXT) | instid1(VALU_DEP_1)
	v_and_b32_e32 v31, 12, v30
	v_cmpx_ne_u32_e32 12, v31
	s_cbranch_execz .LBB135_29
; %bb.26:
	v_lshrrev_b32_e32 v0, 2, v30
	v_mov_b64_e32 v[12:13], 0
	v_mov_b64_e32 v[14:15], 0
	;; [unrolled: 1-line block ×4, first 2 shown]
	v_add_nc_u32_e32 v10, 1, v0
	v_mov_b64_e32 v[0:1], 0
	v_mov_b64_e32 v[22:23], 0
	;; [unrolled: 1-line block ×3, first 2 shown]
	s_mov_b32 s6, 0
	v_and_b32_e32 v31, 3, v10
	v_mov_b64_e32 v[10:11], 0
	s_delay_alu instid0(VALU_DEP_2)
	v_sub_nc_u32_e32 v31, 0, v31
.LBB135_27:                             ; =>This Inner Loop Header: Depth=1
	global_load_b32 v40, v24, s[8:9] scale_offset
	s_clause 0x1
	global_load_b128 v[32:35], v[28:29], off offset:16
	global_load_b128 v[36:39], v[28:29], off
	s_wait_xcnt 0x2
	v_add_nc_u32_e32 v24, 4, v24
	v_add_co_u32 v31, s7, v31, 1
	s_or_b32 s6, s7, s6
	s_wait_loadcnt 0x2
	v_subrev_nc_u32_e32 v40, s12, v40
	s_delay_alu instid0(VALU_DEP_1)
	v_lshlrev_b32_e32 v80, 2, v40
	s_wait_kmcnt 0x0
	s_clause 0x1
	global_load_b128 v[40:43], v80, s[4:5] scale_offset
	global_load_b128 v[44:47], v80, s[4:5] offset:16 scale_offset
	s_clause 0x3
	global_load_b128 v[48:51], v[28:29], off offset:32
	global_load_b128 v[52:55], v[28:29], off offset:48
	;; [unrolled: 1-line block ×4, first 2 shown]
	s_clause 0x1
	global_load_b128 v[64:67], v80, s[4:5] offset:32 scale_offset
	global_load_b128 v[68:71], v80, s[4:5] offset:48 scale_offset
	s_clause 0x1
	global_load_b128 v[72:75], v[28:29], off offset:96
	global_load_b128 v[76:79], v[28:29], off offset:112
	s_wait_xcnt 0x0
	v_add_nc_u64_e32 v[28:29], 0x200, v[28:29]
	s_wait_loadcnt 0x9
	v_fmac_f64_e32 v[12:13], v[36:37], v[40:41]
	v_fmac_f64_e32 v[0:1], 0, v[40:41]
	;; [unrolled: 1-line block ×16, first 2 shown]
	s_wait_loadcnt 0x7
	v_fmac_f64_e32 v[12:13], v[48:49], v[44:45]
	v_fmac_f64_e32 v[0:1], 0, v[44:45]
	;; [unrolled: 1-line block ×4, first 2 shown]
	s_wait_loadcnt 0x6
	v_fmac_f64_e32 v[22:23], v[52:53], v[44:45]
	v_fmac_f64_e32 v[18:19], 0, v[44:45]
	;; [unrolled: 1-line block ×12, first 2 shown]
	s_wait_loadcnt 0x3
	v_fmac_f64_e32 v[12:13], v[60:61], v[64:65]
	v_fmac_f64_e32 v[0:1], 0, v[64:65]
	;; [unrolled: 1-line block ×16, first 2 shown]
	s_wait_loadcnt 0x1
	v_fmac_f64_e32 v[12:13], v[72:73], v[68:69]
	v_fmac_f64_e32 v[0:1], 0, v[68:69]
	;; [unrolled: 1-line block ×4, first 2 shown]
	s_wait_loadcnt 0x0
	v_fmac_f64_e32 v[22:23], v[76:77], v[68:69]
	v_fmac_f64_e32 v[18:19], 0, v[68:69]
	;; [unrolled: 1-line block ×12, first 2 shown]
	s_and_not1_b32 exec_lo, exec_lo, s6
	s_cbranch_execnz .LBB135_27
; %bb.28:
	s_or_b32 exec_lo, exec_lo, s6
.LBB135_29:
	s_delay_alu instid0(SALU_CYCLE_1) | instskip(NEXT) | instid1(SALU_CYCLE_1)
	s_or_b32 exec_lo, exec_lo, s2
	s_mov_b32 s2, exec_lo
	v_cmpx_lt_u32_e32 11, v30
	s_cbranch_execz .LBB135_33
; %bb.30:
	s_mov_b32 s6, 0
.LBB135_31:                             ; =>This Inner Loop Header: Depth=1
	s_clause 0x1
	global_load_b32 v38, v24, s[8:9] scale_offset
	global_load_b32 v86, v24, s[8:9] offset:16 scale_offset
	s_clause 0x1
	global_load_b128 v[30:33], v[28:29], off offset:16
	global_load_b128 v[34:37], v[28:29], off
	s_clause 0x1
	global_load_b32 v102, v24, s[8:9] offset:32 scale_offset
	global_load_b32 v103, v24, s[8:9] offset:48 scale_offset
	s_wait_xcnt 0x0
	v_add_nc_u32_e32 v24, 16, v24
	s_delay_alu instid0(VALU_DEP_1)
	v_cmp_ge_i32_e32 vcc_lo, v24, v25
	s_or_b32 s6, vcc_lo, s6
	s_wait_loadcnt 0x5
	v_subrev_nc_u32_e32 v38, s12, v38
	s_wait_loadcnt 0x4
	v_subrev_nc_u32_e32 v86, s12, v86
	s_delay_alu instid0(VALU_DEP_2)
	v_lshlrev_b32_e32 v87, 2, v38
	s_wait_kmcnt 0x0
	global_load_b128 v[38:41], v87, s[4:5] scale_offset
	s_clause 0x1
	global_load_b128 v[42:45], v[28:29], off offset:48
	global_load_b128 v[46:49], v[28:29], off offset:32
	global_load_b128 v[50:53], v87, s[4:5] offset:16 scale_offset
	s_clause 0x1
	global_load_b128 v[54:57], v[28:29], off offset:80
	global_load_b128 v[58:61], v[28:29], off offset:64
	global_load_b128 v[62:65], v87, s[4:5] offset:32 scale_offset
	s_clause 0x1
	global_load_b128 v[66:69], v[28:29], off offset:112
	global_load_b128 v[70:73], v[28:29], off offset:96
	global_load_b128 v[74:77], v87, s[4:5] offset:48 scale_offset
	s_clause 0x1
	global_load_b128 v[78:81], v[28:29], off offset:528
	global_load_b128 v[82:85], v[28:29], off offset:512
	v_lshlrev_b32_e32 v104, 2, v86
	global_load_b128 v[86:89], v104, s[4:5] scale_offset
	s_clause 0x1
	global_load_b128 v[90:93], v[28:29], off offset:560
	global_load_b128 v[94:97], v[28:29], off offset:544
	global_load_b128 v[98:101], v104, s[4:5] offset:16 scale_offset
	s_wait_loadcnt 0xf
	v_fmac_f64_e32 v[12:13], v[34:35], v[38:39]
	v_fmac_f64_e32 v[0:1], 0, v[38:39]
	v_fmac_f64_e32 v[16:17], v[36:37], v[38:39]
	v_fmac_f64_e32 v[14:15], 0, v[38:39]
	v_fmac_f64_e32 v[22:23], v[30:31], v[38:39]
	v_fmac_f64_e32 v[18:19], 0, v[38:39]
	v_fmac_f64_e32 v[10:11], v[32:33], v[38:39]
	v_fmac_f64_e32 v[20:21], 0, v[38:39]
	v_fmac_f64_e32 v[12:13], 0x80000000, v[40:41]
	v_fmac_f64_e32 v[0:1], v[34:35], v[40:41]
	v_fmac_f64_e32 v[16:17], 0x80000000, v[40:41]
	v_fmac_f64_e32 v[14:15], v[36:37], v[40:41]
	v_fmac_f64_e32 v[22:23], 0x80000000, v[40:41]
	v_fmac_f64_e32 v[18:19], v[30:31], v[40:41]
	v_fmac_f64_e32 v[10:11], 0x80000000, v[40:41]
	v_fmac_f64_e32 v[20:21], v[32:33], v[40:41]
	s_clause 0x1
	global_load_b128 v[30:33], v[28:29], off offset:592
	global_load_b128 v[34:37], v[28:29], off offset:576
	global_load_b128 v[38:41], v104, s[4:5] offset:32 scale_offset
	s_wait_loadcnt 0xf
	v_fmac_f64_e32 v[12:13], v[46:47], v[50:51]
	v_fmac_f64_e32 v[0:1], 0, v[50:51]
	;; [unrolled: 1-line block ×16, first 2 shown]
	s_clause 0x1
	global_load_b128 v[42:45], v[28:29], off offset:624
	global_load_b128 v[46:49], v[28:29], off offset:608
	global_load_b128 v[50:53], v104, s[4:5] offset:48 scale_offset
	s_wait_loadcnt 0xf
	v_fmac_f64_e32 v[12:13], v[58:59], v[62:63]
	v_fmac_f64_e32 v[0:1], 0, v[62:63]
	;; [unrolled: 1-line block ×8, first 2 shown]
	v_subrev_nc_u32_e32 v62, s12, v102
	s_delay_alu instid0(VALU_DEP_1)
	v_lshlrev_b32_e32 v102, 2, v62
	v_fmac_f64_e32 v[12:13], 0x80000000, v[64:65]
	v_fmac_f64_e32 v[0:1], v[58:59], v[64:65]
	;; [unrolled: 1-line block ×8, first 2 shown]
	s_clause 0x1
	global_load_b128 v[54:57], v[28:29], off offset:1040
	global_load_b128 v[58:61], v[28:29], off offset:1024
	global_load_b128 v[62:65], v102, s[4:5] scale_offset
	s_wait_loadcnt 0xf
	v_fmac_f64_e32 v[12:13], v[70:71], v[74:75]
	v_fmac_f64_e32 v[0:1], 0, v[74:75]
	v_fmac_f64_e32 v[16:17], v[72:73], v[74:75]
	v_fmac_f64_e32 v[14:15], 0, v[74:75]
	v_fmac_f64_e32 v[22:23], v[66:67], v[74:75]
	v_fmac_f64_e32 v[18:19], 0, v[74:75]
	v_fmac_f64_e32 v[10:11], v[68:69], v[74:75]
	v_fmac_f64_e32 v[20:21], 0, v[74:75]
	v_fmac_f64_e32 v[12:13], 0x80000000, v[76:77]
	v_fmac_f64_e32 v[0:1], v[70:71], v[76:77]
	v_fmac_f64_e32 v[16:17], 0x80000000, v[76:77]
	v_fmac_f64_e32 v[14:15], v[72:73], v[76:77]
	v_fmac_f64_e32 v[22:23], 0x80000000, v[76:77]
	v_fmac_f64_e32 v[18:19], v[66:67], v[76:77]
	v_fmac_f64_e32 v[10:11], 0x80000000, v[76:77]
	v_fmac_f64_e32 v[20:21], v[68:69], v[76:77]
	s_clause 0x1
	global_load_b128 v[66:69], v[28:29], off offset:1072
	global_load_b128 v[70:73], v[28:29], off offset:1056
	global_load_b128 v[74:77], v102, s[4:5] offset:16 scale_offset
	s_wait_loadcnt 0xf
	v_fmac_f64_e32 v[12:13], v[82:83], v[86:87]
	v_fmac_f64_e32 v[0:1], 0, v[86:87]
	v_fmac_f64_e32 v[16:17], v[84:85], v[86:87]
	v_fmac_f64_e32 v[14:15], 0, v[86:87]
	v_fmac_f64_e32 v[22:23], v[78:79], v[86:87]
	v_fmac_f64_e32 v[18:19], 0, v[86:87]
	v_fmac_f64_e32 v[10:11], v[80:81], v[86:87]
	v_fmac_f64_e32 v[20:21], 0, v[86:87]
	v_fmac_f64_e32 v[12:13], 0x80000000, v[88:89]
	v_fmac_f64_e32 v[0:1], v[82:83], v[88:89]
	v_fmac_f64_e32 v[16:17], 0x80000000, v[88:89]
	v_fmac_f64_e32 v[14:15], v[84:85], v[88:89]
	v_fmac_f64_e32 v[22:23], 0x80000000, v[88:89]
	v_fmac_f64_e32 v[18:19], v[78:79], v[88:89]
	v_fmac_f64_e32 v[10:11], 0x80000000, v[88:89]
	v_fmac_f64_e32 v[20:21], v[80:81], v[88:89]
	s_clause 0x1
	global_load_b128 v[78:81], v[28:29], off offset:1104
	global_load_b128 v[82:85], v[28:29], off offset:1088
	global_load_b128 v[86:89], v102, s[4:5] offset:32 scale_offset
	;; [unrolled: 21-line block ×3, first 2 shown]
	s_wait_loadcnt 0xf
	v_fmac_f64_e32 v[12:13], v[34:35], v[38:39]
	v_fmac_f64_e32 v[0:1], 0, v[38:39]
	v_fmac_f64_e32 v[16:17], v[36:37], v[38:39]
	v_fmac_f64_e32 v[14:15], 0, v[38:39]
	v_fmac_f64_e32 v[22:23], v[30:31], v[38:39]
	v_fmac_f64_e32 v[18:19], 0, v[38:39]
	v_fmac_f64_e32 v[10:11], v[32:33], v[38:39]
	v_fmac_f64_e32 v[20:21], 0, v[38:39]
	v_subrev_nc_u32_e32 v38, s12, v103
	s_delay_alu instid0(VALU_DEP_1)
	v_lshlrev_b32_e32 v106, 2, v38
	v_fmac_f64_e32 v[12:13], 0x80000000, v[40:41]
	v_fmac_f64_e32 v[0:1], v[34:35], v[40:41]
	;; [unrolled: 1-line block ×8, first 2 shown]
	s_clause 0x1
	global_load_b128 v[30:33], v[28:29], off offset:1552
	global_load_b128 v[34:37], v[28:29], off offset:1536
	s_clause 0x1
	global_load_b128 v[38:41], v106, s[4:5] offset:16 scale_offset
	global_load_b128 v[102:105], v106, s[4:5] scale_offset
	s_wait_loadcnt 0x10
	v_fmac_f64_e32 v[12:13], v[46:47], v[50:51]
	v_fmac_f64_e32 v[0:1], 0, v[50:51]
	;; [unrolled: 1-line block ×16, first 2 shown]
	s_clause 0x1
	global_load_b128 v[42:45], v[28:29], off offset:1584
	global_load_b128 v[46:49], v[28:29], off offset:1568
	s_wait_loadcnt 0xf
	v_fmac_f64_e32 v[12:13], v[58:59], v[62:63]
	v_fmac_f64_e32 v[0:1], 0, v[62:63]
	v_fmac_f64_e32 v[16:17], v[60:61], v[62:63]
	v_fmac_f64_e32 v[14:15], 0, v[62:63]
	v_fmac_f64_e32 v[22:23], v[54:55], v[62:63]
	v_fmac_f64_e32 v[18:19], 0, v[62:63]
	v_fmac_f64_e32 v[10:11], v[56:57], v[62:63]
	v_fmac_f64_e32 v[20:21], 0, v[62:63]
	v_fmac_f64_e32 v[12:13], 0x80000000, v[64:65]
	v_fmac_f64_e32 v[0:1], v[58:59], v[64:65]
	v_fmac_f64_e32 v[16:17], 0x80000000, v[64:65]
	v_fmac_f64_e32 v[14:15], v[60:61], v[64:65]
	v_fmac_f64_e32 v[22:23], 0x80000000, v[64:65]
	v_fmac_f64_e32 v[18:19], v[54:55], v[64:65]
	v_fmac_f64_e32 v[10:11], 0x80000000, v[64:65]
	v_fmac_f64_e32 v[20:21], v[56:57], v[64:65]
	s_clause 0x1
	global_load_b128 v[50:53], v[28:29], off offset:1616
	global_load_b128 v[54:57], v[28:29], off offset:1600
	s_clause 0x1
	global_load_b128 v[58:61], v106, s[4:5] offset:48 scale_offset
	global_load_b128 v[62:65], v106, s[4:5] offset:32 scale_offset
	s_wait_loadcnt 0x10
	v_fmac_f64_e32 v[12:13], v[70:71], v[74:75]
	v_fmac_f64_e32 v[0:1], 0, v[74:75]
	;; [unrolled: 1-line block ×16, first 2 shown]
	s_clause 0x1
	global_load_b128 v[66:69], v[28:29], off offset:1632
	global_load_b128 v[70:73], v[28:29], off offset:1648
	s_wait_xcnt 0x0
	v_add_nc_u64_e32 v[28:29], 0x800, v[28:29]
	s_wait_loadcnt 0xf
	v_fmac_f64_e32 v[12:13], v[82:83], v[86:87]
	v_fmac_f64_e32 v[0:1], 0, v[86:87]
	v_fmac_f64_e32 v[16:17], v[84:85], v[86:87]
	v_fmac_f64_e32 v[14:15], 0, v[86:87]
	v_fmac_f64_e32 v[22:23], v[78:79], v[86:87]
	v_fmac_f64_e32 v[18:19], 0, v[86:87]
	v_fmac_f64_e32 v[10:11], v[80:81], v[86:87]
	v_fmac_f64_e32 v[20:21], 0, v[86:87]
	v_fmac_f64_e32 v[12:13], 0x80000000, v[88:89]
	v_fmac_f64_e32 v[0:1], v[82:83], v[88:89]
	v_fmac_f64_e32 v[16:17], 0x80000000, v[88:89]
	v_fmac_f64_e32 v[14:15], v[84:85], v[88:89]
	v_fmac_f64_e32 v[22:23], 0x80000000, v[88:89]
	v_fmac_f64_e32 v[18:19], v[78:79], v[88:89]
	v_fmac_f64_e32 v[10:11], 0x80000000, v[88:89]
	v_fmac_f64_e32 v[20:21], v[80:81], v[88:89]
	s_wait_loadcnt 0xc
	v_fmac_f64_e32 v[12:13], v[90:91], v[98:99]
	v_fmac_f64_e32 v[0:1], 0, v[98:99]
	v_fmac_f64_e32 v[16:17], v[92:93], v[98:99]
	v_fmac_f64_e32 v[14:15], 0, v[98:99]
	v_fmac_f64_e32 v[22:23], v[94:95], v[98:99]
	v_fmac_f64_e32 v[18:19], 0, v[98:99]
	v_fmac_f64_e32 v[10:11], v[96:97], v[98:99]
	v_fmac_f64_e32 v[20:21], 0, v[98:99]
	v_fmac_f64_e32 v[12:13], 0x80000000, v[100:101]
	v_fmac_f64_e32 v[0:1], v[90:91], v[100:101]
	v_fmac_f64_e32 v[16:17], 0x80000000, v[100:101]
	v_fmac_f64_e32 v[14:15], v[92:93], v[100:101]
	v_fmac_f64_e32 v[22:23], 0x80000000, v[100:101]
	v_fmac_f64_e32 v[18:19], v[94:95], v[100:101]
	v_fmac_f64_e32 v[10:11], 0x80000000, v[100:101]
	v_fmac_f64_e32 v[20:21], v[96:97], v[100:101]
	;; [unrolled: 17-line block ×5, first 2 shown]
	s_wait_loadcnt 0x1
	v_fmac_f64_e32 v[12:13], v[66:67], v[58:59]
	v_fmac_f64_e32 v[0:1], 0, v[58:59]
	;; [unrolled: 1-line block ×4, first 2 shown]
	s_wait_loadcnt 0x0
	v_fmac_f64_e32 v[22:23], v[70:71], v[58:59]
	v_fmac_f64_e32 v[18:19], 0, v[58:59]
	v_fmac_f64_e32 v[10:11], v[72:73], v[58:59]
	v_fmac_f64_e32 v[20:21], 0, v[58:59]
	v_fmac_f64_e32 v[12:13], 0x80000000, v[60:61]
	v_fmac_f64_e32 v[0:1], v[66:67], v[60:61]
	v_fmac_f64_e32 v[16:17], 0x80000000, v[60:61]
	v_fmac_f64_e32 v[14:15], v[68:69], v[60:61]
	v_fmac_f64_e32 v[22:23], 0x80000000, v[60:61]
	v_fmac_f64_e32 v[18:19], v[70:71], v[60:61]
	v_fmac_f64_e32 v[10:11], 0x80000000, v[60:61]
	v_fmac_f64_e32 v[20:21], v[72:73], v[60:61]
	s_and_not1_b32 exec_lo, exec_lo, s6
	s_cbranch_execnz .LBB135_31
; %bb.32:
	s_or_b32 exec_lo, exec_lo, s6
.LBB135_33:
	s_delay_alu instid0(SALU_CYCLE_1)
	s_or_b32 exec_lo, exec_lo, s2
.LBB135_34:
	s_delay_alu instid0(SALU_CYCLE_1)
	s_or_b32 exec_lo, exec_lo, s3
.LBB135_35:
	v_mbcnt_lo_u32_b32 v42, -1, 0
	s_delay_alu instid0(VALU_DEP_1) | instskip(NEXT) | instid1(VALU_DEP_1)
	v_xor_b32_e32 v24, 2, v42
	v_cmp_gt_i32_e32 vcc_lo, 32, v24
	v_cndmask_b32_e32 v24, v42, v24, vcc_lo
	s_delay_alu instid0(VALU_DEP_1)
	v_lshlrev_b32_e32 v41, 2, v24
	ds_bpermute_b32 v24, v41, v12
	ds_bpermute_b32 v25, v41, v13
	;; [unrolled: 1-line block ×6, first 2 shown]
	s_wait_dscnt 0x4
	v_add_f64_e32 v[12:13], v[12:13], v[24:25]
	s_wait_dscnt 0x2
	v_add_f64_e32 v[24:25], v[14:15], v[32:33]
	;; [unrolled: 2-line block ×3, first 2 shown]
	ds_bpermute_b32 v28, v41, v0
	ds_bpermute_b32 v29, v41, v1
	;; [unrolled: 1-line block ×10, first 2 shown]
	s_wait_dscnt 0x8
	v_add_f64_e32 v[28:29], v[0:1], v[28:29]
	s_wait_dscnt 0x6
	v_add_f64_e32 v[0:1], v[16:17], v[30:31]
	;; [unrolled: 2-line block ×3, first 2 shown]
	s_wait_dscnt 0x0
	v_dual_add_f64 v[16:17], v[20:21], v[40:41] :: v_dual_bitop2_b32 v20, 1, v42 bitop3:0x14
	s_delay_alu instid0(VALU_DEP_1) | instskip(SKIP_3) | instid1(VALU_DEP_3)
	v_cmp_gt_i32_e32 vcc_lo, 32, v20
	v_cndmask_b32_e32 v20, v42, v20, vcc_lo
	v_add_f64_e32 v[10:11], v[10:11], v[38:39]
	v_cmp_eq_u32_e32 vcc_lo, 3, v27
	v_lshlrev_b32_e32 v35, 2, v20
	ds_bpermute_b32 v20, v35, v12
	ds_bpermute_b32 v21, v35, v13
	;; [unrolled: 1-line block ×16, first 2 shown]
	s_and_b32 exec_lo, exec_lo, vcc_lo
	s_cbranch_execz .LBB135_8
; %bb.36:
	s_wait_dscnt 0x8
	v_add_f64_e32 v[38:39], v[24:25], v[38:39]
	v_add_f64_e32 v[28:29], v[28:29], v[40:41]
	s_wait_dscnt 0x4
	v_add_f64_e32 v[36:37], v[18:19], v[36:37]
	s_wait_dscnt 0x0
	v_add_f64_e32 v[34:35], v[16:17], v[34:35]
	v_add_f64_e32 v[40:41], v[12:13], v[20:21]
	;; [unrolled: 1-line block ×5, first 2 shown]
	v_cmp_eq_f64_e32 vcc_lo, 0, v[2:3]
	v_cmp_eq_f64_e64 s2, 0, v[4:5]
	s_load_b64 s[0:1], s[0:1], 0x60
	v_mul_f64_e64 v[18:19], v[38:39], -v[8:9]
	v_mul_f64_e32 v[20:21], v[6:7], v[38:39]
	v_mul_f64_e64 v[14:15], v[36:37], -v[8:9]
	v_mul_f64_e32 v[16:17], v[6:7], v[36:37]
	v_mul_f64_e64 v[10:11], v[34:35], -v[8:9]
	v_mul_f64_e32 v[12:13], v[6:7], v[34:35]
	s_and_b32 s2, vcc_lo, s2
	v_fmac_f64_e32 v[18:19], v[6:7], v[0:1]
	v_fmac_f64_e32 v[20:21], v[8:9], v[0:1]
	v_dual_mul_f64 v[22:23], v[28:29], -v[8:9] :: v_dual_lshlrev_b32 v0, 2, v26
	v_mul_f64_e32 v[24:25], v[6:7], v[28:29]
	v_fmac_f64_e32 v[14:15], v[6:7], v[30:31]
	v_fmac_f64_e32 v[16:17], v[8:9], v[30:31]
	;; [unrolled: 1-line block ×6, first 2 shown]
	s_and_saveexec_b32 s3, s2
	s_delay_alu instid0(SALU_CYCLE_1)
	s_xor_b32 s2, exec_lo, s3
	s_cbranch_execz .LBB135_38
; %bb.37:
	s_wait_kmcnt 0x0
	s_clause 0x3
	global_store_b128 v0, v[22:25], s[0:1] scale_offset
	global_store_b128 v0, v[18:21], s[0:1] offset:16 scale_offset
	global_store_b128 v0, v[14:17], s[0:1] offset:32 scale_offset
	;; [unrolled: 1-line block ×3, first 2 shown]
                                        ; implicit-def: $vgpr4_vgpr5
                                        ; implicit-def: $vgpr22_vgpr23
                                        ; implicit-def: $vgpr0
                                        ; implicit-def: $vgpr18_vgpr19
                                        ; implicit-def: $vgpr14_vgpr15
                                        ; implicit-def: $vgpr10_vgpr11
.LBB135_38:
	s_wait_xcnt 0x0
	s_and_not1_saveexec_b32 s2, s2
	s_cbranch_execz .LBB135_8
; %bb.39:
	s_wait_kmcnt 0x0
	s_clause 0x3
	global_load_b128 v[6:9], v0, s[0:1] scale_offset
	global_load_b128 v[26:29], v0, s[0:1] offset:16 scale_offset
	global_load_b128 v[30:33], v0, s[0:1] offset:32 scale_offset
	;; [unrolled: 1-line block ×3, first 2 shown]
	s_wait_loadcnt 0x3
	v_fmac_f64_e32 v[22:23], v[2:3], v[6:7]
	v_fmac_f64_e32 v[24:25], v[4:5], v[6:7]
	s_wait_loadcnt 0x2
	v_fmac_f64_e32 v[18:19], v[2:3], v[26:27]
	v_fmac_f64_e32 v[20:21], v[4:5], v[26:27]
	s_wait_loadcnt 0x1
	v_fmac_f64_e32 v[14:15], v[2:3], v[30:31]
	v_fmac_f64_e32 v[16:17], v[4:5], v[30:31]
	s_wait_loadcnt 0x0
	v_fmac_f64_e32 v[10:11], v[2:3], v[34:35]
	v_fmac_f64_e32 v[12:13], v[4:5], v[34:35]
	v_fma_f64 v[22:23], -v[4:5], v[8:9], v[22:23]
	v_fmac_f64_e32 v[24:25], v[2:3], v[8:9]
	v_fma_f64 v[18:19], -v[4:5], v[28:29], v[18:19]
	v_fmac_f64_e32 v[20:21], v[2:3], v[28:29]
	;; [unrolled: 2-line block ×4, first 2 shown]
	s_clause 0x3
	global_store_b128 v0, v[22:25], s[0:1] scale_offset
	global_store_b128 v0, v[18:21], s[0:1] offset:16 scale_offset
	global_store_b128 v0, v[14:17], s[0:1] offset:32 scale_offset
	;; [unrolled: 1-line block ×3, first 2 shown]
	s_sendmsg sendmsg(MSG_DEALLOC_VGPRS)
	s_endpgm
	.section	.rodata,"a",@progbits
	.p2align	6, 0x0
	.amdhsa_kernel _ZN9rocsparseL18bsrxmvn_4x4_kernelILj128ELj4E21rocsparse_complex_numIdEiidS2_S2_EEvT3_20rocsparse_direction_NS_24const_host_device_scalarIT1_EES3_PKS3_PKT2_SC_S9_PKT4_PKT5_S7_PT6_21rocsparse_index_base_b
		.amdhsa_group_segment_fixed_size 0
		.amdhsa_private_segment_fixed_size 0
		.amdhsa_kernarg_size 112
		.amdhsa_user_sgpr_count 2
		.amdhsa_user_sgpr_dispatch_ptr 0
		.amdhsa_user_sgpr_queue_ptr 0
		.amdhsa_user_sgpr_kernarg_segment_ptr 1
		.amdhsa_user_sgpr_dispatch_id 0
		.amdhsa_user_sgpr_kernarg_preload_length 0
		.amdhsa_user_sgpr_kernarg_preload_offset 0
		.amdhsa_user_sgpr_private_segment_size 0
		.amdhsa_wavefront_size32 1
		.amdhsa_uses_dynamic_stack 0
		.amdhsa_enable_private_segment 0
		.amdhsa_system_sgpr_workgroup_id_x 1
		.amdhsa_system_sgpr_workgroup_id_y 0
		.amdhsa_system_sgpr_workgroup_id_z 0
		.amdhsa_system_sgpr_workgroup_info 0
		.amdhsa_system_vgpr_workitem_id 0
		.amdhsa_next_free_vgpr 122
		.amdhsa_next_free_sgpr 14
		.amdhsa_named_barrier_count 0
		.amdhsa_reserve_vcc 1
		.amdhsa_float_round_mode_32 0
		.amdhsa_float_round_mode_16_64 0
		.amdhsa_float_denorm_mode_32 3
		.amdhsa_float_denorm_mode_16_64 3
		.amdhsa_fp16_overflow 0
		.amdhsa_memory_ordered 1
		.amdhsa_forward_progress 1
		.amdhsa_inst_pref_size 57
		.amdhsa_round_robin_scheduling 0
		.amdhsa_exception_fp_ieee_invalid_op 0
		.amdhsa_exception_fp_denorm_src 0
		.amdhsa_exception_fp_ieee_div_zero 0
		.amdhsa_exception_fp_ieee_overflow 0
		.amdhsa_exception_fp_ieee_underflow 0
		.amdhsa_exception_fp_ieee_inexact 0
		.amdhsa_exception_int_div_zero 0
	.end_amdhsa_kernel
	.section	.text._ZN9rocsparseL18bsrxmvn_4x4_kernelILj128ELj4E21rocsparse_complex_numIdEiidS2_S2_EEvT3_20rocsparse_direction_NS_24const_host_device_scalarIT1_EES3_PKS3_PKT2_SC_S9_PKT4_PKT5_S7_PT6_21rocsparse_index_base_b,"axG",@progbits,_ZN9rocsparseL18bsrxmvn_4x4_kernelILj128ELj4E21rocsparse_complex_numIdEiidS2_S2_EEvT3_20rocsparse_direction_NS_24const_host_device_scalarIT1_EES3_PKS3_PKT2_SC_S9_PKT4_PKT5_S7_PT6_21rocsparse_index_base_b,comdat
.Lfunc_end135:
	.size	_ZN9rocsparseL18bsrxmvn_4x4_kernelILj128ELj4E21rocsparse_complex_numIdEiidS2_S2_EEvT3_20rocsparse_direction_NS_24const_host_device_scalarIT1_EES3_PKS3_PKT2_SC_S9_PKT4_PKT5_S7_PT6_21rocsparse_index_base_b, .Lfunc_end135-_ZN9rocsparseL18bsrxmvn_4x4_kernelILj128ELj4E21rocsparse_complex_numIdEiidS2_S2_EEvT3_20rocsparse_direction_NS_24const_host_device_scalarIT1_EES3_PKS3_PKT2_SC_S9_PKT4_PKT5_S7_PT6_21rocsparse_index_base_b
                                        ; -- End function
	.set _ZN9rocsparseL18bsrxmvn_4x4_kernelILj128ELj4E21rocsparse_complex_numIdEiidS2_S2_EEvT3_20rocsparse_direction_NS_24const_host_device_scalarIT1_EES3_PKS3_PKT2_SC_S9_PKT4_PKT5_S7_PT6_21rocsparse_index_base_b.num_vgpr, 122
	.set _ZN9rocsparseL18bsrxmvn_4x4_kernelILj128ELj4E21rocsparse_complex_numIdEiidS2_S2_EEvT3_20rocsparse_direction_NS_24const_host_device_scalarIT1_EES3_PKS3_PKT2_SC_S9_PKT4_PKT5_S7_PT6_21rocsparse_index_base_b.num_agpr, 0
	.set _ZN9rocsparseL18bsrxmvn_4x4_kernelILj128ELj4E21rocsparse_complex_numIdEiidS2_S2_EEvT3_20rocsparse_direction_NS_24const_host_device_scalarIT1_EES3_PKS3_PKT2_SC_S9_PKT4_PKT5_S7_PT6_21rocsparse_index_base_b.numbered_sgpr, 14
	.set _ZN9rocsparseL18bsrxmvn_4x4_kernelILj128ELj4E21rocsparse_complex_numIdEiidS2_S2_EEvT3_20rocsparse_direction_NS_24const_host_device_scalarIT1_EES3_PKS3_PKT2_SC_S9_PKT4_PKT5_S7_PT6_21rocsparse_index_base_b.num_named_barrier, 0
	.set _ZN9rocsparseL18bsrxmvn_4x4_kernelILj128ELj4E21rocsparse_complex_numIdEiidS2_S2_EEvT3_20rocsparse_direction_NS_24const_host_device_scalarIT1_EES3_PKS3_PKT2_SC_S9_PKT4_PKT5_S7_PT6_21rocsparse_index_base_b.private_seg_size, 0
	.set _ZN9rocsparseL18bsrxmvn_4x4_kernelILj128ELj4E21rocsparse_complex_numIdEiidS2_S2_EEvT3_20rocsparse_direction_NS_24const_host_device_scalarIT1_EES3_PKS3_PKT2_SC_S9_PKT4_PKT5_S7_PT6_21rocsparse_index_base_b.uses_vcc, 1
	.set _ZN9rocsparseL18bsrxmvn_4x4_kernelILj128ELj4E21rocsparse_complex_numIdEiidS2_S2_EEvT3_20rocsparse_direction_NS_24const_host_device_scalarIT1_EES3_PKS3_PKT2_SC_S9_PKT4_PKT5_S7_PT6_21rocsparse_index_base_b.uses_flat_scratch, 0
	.set _ZN9rocsparseL18bsrxmvn_4x4_kernelILj128ELj4E21rocsparse_complex_numIdEiidS2_S2_EEvT3_20rocsparse_direction_NS_24const_host_device_scalarIT1_EES3_PKS3_PKT2_SC_S9_PKT4_PKT5_S7_PT6_21rocsparse_index_base_b.has_dyn_sized_stack, 0
	.set _ZN9rocsparseL18bsrxmvn_4x4_kernelILj128ELj4E21rocsparse_complex_numIdEiidS2_S2_EEvT3_20rocsparse_direction_NS_24const_host_device_scalarIT1_EES3_PKS3_PKT2_SC_S9_PKT4_PKT5_S7_PT6_21rocsparse_index_base_b.has_recursion, 0
	.set _ZN9rocsparseL18bsrxmvn_4x4_kernelILj128ELj4E21rocsparse_complex_numIdEiidS2_S2_EEvT3_20rocsparse_direction_NS_24const_host_device_scalarIT1_EES3_PKS3_PKT2_SC_S9_PKT4_PKT5_S7_PT6_21rocsparse_index_base_b.has_indirect_call, 0
	.section	.AMDGPU.csdata,"",@progbits
; Kernel info:
; codeLenInByte = 7240
; TotalNumSgprs: 16
; NumVgprs: 122
; ScratchSize: 0
; MemoryBound: 0
; FloatMode: 240
; IeeeMode: 1
; LDSByteSize: 0 bytes/workgroup (compile time only)
; SGPRBlocks: 0
; VGPRBlocks: 7
; NumSGPRsForWavesPerEU: 16
; NumVGPRsForWavesPerEU: 122
; NamedBarCnt: 0
; Occupancy: 8
; WaveLimiterHint : 1
; COMPUTE_PGM_RSRC2:SCRATCH_EN: 0
; COMPUTE_PGM_RSRC2:USER_SGPR: 2
; COMPUTE_PGM_RSRC2:TRAP_HANDLER: 0
; COMPUTE_PGM_RSRC2:TGID_X_EN: 1
; COMPUTE_PGM_RSRC2:TGID_Y_EN: 0
; COMPUTE_PGM_RSRC2:TGID_Z_EN: 0
; COMPUTE_PGM_RSRC2:TIDIG_COMP_CNT: 0
	.section	.text._ZN9rocsparseL18bsrxmvn_4x4_kernelILj128ELj8E21rocsparse_complex_numIdEiidS2_S2_EEvT3_20rocsparse_direction_NS_24const_host_device_scalarIT1_EES3_PKS3_PKT2_SC_S9_PKT4_PKT5_S7_PT6_21rocsparse_index_base_b,"axG",@progbits,_ZN9rocsparseL18bsrxmvn_4x4_kernelILj128ELj8E21rocsparse_complex_numIdEiidS2_S2_EEvT3_20rocsparse_direction_NS_24const_host_device_scalarIT1_EES3_PKS3_PKT2_SC_S9_PKT4_PKT5_S7_PT6_21rocsparse_index_base_b,comdat
	.globl	_ZN9rocsparseL18bsrxmvn_4x4_kernelILj128ELj8E21rocsparse_complex_numIdEiidS2_S2_EEvT3_20rocsparse_direction_NS_24const_host_device_scalarIT1_EES3_PKS3_PKT2_SC_S9_PKT4_PKT5_S7_PT6_21rocsparse_index_base_b ; -- Begin function _ZN9rocsparseL18bsrxmvn_4x4_kernelILj128ELj8E21rocsparse_complex_numIdEiidS2_S2_EEvT3_20rocsparse_direction_NS_24const_host_device_scalarIT1_EES3_PKS3_PKT2_SC_S9_PKT4_PKT5_S7_PT6_21rocsparse_index_base_b
	.p2align	8
	.type	_ZN9rocsparseL18bsrxmvn_4x4_kernelILj128ELj8E21rocsparse_complex_numIdEiidS2_S2_EEvT3_20rocsparse_direction_NS_24const_host_device_scalarIT1_EES3_PKS3_PKT2_SC_S9_PKT4_PKT5_S7_PT6_21rocsparse_index_base_b,@function
_ZN9rocsparseL18bsrxmvn_4x4_kernelILj128ELj8E21rocsparse_complex_numIdEiidS2_S2_EEvT3_20rocsparse_direction_NS_24const_host_device_scalarIT1_EES3_PKS3_PKT2_SC_S9_PKT4_PKT5_S7_PT6_21rocsparse_index_base_b: ; @_ZN9rocsparseL18bsrxmvn_4x4_kernelILj128ELj8E21rocsparse_complex_numIdEiidS2_S2_EEvT3_20rocsparse_direction_NS_24const_host_device_scalarIT1_EES3_PKS3_PKT2_SC_S9_PKT4_PKT5_S7_PT6_21rocsparse_index_base_b
; %bb.0:
	s_clause 0x1
	s_load_b64 s[12:13], s[0:1], 0x68
	s_load_b64 s[2:3], s[0:1], 0x8
	v_mov_b32_e32 v1, 0
	s_add_nc_u64 s[4:5], s[0:1], 8
	s_load_b64 s[6:7], s[0:1], 0x50
	s_wait_kmcnt 0x0
	s_bitcmp1_b32 s13, 0
	s_cselect_b32 s3, s5, s3
	s_cselect_b32 s2, s4, s2
	flat_load_b128 v[6:9], v1, s[2:3]
	s_wait_xcnt 0x0
	s_add_nc_u64 s[2:3], s[0:1], 0x50
	s_delay_alu instid0(SALU_CYCLE_1)
	s_cselect_b32 s3, s3, s7
	s_cselect_b32 s2, s2, s6
	flat_load_b128 v[2:5], v1, s[2:3]
	s_wait_loadcnt_dscnt 0x101
	v_cmp_eq_f64_e32 vcc_lo, 0, v[6:7]
	s_wait_xcnt 0x0
	v_cmp_eq_f64_e64 s2, 0, v[8:9]
	s_and_b32 s4, vcc_lo, s2
	s_mov_b32 s2, -1
	s_and_saveexec_b32 s3, s4
	s_cbranch_execz .LBB136_2
; %bb.1:
	s_wait_loadcnt_dscnt 0x0
	v_cmp_neq_f64_e32 vcc_lo, 1.0, v[2:3]
	v_cmp_neq_f64_e64 s2, 0, v[4:5]
	s_or_b32 s2, vcc_lo, s2
	s_delay_alu instid0(SALU_CYCLE_1)
	s_or_not1_b32 s2, s2, exec_lo
.LBB136_2:
	s_or_b32 exec_lo, exec_lo, s3
	s_and_saveexec_b32 s3, s2
	s_cbranch_execz .LBB136_8
; %bb.3:
	s_clause 0x1
	s_load_b64 s[4:5], s[0:1], 0x20
	s_load_b64 s[2:3], s[0:1], 0x0
	s_bfe_u32 s6, ttmp6, 0x4000c
	s_and_b32 s7, ttmp6, 15
	s_add_co_i32 s6, s6, 1
	s_getreg_b32 s8, hwreg(HW_REG_IB_STS2, 6, 4)
	s_mul_i32 s6, ttmp9, s6
	v_lshrrev_b32_e32 v1, 3, v0
	s_add_co_i32 s7, s7, s6
	s_cmp_eq_u32 s8, 0
	s_cselect_b32 s6, ttmp9, s7
	s_delay_alu instid0(VALU_DEP_1) | instid1(SALU_CYCLE_1)
	v_lshl_or_b32 v26, s6, 4, v1
	s_mov_b32 s6, 0
	s_wait_kmcnt 0x0
	s_cmp_lg_u64 s[4:5], 0
	s_cbranch_scc0 .LBB136_9
; %bb.4:
	s_load_b32 s6, s[0:1], 0x18
	s_mov_b32 s7, 0
                                        ; implicit-def: $vgpr1
	s_wait_kmcnt 0x0
	v_cmp_gt_i32_e32 vcc_lo, s6, v26
	s_mov_b32 s6, 0
	s_and_saveexec_b32 s8, vcc_lo
	s_delay_alu instid0(SALU_CYCLE_1)
	s_xor_b32 s8, exec_lo, s8
	s_cbranch_execz .LBB136_6
; %bb.5:
	global_load_b32 v1, v26, s[4:5] scale_offset
	s_mov_b32 s6, exec_lo
	s_wait_loadcnt 0x0
	v_subrev_nc_u32_e32 v1, s12, v1
.LBB136_6:
	s_or_b32 exec_lo, exec_lo, s8
	s_delay_alu instid0(SALU_CYCLE_1)
	s_and_b32 vcc_lo, exec_lo, s7
	s_cbranch_vccz .LBB136_10
.LBB136_7:
	v_cmp_gt_i32_e32 vcc_lo, s2, v26
	s_and_not1_b32 s2, s6, exec_lo
	s_and_b32 s4, vcc_lo, exec_lo
	s_delay_alu instid0(SALU_CYCLE_1) | instskip(NEXT) | instid1(SALU_CYCLE_1)
	s_or_b32 s6, s2, s4
	s_and_b32 exec_lo, exec_lo, s6
	s_cbranch_execnz .LBB136_11
.LBB136_8:
	s_sendmsg sendmsg(MSG_DEALLOC_VGPRS)
	s_endpgm
.LBB136_9:
                                        ; implicit-def: $vgpr1
	s_cbranch_execnz .LBB136_7
.LBB136_10:
	s_delay_alu instid0(VALU_DEP_1)
	v_mov_b32_e32 v26, v1
	s_and_b32 exec_lo, exec_lo, s6
	s_cbranch_execz .LBB136_8
.LBB136_11:
	s_load_b256 s[4:11], s[0:1], 0x28
	s_wait_kmcnt 0x0
	global_load_b32 v32, v26, s[4:5] scale_offset
	s_cmp_eq_u64 s[6:7], 0
	s_cselect_b32 vcc_lo, -1, 0
	v_ashrrev_i32_e32 v27, 31, v26
	s_cmp_eq_u32 s3, 1
	s_delay_alu instid0(VALU_DEP_1) | instskip(SKIP_1) | instid1(VALU_DEP_2)
	v_lshlrev_b64_e32 v[10:11], 2, v[26:27]
	v_and_b32_e32 v27, 7, v0
	v_add_nc_u64_e32 v[12:13], s[4:5], v[10:11]
	v_add_nc_u64_e32 v[10:11], s[6:7], v[10:11]
	s_wait_xcnt 0x0
	s_load_b64 s[4:5], s[0:1], 0x48
	s_delay_alu instid0(VALU_DEP_2) | instskip(NEXT) | instid1(VALU_DEP_1)
	v_add_nc_u64_e32 v[12:13], 4, v[12:13]
	v_cndmask_b32_e32 v11, v11, v13, vcc_lo
	s_wait_loadcnt 0x0
	v_subrev_nc_u32_e32 v0, s12, v32
	s_delay_alu instid0(VALU_DEP_1) | instskip(SKIP_2) | instid1(VALU_DEP_1)
	v_dual_cndmask_b32 v10, v10, v12, vcc_lo :: v_dual_add_nc_u32 v24, v0, v27
	global_load_b32 v10, v[10:11], off
	v_ashrrev_i32_e32 v25, 31, v24
	v_lshlrev_b64_e32 v[0:1], 7, v[24:25]
	s_delay_alu instid0(VALU_DEP_1) | instskip(SKIP_2) | instid1(VALU_DEP_1)
	v_add_nc_u64_e32 v[28:29], s[10:11], v[0:1]
	s_wait_loadcnt 0x0
	v_subrev_nc_u32_e32 v25, s12, v10
	v_cmp_lt_i32_e64 s2, v24, v25
	s_cbranch_scc1 .LBB136_23
; %bb.12:
	v_mov_b64_e32 v[0:1], 0
	v_mov_b64_e32 v[12:13], 0
	;; [unrolled: 1-line block ×8, first 2 shown]
	s_and_saveexec_b32 s3, s2
	s_cbranch_execz .LBB136_22
; %bb.13:
	v_add_nc_u32_e32 v0, v32, v27
	v_not_b32_e32 v1, v32
	v_mov_b64_e32 v[10:11], 0
	v_mov_b64_e32 v[20:21], 0
	;; [unrolled: 1-line block ×3, first 2 shown]
	v_subrev_nc_u32_e32 v0, s12, v0
	v_mov_b64_e32 v[18:19], 0
	v_mov_b64_e32 v[16:17], 0
	;; [unrolled: 1-line block ×4, first 2 shown]
	v_add_max_i32_e64 v0, v0, 8, v25
	v_mov_b64_e32 v[30:31], v[28:29]
	s_delay_alu instid0(VALU_DEP_2) | instskip(NEXT) | instid1(VALU_DEP_1)
	v_add3_u32 v0, s12, v0, v1
	v_sub_nc_u32_e32 v34, v0, v27
	v_mov_b64_e32 v[0:1], 0
	s_delay_alu instid0(VALU_DEP_2) | instskip(NEXT) | instid1(VALU_DEP_1)
	v_and_b32_e32 v33, 24, v34
	v_cmp_ne_u32_e32 vcc_lo, 24, v33
	v_mov_b32_e32 v33, v24
	s_and_saveexec_b32 s6, vcc_lo
	s_cbranch_execz .LBB136_17
; %bb.14:
	v_dual_mov_b32 v33, v24 :: v_dual_lshrrev_b32 v10, 3, v34
	v_mov_b64_e32 v[0:1], 0
	v_mov_b64_e32 v[12:13], 0
	;; [unrolled: 1-line block ×3, first 2 shown]
	s_delay_alu instid0(VALU_DEP_4)
	v_add_nc_u32_e32 v10, 1, v10
	v_mov_b64_e32 v[16:17], 0
	v_mov_b64_e32 v[18:19], 0
	;; [unrolled: 1-line block ×4, first 2 shown]
	v_and_b32_e32 v30, 3, v10
	v_mov_b64_e32 v[10:11], 0
	s_mov_b32 s7, 0
	s_delay_alu instid0(VALU_DEP_2)
	v_sub_nc_u32_e32 v35, 0, v30
	v_mov_b64_e32 v[30:31], v[28:29]
.LBB136_15:                             ; =>This Inner Loop Header: Depth=1
	global_load_b32 v68, v33, s[8:9] scale_offset
	s_clause 0x7
	global_load_b128 v[36:39], v[30:31], off offset:48
	global_load_b128 v[40:43], v[30:31], off offset:32
	;; [unrolled: 1-line block ×3, first 2 shown]
	global_load_b128 v[48:51], v[30:31], off
	global_load_b128 v[52:55], v[30:31], off offset:112
	global_load_b128 v[56:59], v[30:31], off offset:96
	;; [unrolled: 1-line block ×4, first 2 shown]
	s_wait_xcnt 0x0
	v_add_nc_u64_e32 v[30:31], 0x400, v[30:31]
	v_add_co_u32 v35, s10, v35, 1
	s_or_b32 s7, s10, s7
	v_add_nc_u32_e32 v33, 8, v33
	s_wait_loadcnt 0x8
	v_subrev_nc_u32_e32 v68, s12, v68
	s_delay_alu instid0(VALU_DEP_1)
	v_lshlrev_b32_e32 v84, 2, v68
	s_wait_kmcnt 0x0
	s_clause 0x3
	global_load_b128 v[68:71], v84, s[4:5] scale_offset
	global_load_b128 v[72:75], v84, s[4:5] offset:16 scale_offset
	global_load_b128 v[76:79], v84, s[4:5] offset:32 scale_offset
	;; [unrolled: 1-line block ×3, first 2 shown]
	s_wait_loadcnt 0x3
	v_fmac_f64_e32 v[12:13], v[48:49], v[68:69]
	v_fmac_f64_e32 v[0:1], 0, v[68:69]
	v_fmac_f64_e32 v[16:17], v[40:41], v[68:69]
	v_fmac_f64_e32 v[14:15], 0, v[68:69]
	v_fmac_f64_e32 v[22:23], v[64:65], v[68:69]
	v_fmac_f64_e32 v[18:19], 0, v[68:69]
	v_fmac_f64_e32 v[10:11], v[56:57], v[68:69]
	v_fmac_f64_e32 v[20:21], 0, v[68:69]
	v_fmac_f64_e32 v[12:13], 0x80000000, v[70:71]
	v_fmac_f64_e32 v[0:1], v[48:49], v[70:71]
	v_fmac_f64_e32 v[16:17], 0x80000000, v[70:71]
	v_fmac_f64_e32 v[14:15], v[40:41], v[70:71]
	v_fmac_f64_e32 v[22:23], 0x80000000, v[70:71]
	v_fmac_f64_e32 v[18:19], v[64:65], v[70:71]
	v_fmac_f64_e32 v[10:11], 0x80000000, v[70:71]
	v_fmac_f64_e32 v[20:21], v[56:57], v[70:71]
	s_wait_loadcnt 0x2
	v_fmac_f64_e32 v[12:13], v[50:51], v[72:73]
	v_fmac_f64_e32 v[0:1], 0, v[72:73]
	v_fmac_f64_e32 v[16:17], v[42:43], v[72:73]
	v_fmac_f64_e32 v[14:15], 0, v[72:73]
	v_fmac_f64_e32 v[22:23], v[66:67], v[72:73]
	v_fmac_f64_e32 v[18:19], 0, v[72:73]
	v_fmac_f64_e32 v[10:11], v[58:59], v[72:73]
	v_fmac_f64_e32 v[20:21], 0, v[72:73]
	v_fmac_f64_e32 v[12:13], 0x80000000, v[74:75]
	v_fmac_f64_e32 v[0:1], v[50:51], v[74:75]
	v_fmac_f64_e32 v[16:17], 0x80000000, v[74:75]
	v_fmac_f64_e32 v[14:15], v[42:43], v[74:75]
	v_fmac_f64_e32 v[22:23], 0x80000000, v[74:75]
	v_fmac_f64_e32 v[18:19], v[66:67], v[74:75]
	v_fmac_f64_e32 v[10:11], 0x80000000, v[74:75]
	v_fmac_f64_e32 v[20:21], v[58:59], v[74:75]
	;; [unrolled: 17-line block ×4, first 2 shown]
	s_and_not1_b32 exec_lo, exec_lo, s7
	s_cbranch_execnz .LBB136_15
; %bb.16:
	s_or_b32 exec_lo, exec_lo, s7
.LBB136_17:
	s_delay_alu instid0(SALU_CYCLE_1) | instskip(NEXT) | instid1(SALU_CYCLE_1)
	s_or_b32 exec_lo, exec_lo, s6
	s_mov_b32 s6, exec_lo
	v_cmpx_lt_u32_e32 23, v34
	s_cbranch_execz .LBB136_21
; %bb.18:
	s_mov_b32 s7, 0
.LBB136_19:                             ; =>This Inner Loop Header: Depth=1
	global_load_b32 v110, v33, s[8:9] scale_offset
	s_clause 0xf
	global_load_b128 v[34:37], v[30:31], off offset:48
	global_load_b128 v[38:41], v[30:31], off offset:32
	;; [unrolled: 1-line block ×3, first 2 shown]
	global_load_b128 v[46:49], v[30:31], off
	global_load_b128 v[50:53], v[30:31], off offset:112
	global_load_b128 v[54:57], v[30:31], off offset:96
	;; [unrolled: 1-line block ×12, first 2 shown]
	s_clause 0x2
	global_load_b32 v118, v33, s[8:9] offset:32 scale_offset
	global_load_b32 v119, v33, s[8:9] offset:64 scale_offset
	;; [unrolled: 1-line block ×3, first 2 shown]
	s_clause 0x2
	global_load_b128 v[98:101], v[30:31], off offset:2096
	global_load_b128 v[102:105], v[30:31], off offset:2080
	;; [unrolled: 1-line block ×3, first 2 shown]
	s_wait_xcnt 0x3
	v_add_nc_u32_e32 v33, 32, v33
	s_delay_alu instid0(VALU_DEP_1) | instskip(SKIP_3) | instid1(VALU_DEP_1)
	v_cmp_ge_i32_e32 vcc_lo, v33, v25
	s_or_b32 s7, vcc_lo, s7
	s_wait_loadcnt 0x16
	v_subrev_nc_u32_e32 v110, s12, v110
	v_lshlrev_b32_e32 v121, 2, v110
	s_wait_kmcnt 0x0
	s_clause 0x1
	global_load_b128 v[110:113], v121, s[4:5] scale_offset
	global_load_b128 v[114:117], v121, s[4:5] offset:16 scale_offset
	s_wait_loadcnt 0x1
	v_fmac_f64_e32 v[20:21], 0, v[110:111]
	v_fmac_f64_e32 v[10:11], v[54:55], v[110:111]
	;; [unrolled: 1-line block ×16, first 2 shown]
	global_load_b128 v[110:113], v[30:31], off offset:2048
	s_wait_loadcnt 0x1
	v_fmac_f64_e32 v[20:21], 0, v[114:115]
	v_fmac_f64_e32 v[10:11], v[56:57], v[114:115]
	;; [unrolled: 1-line block ×9, first 2 shown]
	global_load_b128 v[54:57], v121, s[4:5] offset:32 scale_offset
	v_fmac_f64_e32 v[0:1], v[48:49], v[116:117]
	v_fmac_f64_e32 v[12:13], 0x80000000, v[116:117]
	;; [unrolled: 1-line block ×7, first 2 shown]
	global_load_b128 v[114:117], v121, s[4:5] offset:48 scale_offset
	s_clause 0x2
	global_load_b128 v[38:41], v[30:31], off offset:2144
	global_load_b128 v[62:65], v[30:31], off offset:2128
	;; [unrolled: 1-line block ×3, first 2 shown]
	s_wait_loadcnt 0x4
	v_fmac_f64_e32 v[20:21], 0, v[54:55]
	v_fmac_f64_e32 v[10:11], v[50:51], v[54:55]
	;; [unrolled: 1-line block ×10, first 2 shown]
	v_subrev_nc_u32_e32 v50, s12, v118
	v_fmac_f64_e32 v[0:1], v[42:43], v[56:57]
	v_fmac_f64_e32 v[12:13], 0x80000000, v[56:57]
	;; [unrolled: 1-line block ×4, first 2 shown]
	v_lshlrev_b32_e32 v118, 2, v50
	v_fmac_f64_e32 v[22:23], 0x80000000, v[56:57]
	v_fmac_f64_e32 v[18:19], v[58:59], v[56:57]
	global_load_b128 v[54:57], v[30:31], off offset:2112
	s_wait_loadcnt 0x4
	v_fmac_f64_e32 v[20:21], 0, v[114:115]
	v_fmac_f64_e32 v[10:11], v[52:53], v[114:115]
	;; [unrolled: 1-line block ×9, first 2 shown]
	global_load_b128 v[50:53], v118, s[4:5] scale_offset
	v_fmac_f64_e32 v[10:11], 0x80000000, v[116:117]
	v_fmac_f64_e32 v[0:1], v[44:45], v[116:117]
	;; [unrolled: 1-line block ×5, first 2 shown]
	global_load_b128 v[42:45], v[30:31], off offset:3120
	v_fmac_f64_e32 v[22:23], 0x80000000, v[116:117]
	v_fmac_f64_e32 v[18:19], v[60:61], v[116:117]
	global_load_b128 v[114:117], v118, s[4:5] offset:16 scale_offset
	s_clause 0x1
	global_load_b128 v[34:37], v[30:31], off offset:3104
	global_load_b128 v[58:61], v[30:31], off offset:3088
	s_wait_loadcnt 0x4
	v_fmac_f64_e32 v[0:1], 0, v[50:51]
	v_fmac_f64_e32 v[12:13], v[78:79], v[50:51]
	;; [unrolled: 1-line block ×12, first 2 shown]
	v_subrev_nc_u32_e32 v70, s12, v119
	v_fmac_f64_e32 v[18:19], v[94:95], v[52:53]
	v_fmac_f64_e32 v[22:23], 0x80000000, v[52:53]
	;; [unrolled: 1-line block ×4, first 2 shown]
	v_lshlrev_b32_e32 v119, 2, v70
	global_load_b128 v[50:53], v[30:31], off offset:3072
	s_wait_loadcnt 0x3
	v_fmac_f64_e32 v[0:1], 0, v[114:115]
	v_fmac_f64_e32 v[12:13], v[80:81], v[114:115]
	;; [unrolled: 1-line block ×9, first 2 shown]
	global_load_b128 v[78:81], v118, s[4:5] offset:32 scale_offset
	v_fmac_f64_e32 v[14:15], v[72:73], v[116:117]
	global_load_b128 v[70:73], v118, s[4:5] offset:48 scale_offset
	v_fmac_f64_e32 v[12:13], 0x80000000, v[116:117]
	v_fmac_f64_e32 v[18:19], v[96:97], v[116:117]
	global_load_b128 v[94:97], v119, s[4:5] scale_offset
	v_fmac_f64_e32 v[20:21], v[88:89], v[116:117]
	global_load_b128 v[86:89], v119, s[4:5] offset:16 scale_offset
	v_fmac_f64_e32 v[16:17], 0x80000000, v[116:117]
	v_fmac_f64_e32 v[22:23], 0x80000000, v[116:117]
	;; [unrolled: 1-line block ×3, first 2 shown]
	global_load_b128 v[114:117], v119, s[4:5] offset:32 scale_offset
	s_wait_loadcnt 0x4
	v_fmac_f64_e32 v[0:1], 0, v[78:79]
	v_fmac_f64_e32 v[12:13], v[74:75], v[78:79]
	;; [unrolled: 1-line block ×16, first 2 shown]
	v_subrev_nc_u32_e32 v82, s12, v120
	global_load_b128 v[78:81], v[30:31], off offset:3168
	s_wait_xcnt 0x4
	v_lshlrev_b32_e32 v118, 2, v82
	s_wait_loadcnt 0x4
	v_fmac_f64_e32 v[0:1], 0, v[70:71]
	v_fmac_f64_e32 v[12:13], v[76:77], v[70:71]
	;; [unrolled: 1-line block ×9, first 2 shown]
	global_load_b128 v[74:77], v119, s[4:5] offset:48 scale_offset
	v_fmac_f64_e32 v[14:15], v[68:69], v[72:73]
	global_load_b128 v[66:69], v[30:31], off offset:3136
	v_fmac_f64_e32 v[18:19], v[92:93], v[72:73]
	global_load_b128 v[90:93], v118, s[4:5] scale_offset
	v_fmac_f64_e32 v[12:13], 0x80000000, v[72:73]
	v_fmac_f64_e32 v[20:21], v[84:85], v[72:73]
	;; [unrolled: 1-line block ×5, first 2 shown]
	global_load_b128 v[70:73], v118, s[4:5] offset:16 scale_offset
	global_load_b128 v[82:85], v[30:31], off offset:3184
	s_wait_loadcnt 0x8
	v_fmac_f64_e32 v[0:1], 0, v[94:95]
	v_fmac_f64_e32 v[14:15], 0, v[94:95]
	;; [unrolled: 1-line block ×16, first 2 shown]
	global_load_b128 v[94:97], v[30:31], off offset:3152
	s_wait_xcnt 0x0
	v_add_nc_u64_e32 v[30:31], 0x1000, v[30:31]
	s_wait_loadcnt 0x8
	v_fmac_f64_e32 v[0:1], 0, v[86:87]
	v_fmac_f64_e32 v[14:15], 0, v[86:87]
	v_fmac_f64_e32 v[18:19], 0, v[86:87]
	v_fmac_f64_e32 v[12:13], v[112:113], v[86:87]
	v_fmac_f64_e32 v[20:21], 0, v[86:87]
	v_fmac_f64_e32 v[16:17], v[104:105], v[86:87]
	v_fmac_f64_e32 v[22:23], v[56:57], v[86:87]
	v_fmac_f64_e32 v[10:11], v[40:41], v[86:87]
	v_fmac_f64_e32 v[0:1], v[112:113], v[88:89]
	global_load_b128 v[110:113], v118, s[4:5] offset:32 scale_offset
	v_fmac_f64_e32 v[14:15], v[104:105], v[88:89]
	v_fmac_f64_e32 v[18:19], v[56:57], v[88:89]
	;; [unrolled: 1-line block ×7, first 2 shown]
	global_load_b128 v[38:41], v118, s[4:5] offset:48 scale_offset
	s_wait_loadcnt 0x9
	v_fmac_f64_e32 v[0:1], 0, v[114:115]
	v_fmac_f64_e32 v[14:15], 0, v[114:115]
	v_fmac_f64_e32 v[18:19], 0, v[114:115]
	v_fmac_f64_e32 v[12:13], v[106:107], v[114:115]
	v_fmac_f64_e32 v[20:21], 0, v[114:115]
	v_fmac_f64_e32 v[16:17], v[98:99], v[114:115]
	v_fmac_f64_e32 v[22:23], v[62:63], v[114:115]
	v_fmac_f64_e32 v[10:11], v[46:47], v[114:115]
	v_fmac_f64_e32 v[0:1], v[106:107], v[116:117]
	v_fmac_f64_e32 v[14:15], v[98:99], v[116:117]
	v_fmac_f64_e32 v[18:19], v[62:63], v[116:117]
	v_fmac_f64_e32 v[12:13], 0x80000000, v[116:117]
	v_fmac_f64_e32 v[20:21], v[46:47], v[116:117]
	v_fmac_f64_e32 v[16:17], 0x80000000, v[116:117]
	v_fmac_f64_e32 v[22:23], 0x80000000, v[116:117]
	v_fmac_f64_e32 v[10:11], 0x80000000, v[116:117]
	s_wait_loadcnt 0x7
	v_fmac_f64_e32 v[12:13], v[108:109], v[74:75]
	v_fmac_f64_e32 v[0:1], 0, v[74:75]
	v_fmac_f64_e32 v[16:17], v[100:101], v[74:75]
	v_fmac_f64_e32 v[14:15], 0, v[74:75]
	v_fmac_f64_e32 v[22:23], v[64:65], v[74:75]
	v_fmac_f64_e32 v[18:19], 0, v[74:75]
	v_fmac_f64_e32 v[10:11], v[48:49], v[74:75]
	v_fmac_f64_e32 v[20:21], 0, v[74:75]
	v_fmac_f64_e32 v[12:13], 0x80000000, v[76:77]
	v_fmac_f64_e32 v[0:1], v[108:109], v[76:77]
	v_fmac_f64_e32 v[16:17], 0x80000000, v[76:77]
	v_fmac_f64_e32 v[14:15], v[100:101], v[76:77]
	v_fmac_f64_e32 v[22:23], 0x80000000, v[76:77]
	v_fmac_f64_e32 v[18:19], v[64:65], v[76:77]
	v_fmac_f64_e32 v[10:11], 0x80000000, v[76:77]
	v_fmac_f64_e32 v[20:21], v[48:49], v[76:77]
	;; [unrolled: 17-line block ×6, first 2 shown]
	s_and_not1_b32 exec_lo, exec_lo, s7
	s_cbranch_execnz .LBB136_19
; %bb.20:
	s_or_b32 exec_lo, exec_lo, s7
.LBB136_21:
	s_delay_alu instid0(SALU_CYCLE_1)
	s_or_b32 exec_lo, exec_lo, s6
.LBB136_22:
	s_delay_alu instid0(SALU_CYCLE_1)
	s_or_b32 exec_lo, exec_lo, s3
	s_cbranch_execz .LBB136_24
	s_branch .LBB136_35
.LBB136_23:
                                        ; implicit-def: $vgpr0_vgpr1
                                        ; implicit-def: $vgpr12_vgpr13
                                        ; implicit-def: $vgpr14_vgpr15
                                        ; implicit-def: $vgpr16_vgpr17
                                        ; implicit-def: $vgpr18_vgpr19
                                        ; implicit-def: $vgpr22_vgpr23
                                        ; implicit-def: $vgpr20_vgpr21
                                        ; implicit-def: $vgpr10_vgpr11
.LBB136_24:
	v_mov_b64_e32 v[0:1], 0
	v_mov_b64_e32 v[12:13], 0
	;; [unrolled: 1-line block ×8, first 2 shown]
	s_and_saveexec_b32 s3, s2
	s_cbranch_execz .LBB136_34
; %bb.25:
	v_add_nc_u32_e32 v0, v32, v27
	v_not_b32_e32 v1, v32
	v_mov_b64_e32 v[10:11], 0
	v_mov_b64_e32 v[20:21], 0
	;; [unrolled: 1-line block ×3, first 2 shown]
	v_subrev_nc_u32_e32 v0, s12, v0
	v_mov_b64_e32 v[18:19], 0
	v_mov_b64_e32 v[16:17], 0
	;; [unrolled: 1-line block ×4, first 2 shown]
	v_add_max_i32_e64 v0, v0, 8, v25
	s_mov_b32 s2, exec_lo
	s_delay_alu instid0(VALU_DEP_1) | instskip(NEXT) | instid1(VALU_DEP_1)
	v_add3_u32 v0, s12, v0, v1
	v_sub_nc_u32_e32 v30, v0, v27
	v_mov_b64_e32 v[0:1], 0
	s_delay_alu instid0(VALU_DEP_2) | instskip(NEXT) | instid1(VALU_DEP_1)
	v_and_b32_e32 v31, 24, v30
	v_cmpx_ne_u32_e32 24, v31
	s_cbranch_execz .LBB136_29
; %bb.26:
	v_lshrrev_b32_e32 v0, 3, v30
	v_mov_b64_e32 v[12:13], 0
	v_mov_b64_e32 v[14:15], 0
	;; [unrolled: 1-line block ×4, first 2 shown]
	v_add_nc_u32_e32 v10, 1, v0
	v_mov_b64_e32 v[0:1], 0
	v_mov_b64_e32 v[22:23], 0
	;; [unrolled: 1-line block ×3, first 2 shown]
	s_mov_b32 s6, 0
	v_and_b32_e32 v31, 3, v10
	v_mov_b64_e32 v[10:11], 0
	s_delay_alu instid0(VALU_DEP_2)
	v_sub_nc_u32_e32 v31, 0, v31
.LBB136_27:                             ; =>This Inner Loop Header: Depth=1
	global_load_b32 v40, v24, s[8:9] scale_offset
	s_clause 0x1
	global_load_b128 v[32:35], v[28:29], off offset:16
	global_load_b128 v[36:39], v[28:29], off
	s_wait_xcnt 0x2
	v_add_nc_u32_e32 v24, 8, v24
	v_add_co_u32 v31, s7, v31, 1
	s_or_b32 s6, s7, s6
	s_wait_loadcnt 0x2
	v_subrev_nc_u32_e32 v40, s12, v40
	s_delay_alu instid0(VALU_DEP_1)
	v_lshlrev_b32_e32 v80, 2, v40
	s_wait_kmcnt 0x0
	s_clause 0x1
	global_load_b128 v[40:43], v80, s[4:5] scale_offset
	global_load_b128 v[44:47], v80, s[4:5] offset:16 scale_offset
	s_clause 0x3
	global_load_b128 v[48:51], v[28:29], off offset:32
	global_load_b128 v[52:55], v[28:29], off offset:48
	;; [unrolled: 1-line block ×4, first 2 shown]
	s_clause 0x1
	global_load_b128 v[64:67], v80, s[4:5] offset:32 scale_offset
	global_load_b128 v[68:71], v80, s[4:5] offset:48 scale_offset
	s_clause 0x1
	global_load_b128 v[72:75], v[28:29], off offset:96
	global_load_b128 v[76:79], v[28:29], off offset:112
	s_wait_xcnt 0x0
	v_add_nc_u64_e32 v[28:29], 0x400, v[28:29]
	s_wait_loadcnt 0x9
	v_fmac_f64_e32 v[12:13], v[36:37], v[40:41]
	v_fmac_f64_e32 v[0:1], 0, v[40:41]
	;; [unrolled: 1-line block ×16, first 2 shown]
	s_wait_loadcnt 0x7
	v_fmac_f64_e32 v[12:13], v[48:49], v[44:45]
	v_fmac_f64_e32 v[0:1], 0, v[44:45]
	;; [unrolled: 1-line block ×4, first 2 shown]
	s_wait_loadcnt 0x6
	v_fmac_f64_e32 v[22:23], v[52:53], v[44:45]
	v_fmac_f64_e32 v[18:19], 0, v[44:45]
	;; [unrolled: 1-line block ×12, first 2 shown]
	s_wait_loadcnt 0x3
	v_fmac_f64_e32 v[12:13], v[60:61], v[64:65]
	v_fmac_f64_e32 v[0:1], 0, v[64:65]
	;; [unrolled: 1-line block ×16, first 2 shown]
	s_wait_loadcnt 0x1
	v_fmac_f64_e32 v[12:13], v[72:73], v[68:69]
	v_fmac_f64_e32 v[0:1], 0, v[68:69]
	;; [unrolled: 1-line block ×4, first 2 shown]
	s_wait_loadcnt 0x0
	v_fmac_f64_e32 v[22:23], v[76:77], v[68:69]
	v_fmac_f64_e32 v[18:19], 0, v[68:69]
	;; [unrolled: 1-line block ×12, first 2 shown]
	s_and_not1_b32 exec_lo, exec_lo, s6
	s_cbranch_execnz .LBB136_27
; %bb.28:
	s_or_b32 exec_lo, exec_lo, s6
.LBB136_29:
	s_delay_alu instid0(SALU_CYCLE_1) | instskip(NEXT) | instid1(SALU_CYCLE_1)
	s_or_b32 exec_lo, exec_lo, s2
	s_mov_b32 s2, exec_lo
	v_cmpx_lt_u32_e32 23, v30
	s_cbranch_execz .LBB136_33
; %bb.30:
	s_mov_b32 s6, 0
.LBB136_31:                             ; =>This Inner Loop Header: Depth=1
	s_clause 0x1
	global_load_b32 v38, v24, s[8:9] scale_offset
	global_load_b32 v86, v24, s[8:9] offset:32 scale_offset
	s_clause 0x1
	global_load_b128 v[30:33], v[28:29], off offset:16
	global_load_b128 v[34:37], v[28:29], off
	s_clause 0x1
	global_load_b32 v102, v24, s[8:9] offset:64 scale_offset
	global_load_b32 v103, v24, s[8:9] offset:96 scale_offset
	s_wait_xcnt 0x0
	v_add_nc_u32_e32 v24, 32, v24
	s_delay_alu instid0(VALU_DEP_1)
	v_cmp_ge_i32_e32 vcc_lo, v24, v25
	s_or_b32 s6, vcc_lo, s6
	s_wait_loadcnt 0x5
	v_subrev_nc_u32_e32 v38, s12, v38
	s_wait_loadcnt 0x4
	v_subrev_nc_u32_e32 v86, s12, v86
	s_delay_alu instid0(VALU_DEP_2)
	v_lshlrev_b32_e32 v87, 2, v38
	s_wait_kmcnt 0x0
	global_load_b128 v[38:41], v87, s[4:5] scale_offset
	s_clause 0x1
	global_load_b128 v[42:45], v[28:29], off offset:48
	global_load_b128 v[46:49], v[28:29], off offset:32
	global_load_b128 v[50:53], v87, s[4:5] offset:16 scale_offset
	s_clause 0x1
	global_load_b128 v[54:57], v[28:29], off offset:80
	global_load_b128 v[58:61], v[28:29], off offset:64
	global_load_b128 v[62:65], v87, s[4:5] offset:32 scale_offset
	s_clause 0x1
	global_load_b128 v[66:69], v[28:29], off offset:112
	global_load_b128 v[70:73], v[28:29], off offset:96
	global_load_b128 v[74:77], v87, s[4:5] offset:48 scale_offset
	s_clause 0x1
	global_load_b128 v[78:81], v[28:29], off offset:1040
	global_load_b128 v[82:85], v[28:29], off offset:1024
	v_lshlrev_b32_e32 v104, 2, v86
	global_load_b128 v[86:89], v104, s[4:5] scale_offset
	s_clause 0x1
	global_load_b128 v[90:93], v[28:29], off offset:1072
	global_load_b128 v[94:97], v[28:29], off offset:1056
	global_load_b128 v[98:101], v104, s[4:5] offset:16 scale_offset
	s_wait_loadcnt 0xf
	v_fmac_f64_e32 v[12:13], v[34:35], v[38:39]
	v_fmac_f64_e32 v[0:1], 0, v[38:39]
	;; [unrolled: 1-line block ×16, first 2 shown]
	s_clause 0x1
	global_load_b128 v[30:33], v[28:29], off offset:1104
	global_load_b128 v[34:37], v[28:29], off offset:1088
	global_load_b128 v[38:41], v104, s[4:5] offset:32 scale_offset
	s_wait_loadcnt 0xf
	v_fmac_f64_e32 v[12:13], v[46:47], v[50:51]
	v_fmac_f64_e32 v[0:1], 0, v[50:51]
	;; [unrolled: 1-line block ×16, first 2 shown]
	s_clause 0x1
	global_load_b128 v[42:45], v[28:29], off offset:1136
	global_load_b128 v[46:49], v[28:29], off offset:1120
	global_load_b128 v[50:53], v104, s[4:5] offset:48 scale_offset
	s_wait_loadcnt 0xf
	v_fmac_f64_e32 v[12:13], v[58:59], v[62:63]
	v_fmac_f64_e32 v[0:1], 0, v[62:63]
	v_fmac_f64_e32 v[16:17], v[60:61], v[62:63]
	v_fmac_f64_e32 v[14:15], 0, v[62:63]
	v_fmac_f64_e32 v[22:23], v[54:55], v[62:63]
	v_fmac_f64_e32 v[18:19], 0, v[62:63]
	v_fmac_f64_e32 v[10:11], v[56:57], v[62:63]
	v_fmac_f64_e32 v[20:21], 0, v[62:63]
	v_subrev_nc_u32_e32 v62, s12, v102
	s_delay_alu instid0(VALU_DEP_1)
	v_lshlrev_b32_e32 v102, 2, v62
	v_fmac_f64_e32 v[12:13], 0x80000000, v[64:65]
	v_fmac_f64_e32 v[0:1], v[58:59], v[64:65]
	v_fmac_f64_e32 v[16:17], 0x80000000, v[64:65]
	v_fmac_f64_e32 v[14:15], v[60:61], v[64:65]
	v_fmac_f64_e32 v[22:23], 0x80000000, v[64:65]
	v_fmac_f64_e32 v[18:19], v[54:55], v[64:65]
	v_fmac_f64_e32 v[10:11], 0x80000000, v[64:65]
	v_fmac_f64_e32 v[20:21], v[56:57], v[64:65]
	s_clause 0x1
	global_load_b128 v[54:57], v[28:29], off offset:2064
	global_load_b128 v[58:61], v[28:29], off offset:2048
	global_load_b128 v[62:65], v102, s[4:5] scale_offset
	s_wait_loadcnt 0xf
	v_fmac_f64_e32 v[12:13], v[70:71], v[74:75]
	v_fmac_f64_e32 v[0:1], 0, v[74:75]
	v_fmac_f64_e32 v[16:17], v[72:73], v[74:75]
	v_fmac_f64_e32 v[14:15], 0, v[74:75]
	v_fmac_f64_e32 v[22:23], v[66:67], v[74:75]
	v_fmac_f64_e32 v[18:19], 0, v[74:75]
	v_fmac_f64_e32 v[10:11], v[68:69], v[74:75]
	v_fmac_f64_e32 v[20:21], 0, v[74:75]
	v_fmac_f64_e32 v[12:13], 0x80000000, v[76:77]
	v_fmac_f64_e32 v[0:1], v[70:71], v[76:77]
	v_fmac_f64_e32 v[16:17], 0x80000000, v[76:77]
	v_fmac_f64_e32 v[14:15], v[72:73], v[76:77]
	v_fmac_f64_e32 v[22:23], 0x80000000, v[76:77]
	v_fmac_f64_e32 v[18:19], v[66:67], v[76:77]
	v_fmac_f64_e32 v[10:11], 0x80000000, v[76:77]
	v_fmac_f64_e32 v[20:21], v[68:69], v[76:77]
	s_clause 0x1
	global_load_b128 v[66:69], v[28:29], off offset:2096
	global_load_b128 v[70:73], v[28:29], off offset:2080
	global_load_b128 v[74:77], v102, s[4:5] offset:16 scale_offset
	s_wait_loadcnt 0xf
	v_fmac_f64_e32 v[12:13], v[82:83], v[86:87]
	v_fmac_f64_e32 v[0:1], 0, v[86:87]
	v_fmac_f64_e32 v[16:17], v[84:85], v[86:87]
	v_fmac_f64_e32 v[14:15], 0, v[86:87]
	v_fmac_f64_e32 v[22:23], v[78:79], v[86:87]
	v_fmac_f64_e32 v[18:19], 0, v[86:87]
	v_fmac_f64_e32 v[10:11], v[80:81], v[86:87]
	v_fmac_f64_e32 v[20:21], 0, v[86:87]
	v_fmac_f64_e32 v[12:13], 0x80000000, v[88:89]
	v_fmac_f64_e32 v[0:1], v[82:83], v[88:89]
	v_fmac_f64_e32 v[16:17], 0x80000000, v[88:89]
	v_fmac_f64_e32 v[14:15], v[84:85], v[88:89]
	v_fmac_f64_e32 v[22:23], 0x80000000, v[88:89]
	v_fmac_f64_e32 v[18:19], v[78:79], v[88:89]
	v_fmac_f64_e32 v[10:11], 0x80000000, v[88:89]
	v_fmac_f64_e32 v[20:21], v[80:81], v[88:89]
	s_clause 0x1
	global_load_b128 v[78:81], v[28:29], off offset:2128
	global_load_b128 v[82:85], v[28:29], off offset:2112
	global_load_b128 v[86:89], v102, s[4:5] offset:32 scale_offset
	;; [unrolled: 21-line block ×3, first 2 shown]
	s_wait_loadcnt 0xf
	v_fmac_f64_e32 v[12:13], v[34:35], v[38:39]
	v_fmac_f64_e32 v[0:1], 0, v[38:39]
	;; [unrolled: 1-line block ×8, first 2 shown]
	v_subrev_nc_u32_e32 v38, s12, v103
	s_delay_alu instid0(VALU_DEP_1)
	v_lshlrev_b32_e32 v106, 2, v38
	v_fmac_f64_e32 v[12:13], 0x80000000, v[40:41]
	v_fmac_f64_e32 v[0:1], v[34:35], v[40:41]
	;; [unrolled: 1-line block ×8, first 2 shown]
	s_clause 0x1
	global_load_b128 v[30:33], v[28:29], off offset:3088
	global_load_b128 v[34:37], v[28:29], off offset:3072
	s_clause 0x1
	global_load_b128 v[38:41], v106, s[4:5] offset:16 scale_offset
	global_load_b128 v[102:105], v106, s[4:5] scale_offset
	s_wait_loadcnt 0x10
	v_fmac_f64_e32 v[12:13], v[46:47], v[50:51]
	v_fmac_f64_e32 v[0:1], 0, v[50:51]
	;; [unrolled: 1-line block ×16, first 2 shown]
	s_clause 0x1
	global_load_b128 v[42:45], v[28:29], off offset:3120
	global_load_b128 v[46:49], v[28:29], off offset:3104
	s_wait_loadcnt 0xf
	v_fmac_f64_e32 v[12:13], v[58:59], v[62:63]
	v_fmac_f64_e32 v[0:1], 0, v[62:63]
	v_fmac_f64_e32 v[16:17], v[60:61], v[62:63]
	v_fmac_f64_e32 v[14:15], 0, v[62:63]
	v_fmac_f64_e32 v[22:23], v[54:55], v[62:63]
	v_fmac_f64_e32 v[18:19], 0, v[62:63]
	v_fmac_f64_e32 v[10:11], v[56:57], v[62:63]
	v_fmac_f64_e32 v[20:21], 0, v[62:63]
	v_fmac_f64_e32 v[12:13], 0x80000000, v[64:65]
	v_fmac_f64_e32 v[0:1], v[58:59], v[64:65]
	v_fmac_f64_e32 v[16:17], 0x80000000, v[64:65]
	v_fmac_f64_e32 v[14:15], v[60:61], v[64:65]
	v_fmac_f64_e32 v[22:23], 0x80000000, v[64:65]
	v_fmac_f64_e32 v[18:19], v[54:55], v[64:65]
	v_fmac_f64_e32 v[10:11], 0x80000000, v[64:65]
	v_fmac_f64_e32 v[20:21], v[56:57], v[64:65]
	s_clause 0x1
	global_load_b128 v[50:53], v[28:29], off offset:3152
	global_load_b128 v[54:57], v[28:29], off offset:3136
	s_clause 0x1
	global_load_b128 v[58:61], v106, s[4:5] offset:48 scale_offset
	global_load_b128 v[62:65], v106, s[4:5] offset:32 scale_offset
	s_wait_loadcnt 0x10
	v_fmac_f64_e32 v[12:13], v[70:71], v[74:75]
	v_fmac_f64_e32 v[0:1], 0, v[74:75]
	;; [unrolled: 1-line block ×16, first 2 shown]
	s_clause 0x1
	global_load_b128 v[66:69], v[28:29], off offset:3168
	global_load_b128 v[70:73], v[28:29], off offset:3184
	s_wait_xcnt 0x0
	v_add_nc_u64_e32 v[28:29], 0x1000, v[28:29]
	s_wait_loadcnt 0xf
	v_fmac_f64_e32 v[12:13], v[82:83], v[86:87]
	v_fmac_f64_e32 v[0:1], 0, v[86:87]
	v_fmac_f64_e32 v[16:17], v[84:85], v[86:87]
	v_fmac_f64_e32 v[14:15], 0, v[86:87]
	v_fmac_f64_e32 v[22:23], v[78:79], v[86:87]
	v_fmac_f64_e32 v[18:19], 0, v[86:87]
	v_fmac_f64_e32 v[10:11], v[80:81], v[86:87]
	v_fmac_f64_e32 v[20:21], 0, v[86:87]
	v_fmac_f64_e32 v[12:13], 0x80000000, v[88:89]
	v_fmac_f64_e32 v[0:1], v[82:83], v[88:89]
	v_fmac_f64_e32 v[16:17], 0x80000000, v[88:89]
	v_fmac_f64_e32 v[14:15], v[84:85], v[88:89]
	v_fmac_f64_e32 v[22:23], 0x80000000, v[88:89]
	v_fmac_f64_e32 v[18:19], v[78:79], v[88:89]
	v_fmac_f64_e32 v[10:11], 0x80000000, v[88:89]
	v_fmac_f64_e32 v[20:21], v[80:81], v[88:89]
	s_wait_loadcnt 0xc
	v_fmac_f64_e32 v[12:13], v[90:91], v[98:99]
	v_fmac_f64_e32 v[0:1], 0, v[98:99]
	v_fmac_f64_e32 v[16:17], v[92:93], v[98:99]
	v_fmac_f64_e32 v[14:15], 0, v[98:99]
	v_fmac_f64_e32 v[22:23], v[94:95], v[98:99]
	v_fmac_f64_e32 v[18:19], 0, v[98:99]
	v_fmac_f64_e32 v[10:11], v[96:97], v[98:99]
	v_fmac_f64_e32 v[20:21], 0, v[98:99]
	v_fmac_f64_e32 v[12:13], 0x80000000, v[100:101]
	v_fmac_f64_e32 v[0:1], v[90:91], v[100:101]
	v_fmac_f64_e32 v[16:17], 0x80000000, v[100:101]
	v_fmac_f64_e32 v[14:15], v[92:93], v[100:101]
	v_fmac_f64_e32 v[22:23], 0x80000000, v[100:101]
	v_fmac_f64_e32 v[18:19], v[94:95], v[100:101]
	v_fmac_f64_e32 v[10:11], 0x80000000, v[100:101]
	v_fmac_f64_e32 v[20:21], v[96:97], v[100:101]
	;; [unrolled: 17-line block ×5, first 2 shown]
	s_wait_loadcnt 0x1
	v_fmac_f64_e32 v[12:13], v[66:67], v[58:59]
	v_fmac_f64_e32 v[0:1], 0, v[58:59]
	;; [unrolled: 1-line block ×4, first 2 shown]
	s_wait_loadcnt 0x0
	v_fmac_f64_e32 v[22:23], v[70:71], v[58:59]
	v_fmac_f64_e32 v[18:19], 0, v[58:59]
	;; [unrolled: 1-line block ×12, first 2 shown]
	s_and_not1_b32 exec_lo, exec_lo, s6
	s_cbranch_execnz .LBB136_31
; %bb.32:
	s_or_b32 exec_lo, exec_lo, s6
.LBB136_33:
	s_delay_alu instid0(SALU_CYCLE_1)
	s_or_b32 exec_lo, exec_lo, s2
.LBB136_34:
	s_delay_alu instid0(SALU_CYCLE_1)
	s_or_b32 exec_lo, exec_lo, s3
.LBB136_35:
	v_mbcnt_lo_u32_b32 v44, -1, 0
	s_delay_alu instid0(VALU_DEP_1) | instskip(NEXT) | instid1(VALU_DEP_1)
	v_xor_b32_e32 v24, 4, v44
	v_cmp_gt_i32_e32 vcc_lo, 32, v24
	v_cndmask_b32_e32 v24, v44, v24, vcc_lo
	s_delay_alu instid0(VALU_DEP_1)
	v_lshlrev_b32_e32 v41, 2, v24
	ds_bpermute_b32 v32, v41, v14
	ds_bpermute_b32 v33, v41, v15
	;; [unrolled: 1-line block ×4, first 2 shown]
	s_wait_dscnt 0x2
	v_add_f64_e32 v[14:15], v[14:15], v[32:33]
	s_wait_dscnt 0x0
	v_add_f64_e32 v[32:33], v[10:11], v[38:39]
	ds_bpermute_b32 v24, v41, v12
	ds_bpermute_b32 v25, v41, v13
	;; [unrolled: 1-line block ×12, first 2 shown]
	s_wait_dscnt 0xa
	v_add_f64_e32 v[12:13], v[12:13], v[24:25]
	s_wait_dscnt 0x8
	v_add_f64_e32 v[24:25], v[0:1], v[28:29]
	s_wait_dscnt 0x6
	v_dual_add_f64 v[16:17], v[16:17], v[30:31] :: v_dual_bitop2_b32 v0, 2, v44 bitop3:0x14
	s_wait_dscnt 0x4
	v_add_f64_e32 v[30:31], v[22:23], v[34:35]
	s_wait_dscnt 0x2
	v_add_f64_e32 v[18:19], v[18:19], v[36:37]
	v_cmp_gt_i32_e32 vcc_lo, 32, v0
	s_wait_dscnt 0x0
	v_add_f64_e32 v[20:21], v[20:21], v[40:41]
	v_cndmask_b32_e32 v0, v44, v0, vcc_lo
	s_delay_alu instid0(VALU_DEP_1)
	v_lshlrev_b32_e32 v28, 2, v0
	ds_bpermute_b32 v34, v28, v14
	ds_bpermute_b32 v35, v28, v15
	ds_bpermute_b32 v40, v28, v32
	ds_bpermute_b32 v41, v28, v33
	ds_bpermute_b32 v0, v28, v12
	ds_bpermute_b32 v1, v28, v13
	ds_bpermute_b32 v10, v28, v24
	ds_bpermute_b32 v11, v28, v25
	ds_bpermute_b32 v22, v28, v16
	ds_bpermute_b32 v23, v28, v17
	ds_bpermute_b32 v36, v28, v30
	ds_bpermute_b32 v37, v28, v31
	ds_bpermute_b32 v38, v28, v18
	ds_bpermute_b32 v39, v28, v19
	ds_bpermute_b32 v42, v28, v20
	ds_bpermute_b32 v43, v28, v21
	s_wait_dscnt 0xa
	v_add_f64_e32 v[0:1], v[12:13], v[0:1]
	s_wait_dscnt 0x8
	v_add_f64_e32 v[28:29], v[24:25], v[10:11]
	;; [unrolled: 2-line block ×3, first 2 shown]
	v_add_f64_e32 v[22:23], v[14:15], v[34:35]
	s_wait_dscnt 0x4
	v_add_f64_e32 v[12:13], v[30:31], v[36:37]
	v_add_f64_e32 v[14:15], v[32:33], v[40:41]
	s_wait_dscnt 0x2
	v_add_f64_e32 v[18:19], v[18:19], v[38:39]
	s_wait_dscnt 0x0
	v_dual_add_f64 v[16:17], v[20:21], v[42:43] :: v_dual_bitop2_b32 v20, 1, v44 bitop3:0x14
	s_delay_alu instid0(VALU_DEP_1) | instskip(SKIP_2) | instid1(VALU_DEP_2)
	v_cmp_gt_i32_e32 vcc_lo, 32, v20
	v_cndmask_b32_e32 v20, v44, v20, vcc_lo
	v_cmp_eq_u32_e32 vcc_lo, 7, v27
	v_lshlrev_b32_e32 v35, 2, v20
	ds_bpermute_b32 v20, v35, v0
	ds_bpermute_b32 v21, v35, v1
	ds_bpermute_b32 v40, v35, v28
	ds_bpermute_b32 v41, v35, v29
	ds_bpermute_b32 v24, v35, v10
	ds_bpermute_b32 v25, v35, v11
	ds_bpermute_b32 v38, v35, v22
	ds_bpermute_b32 v39, v35, v23
	ds_bpermute_b32 v30, v35, v12
	ds_bpermute_b32 v31, v35, v13
	ds_bpermute_b32 v36, v35, v18
	ds_bpermute_b32 v37, v35, v19
	ds_bpermute_b32 v32, v35, v14
	ds_bpermute_b32 v33, v35, v15
	ds_bpermute_b32 v34, v35, v16
	ds_bpermute_b32 v35, v35, v17
	s_and_b32 exec_lo, exec_lo, vcc_lo
	s_cbranch_execz .LBB136_8
; %bb.36:
	s_wait_dscnt 0xc
	v_add_f64_e32 v[28:29], v[28:29], v[40:41]
	s_wait_dscnt 0x8
	v_add_f64_e32 v[38:39], v[22:23], v[38:39]
	;; [unrolled: 2-line block ×4, first 2 shown]
	v_add_f64_e32 v[0:1], v[0:1], v[20:21]
	v_add_f64_e32 v[40:41], v[10:11], v[24:25]
	;; [unrolled: 1-line block ×4, first 2 shown]
	v_cmp_eq_f64_e32 vcc_lo, 0, v[2:3]
	v_cmp_eq_f64_e64 s2, 0, v[4:5]
	s_load_b64 s[0:1], s[0:1], 0x60
	v_mul_f64_e64 v[22:23], v[28:29], -v[8:9]
	v_mul_f64_e32 v[24:25], v[6:7], v[28:29]
	v_mul_f64_e64 v[18:19], v[38:39], -v[8:9]
	v_mul_f64_e32 v[20:21], v[6:7], v[38:39]
	;; [unrolled: 2-line block ×4, first 2 shown]
	s_and_b32 s2, vcc_lo, s2
	v_fmac_f64_e32 v[22:23], v[6:7], v[0:1]
	v_fmac_f64_e32 v[24:25], v[8:9], v[0:1]
	v_fmac_f64_e32 v[18:19], v[6:7], v[40:41]
	v_fmac_f64_e32 v[20:21], v[8:9], v[40:41]
	v_fmac_f64_e32 v[14:15], v[6:7], v[30:31]
	v_fmac_f64_e32 v[16:17], v[8:9], v[30:31]
	v_fmac_f64_e32 v[10:11], v[6:7], v[32:33]
	v_fmac_f64_e32 v[12:13], v[8:9], v[32:33]
	v_lshlrev_b32_e32 v0, 2, v26
	s_and_saveexec_b32 s3, s2
	s_delay_alu instid0(SALU_CYCLE_1)
	s_xor_b32 s2, exec_lo, s3
	s_cbranch_execz .LBB136_38
; %bb.37:
	s_wait_kmcnt 0x0
	s_clause 0x3
	global_store_b128 v0, v[22:25], s[0:1] scale_offset
	global_store_b128 v0, v[18:21], s[0:1] offset:16 scale_offset
	global_store_b128 v0, v[14:17], s[0:1] offset:32 scale_offset
	;; [unrolled: 1-line block ×3, first 2 shown]
                                        ; implicit-def: $vgpr4_vgpr5
                                        ; implicit-def: $vgpr22_vgpr23
                                        ; implicit-def: $vgpr0
                                        ; implicit-def: $vgpr18_vgpr19
                                        ; implicit-def: $vgpr14_vgpr15
                                        ; implicit-def: $vgpr10_vgpr11
.LBB136_38:
	s_wait_xcnt 0x0
	s_and_not1_saveexec_b32 s2, s2
	s_cbranch_execz .LBB136_8
; %bb.39:
	s_wait_kmcnt 0x0
	s_clause 0x3
	global_load_b128 v[6:9], v0, s[0:1] scale_offset
	global_load_b128 v[26:29], v0, s[0:1] offset:16 scale_offset
	global_load_b128 v[30:33], v0, s[0:1] offset:32 scale_offset
	;; [unrolled: 1-line block ×3, first 2 shown]
	s_wait_loadcnt 0x3
	v_fmac_f64_e32 v[22:23], v[2:3], v[6:7]
	v_fmac_f64_e32 v[24:25], v[4:5], v[6:7]
	s_wait_loadcnt 0x2
	v_fmac_f64_e32 v[18:19], v[2:3], v[26:27]
	v_fmac_f64_e32 v[20:21], v[4:5], v[26:27]
	;; [unrolled: 3-line block ×4, first 2 shown]
	v_fma_f64 v[22:23], -v[4:5], v[8:9], v[22:23]
	v_fmac_f64_e32 v[24:25], v[2:3], v[8:9]
	v_fma_f64 v[18:19], -v[4:5], v[28:29], v[18:19]
	v_fmac_f64_e32 v[20:21], v[2:3], v[28:29]
	;; [unrolled: 2-line block ×4, first 2 shown]
	s_clause 0x3
	global_store_b128 v0, v[22:25], s[0:1] scale_offset
	global_store_b128 v0, v[18:21], s[0:1] offset:16 scale_offset
	global_store_b128 v0, v[14:17], s[0:1] offset:32 scale_offset
	;; [unrolled: 1-line block ×3, first 2 shown]
	s_sendmsg sendmsg(MSG_DEALLOC_VGPRS)
	s_endpgm
	.section	.rodata,"a",@progbits
	.p2align	6, 0x0
	.amdhsa_kernel _ZN9rocsparseL18bsrxmvn_4x4_kernelILj128ELj8E21rocsparse_complex_numIdEiidS2_S2_EEvT3_20rocsparse_direction_NS_24const_host_device_scalarIT1_EES3_PKS3_PKT2_SC_S9_PKT4_PKT5_S7_PT6_21rocsparse_index_base_b
		.amdhsa_group_segment_fixed_size 0
		.amdhsa_private_segment_fixed_size 0
		.amdhsa_kernarg_size 112
		.amdhsa_user_sgpr_count 2
		.amdhsa_user_sgpr_dispatch_ptr 0
		.amdhsa_user_sgpr_queue_ptr 0
		.amdhsa_user_sgpr_kernarg_segment_ptr 1
		.amdhsa_user_sgpr_dispatch_id 0
		.amdhsa_user_sgpr_kernarg_preload_length 0
		.amdhsa_user_sgpr_kernarg_preload_offset 0
		.amdhsa_user_sgpr_private_segment_size 0
		.amdhsa_wavefront_size32 1
		.amdhsa_uses_dynamic_stack 0
		.amdhsa_enable_private_segment 0
		.amdhsa_system_sgpr_workgroup_id_x 1
		.amdhsa_system_sgpr_workgroup_id_y 0
		.amdhsa_system_sgpr_workgroup_id_z 0
		.amdhsa_system_sgpr_workgroup_info 0
		.amdhsa_system_vgpr_workitem_id 0
		.amdhsa_next_free_vgpr 122
		.amdhsa_next_free_sgpr 14
		.amdhsa_named_barrier_count 0
		.amdhsa_reserve_vcc 1
		.amdhsa_float_round_mode_32 0
		.amdhsa_float_round_mode_16_64 0
		.amdhsa_float_denorm_mode_32 3
		.amdhsa_float_denorm_mode_16_64 3
		.amdhsa_fp16_overflow 0
		.amdhsa_memory_ordered 1
		.amdhsa_forward_progress 1
		.amdhsa_inst_pref_size 59
		.amdhsa_round_robin_scheduling 0
		.amdhsa_exception_fp_ieee_invalid_op 0
		.amdhsa_exception_fp_denorm_src 0
		.amdhsa_exception_fp_ieee_div_zero 0
		.amdhsa_exception_fp_ieee_overflow 0
		.amdhsa_exception_fp_ieee_underflow 0
		.amdhsa_exception_fp_ieee_inexact 0
		.amdhsa_exception_int_div_zero 0
	.end_amdhsa_kernel
	.section	.text._ZN9rocsparseL18bsrxmvn_4x4_kernelILj128ELj8E21rocsparse_complex_numIdEiidS2_S2_EEvT3_20rocsparse_direction_NS_24const_host_device_scalarIT1_EES3_PKS3_PKT2_SC_S9_PKT4_PKT5_S7_PT6_21rocsparse_index_base_b,"axG",@progbits,_ZN9rocsparseL18bsrxmvn_4x4_kernelILj128ELj8E21rocsparse_complex_numIdEiidS2_S2_EEvT3_20rocsparse_direction_NS_24const_host_device_scalarIT1_EES3_PKS3_PKT2_SC_S9_PKT4_PKT5_S7_PT6_21rocsparse_index_base_b,comdat
.Lfunc_end136:
	.size	_ZN9rocsparseL18bsrxmvn_4x4_kernelILj128ELj8E21rocsparse_complex_numIdEiidS2_S2_EEvT3_20rocsparse_direction_NS_24const_host_device_scalarIT1_EES3_PKS3_PKT2_SC_S9_PKT4_PKT5_S7_PT6_21rocsparse_index_base_b, .Lfunc_end136-_ZN9rocsparseL18bsrxmvn_4x4_kernelILj128ELj8E21rocsparse_complex_numIdEiidS2_S2_EEvT3_20rocsparse_direction_NS_24const_host_device_scalarIT1_EES3_PKS3_PKT2_SC_S9_PKT4_PKT5_S7_PT6_21rocsparse_index_base_b
                                        ; -- End function
	.set _ZN9rocsparseL18bsrxmvn_4x4_kernelILj128ELj8E21rocsparse_complex_numIdEiidS2_S2_EEvT3_20rocsparse_direction_NS_24const_host_device_scalarIT1_EES3_PKS3_PKT2_SC_S9_PKT4_PKT5_S7_PT6_21rocsparse_index_base_b.num_vgpr, 122
	.set _ZN9rocsparseL18bsrxmvn_4x4_kernelILj128ELj8E21rocsparse_complex_numIdEiidS2_S2_EEvT3_20rocsparse_direction_NS_24const_host_device_scalarIT1_EES3_PKS3_PKT2_SC_S9_PKT4_PKT5_S7_PT6_21rocsparse_index_base_b.num_agpr, 0
	.set _ZN9rocsparseL18bsrxmvn_4x4_kernelILj128ELj8E21rocsparse_complex_numIdEiidS2_S2_EEvT3_20rocsparse_direction_NS_24const_host_device_scalarIT1_EES3_PKS3_PKT2_SC_S9_PKT4_PKT5_S7_PT6_21rocsparse_index_base_b.numbered_sgpr, 14
	.set _ZN9rocsparseL18bsrxmvn_4x4_kernelILj128ELj8E21rocsparse_complex_numIdEiidS2_S2_EEvT3_20rocsparse_direction_NS_24const_host_device_scalarIT1_EES3_PKS3_PKT2_SC_S9_PKT4_PKT5_S7_PT6_21rocsparse_index_base_b.num_named_barrier, 0
	.set _ZN9rocsparseL18bsrxmvn_4x4_kernelILj128ELj8E21rocsparse_complex_numIdEiidS2_S2_EEvT3_20rocsparse_direction_NS_24const_host_device_scalarIT1_EES3_PKS3_PKT2_SC_S9_PKT4_PKT5_S7_PT6_21rocsparse_index_base_b.private_seg_size, 0
	.set _ZN9rocsparseL18bsrxmvn_4x4_kernelILj128ELj8E21rocsparse_complex_numIdEiidS2_S2_EEvT3_20rocsparse_direction_NS_24const_host_device_scalarIT1_EES3_PKS3_PKT2_SC_S9_PKT4_PKT5_S7_PT6_21rocsparse_index_base_b.uses_vcc, 1
	.set _ZN9rocsparseL18bsrxmvn_4x4_kernelILj128ELj8E21rocsparse_complex_numIdEiidS2_S2_EEvT3_20rocsparse_direction_NS_24const_host_device_scalarIT1_EES3_PKS3_PKT2_SC_S9_PKT4_PKT5_S7_PT6_21rocsparse_index_base_b.uses_flat_scratch, 0
	.set _ZN9rocsparseL18bsrxmvn_4x4_kernelILj128ELj8E21rocsparse_complex_numIdEiidS2_S2_EEvT3_20rocsparse_direction_NS_24const_host_device_scalarIT1_EES3_PKS3_PKT2_SC_S9_PKT4_PKT5_S7_PT6_21rocsparse_index_base_b.has_dyn_sized_stack, 0
	.set _ZN9rocsparseL18bsrxmvn_4x4_kernelILj128ELj8E21rocsparse_complex_numIdEiidS2_S2_EEvT3_20rocsparse_direction_NS_24const_host_device_scalarIT1_EES3_PKS3_PKT2_SC_S9_PKT4_PKT5_S7_PT6_21rocsparse_index_base_b.has_recursion, 0
	.set _ZN9rocsparseL18bsrxmvn_4x4_kernelILj128ELj8E21rocsparse_complex_numIdEiidS2_S2_EEvT3_20rocsparse_direction_NS_24const_host_device_scalarIT1_EES3_PKS3_PKT2_SC_S9_PKT4_PKT5_S7_PT6_21rocsparse_index_base_b.has_indirect_call, 0
	.section	.AMDGPU.csdata,"",@progbits
; Kernel info:
; codeLenInByte = 7456
; TotalNumSgprs: 16
; NumVgprs: 122
; ScratchSize: 0
; MemoryBound: 0
; FloatMode: 240
; IeeeMode: 1
; LDSByteSize: 0 bytes/workgroup (compile time only)
; SGPRBlocks: 0
; VGPRBlocks: 7
; NumSGPRsForWavesPerEU: 16
; NumVGPRsForWavesPerEU: 122
; NamedBarCnt: 0
; Occupancy: 8
; WaveLimiterHint : 1
; COMPUTE_PGM_RSRC2:SCRATCH_EN: 0
; COMPUTE_PGM_RSRC2:USER_SGPR: 2
; COMPUTE_PGM_RSRC2:TRAP_HANDLER: 0
; COMPUTE_PGM_RSRC2:TGID_X_EN: 1
; COMPUTE_PGM_RSRC2:TGID_Y_EN: 0
; COMPUTE_PGM_RSRC2:TGID_Z_EN: 0
; COMPUTE_PGM_RSRC2:TIDIG_COMP_CNT: 0
	.section	.text._ZN9rocsparseL18bsrxmvn_4x4_kernelILj128ELj16E21rocsparse_complex_numIdEiidS2_S2_EEvT3_20rocsparse_direction_NS_24const_host_device_scalarIT1_EES3_PKS3_PKT2_SC_S9_PKT4_PKT5_S7_PT6_21rocsparse_index_base_b,"axG",@progbits,_ZN9rocsparseL18bsrxmvn_4x4_kernelILj128ELj16E21rocsparse_complex_numIdEiidS2_S2_EEvT3_20rocsparse_direction_NS_24const_host_device_scalarIT1_EES3_PKS3_PKT2_SC_S9_PKT4_PKT5_S7_PT6_21rocsparse_index_base_b,comdat
	.globl	_ZN9rocsparseL18bsrxmvn_4x4_kernelILj128ELj16E21rocsparse_complex_numIdEiidS2_S2_EEvT3_20rocsparse_direction_NS_24const_host_device_scalarIT1_EES3_PKS3_PKT2_SC_S9_PKT4_PKT5_S7_PT6_21rocsparse_index_base_b ; -- Begin function _ZN9rocsparseL18bsrxmvn_4x4_kernelILj128ELj16E21rocsparse_complex_numIdEiidS2_S2_EEvT3_20rocsparse_direction_NS_24const_host_device_scalarIT1_EES3_PKS3_PKT2_SC_S9_PKT4_PKT5_S7_PT6_21rocsparse_index_base_b
	.p2align	8
	.type	_ZN9rocsparseL18bsrxmvn_4x4_kernelILj128ELj16E21rocsparse_complex_numIdEiidS2_S2_EEvT3_20rocsparse_direction_NS_24const_host_device_scalarIT1_EES3_PKS3_PKT2_SC_S9_PKT4_PKT5_S7_PT6_21rocsparse_index_base_b,@function
_ZN9rocsparseL18bsrxmvn_4x4_kernelILj128ELj16E21rocsparse_complex_numIdEiidS2_S2_EEvT3_20rocsparse_direction_NS_24const_host_device_scalarIT1_EES3_PKS3_PKT2_SC_S9_PKT4_PKT5_S7_PT6_21rocsparse_index_base_b: ; @_ZN9rocsparseL18bsrxmvn_4x4_kernelILj128ELj16E21rocsparse_complex_numIdEiidS2_S2_EEvT3_20rocsparse_direction_NS_24const_host_device_scalarIT1_EES3_PKS3_PKT2_SC_S9_PKT4_PKT5_S7_PT6_21rocsparse_index_base_b
; %bb.0:
	s_clause 0x1
	s_load_b64 s[12:13], s[0:1], 0x68
	s_load_b64 s[2:3], s[0:1], 0x8
	v_mov_b32_e32 v1, 0
	s_add_nc_u64 s[4:5], s[0:1], 8
	s_load_b64 s[6:7], s[0:1], 0x50
	s_wait_kmcnt 0x0
	s_bitcmp1_b32 s13, 0
	s_cselect_b32 s3, s5, s3
	s_cselect_b32 s2, s4, s2
	flat_load_b128 v[6:9], v1, s[2:3]
	s_wait_xcnt 0x0
	s_add_nc_u64 s[2:3], s[0:1], 0x50
	s_delay_alu instid0(SALU_CYCLE_1)
	s_cselect_b32 s3, s3, s7
	s_cselect_b32 s2, s2, s6
	flat_load_b128 v[2:5], v1, s[2:3]
	s_wait_loadcnt_dscnt 0x101
	v_cmp_eq_f64_e32 vcc_lo, 0, v[6:7]
	s_wait_xcnt 0x0
	v_cmp_eq_f64_e64 s2, 0, v[8:9]
	s_and_b32 s4, vcc_lo, s2
	s_mov_b32 s2, -1
	s_and_saveexec_b32 s3, s4
	s_cbranch_execz .LBB137_2
; %bb.1:
	s_wait_loadcnt_dscnt 0x0
	v_cmp_neq_f64_e32 vcc_lo, 1.0, v[2:3]
	v_cmp_neq_f64_e64 s2, 0, v[4:5]
	s_or_b32 s2, vcc_lo, s2
	s_delay_alu instid0(SALU_CYCLE_1)
	s_or_not1_b32 s2, s2, exec_lo
.LBB137_2:
	s_or_b32 exec_lo, exec_lo, s3
	s_and_saveexec_b32 s3, s2
	s_cbranch_execz .LBB137_8
; %bb.3:
	s_clause 0x1
	s_load_b64 s[4:5], s[0:1], 0x20
	s_load_b64 s[2:3], s[0:1], 0x0
	s_bfe_u32 s6, ttmp6, 0x4000c
	s_and_b32 s7, ttmp6, 15
	s_add_co_i32 s6, s6, 1
	s_getreg_b32 s8, hwreg(HW_REG_IB_STS2, 6, 4)
	s_mul_i32 s6, ttmp9, s6
	v_lshrrev_b32_e32 v1, 4, v0
	s_add_co_i32 s7, s7, s6
	s_cmp_eq_u32 s8, 0
	s_cselect_b32 s6, ttmp9, s7
	s_delay_alu instid0(VALU_DEP_1) | instid1(SALU_CYCLE_1)
	v_lshl_or_b32 v26, s6, 3, v1
	s_mov_b32 s6, 0
	s_wait_kmcnt 0x0
	s_cmp_lg_u64 s[4:5], 0
	s_cbranch_scc0 .LBB137_9
; %bb.4:
	s_load_b32 s6, s[0:1], 0x18
	s_mov_b32 s7, 0
                                        ; implicit-def: $vgpr1
	s_wait_kmcnt 0x0
	v_cmp_gt_i32_e32 vcc_lo, s6, v26
	s_mov_b32 s6, 0
	s_and_saveexec_b32 s8, vcc_lo
	s_delay_alu instid0(SALU_CYCLE_1)
	s_xor_b32 s8, exec_lo, s8
	s_cbranch_execz .LBB137_6
; %bb.5:
	global_load_b32 v1, v26, s[4:5] scale_offset
	s_mov_b32 s6, exec_lo
	s_wait_loadcnt 0x0
	v_subrev_nc_u32_e32 v1, s12, v1
.LBB137_6:
	s_or_b32 exec_lo, exec_lo, s8
	s_delay_alu instid0(SALU_CYCLE_1)
	s_and_b32 vcc_lo, exec_lo, s7
	s_cbranch_vccz .LBB137_10
.LBB137_7:
	v_cmp_gt_i32_e32 vcc_lo, s2, v26
	s_and_not1_b32 s2, s6, exec_lo
	s_and_b32 s4, vcc_lo, exec_lo
	s_delay_alu instid0(SALU_CYCLE_1) | instskip(NEXT) | instid1(SALU_CYCLE_1)
	s_or_b32 s6, s2, s4
	s_and_b32 exec_lo, exec_lo, s6
	s_cbranch_execnz .LBB137_11
.LBB137_8:
	s_sendmsg sendmsg(MSG_DEALLOC_VGPRS)
	s_endpgm
.LBB137_9:
                                        ; implicit-def: $vgpr1
	s_cbranch_execnz .LBB137_7
.LBB137_10:
	s_delay_alu instid0(VALU_DEP_1)
	v_mov_b32_e32 v26, v1
	s_and_b32 exec_lo, exec_lo, s6
	s_cbranch_execz .LBB137_8
.LBB137_11:
	s_load_b256 s[4:11], s[0:1], 0x28
	s_wait_kmcnt 0x0
	global_load_b32 v32, v26, s[4:5] scale_offset
	s_cmp_eq_u64 s[6:7], 0
	s_cselect_b32 vcc_lo, -1, 0
	v_ashrrev_i32_e32 v27, 31, v26
	s_cmp_eq_u32 s3, 1
	s_delay_alu instid0(VALU_DEP_1) | instskip(SKIP_1) | instid1(VALU_DEP_2)
	v_lshlrev_b64_e32 v[10:11], 2, v[26:27]
	v_and_b32_e32 v27, 15, v0
	v_add_nc_u64_e32 v[12:13], s[4:5], v[10:11]
	v_add_nc_u64_e32 v[10:11], s[6:7], v[10:11]
	s_wait_xcnt 0x0
	s_load_b64 s[4:5], s[0:1], 0x48
	s_delay_alu instid0(VALU_DEP_2) | instskip(NEXT) | instid1(VALU_DEP_1)
	v_add_nc_u64_e32 v[12:13], 4, v[12:13]
	v_cndmask_b32_e32 v11, v11, v13, vcc_lo
	s_wait_loadcnt 0x0
	v_subrev_nc_u32_e32 v0, s12, v32
	s_delay_alu instid0(VALU_DEP_1) | instskip(SKIP_2) | instid1(VALU_DEP_1)
	v_dual_cndmask_b32 v10, v10, v12, vcc_lo :: v_dual_add_nc_u32 v24, v0, v27
	global_load_b32 v10, v[10:11], off
	v_ashrrev_i32_e32 v25, 31, v24
	v_lshlrev_b64_e32 v[0:1], 7, v[24:25]
	s_delay_alu instid0(VALU_DEP_1) | instskip(SKIP_2) | instid1(VALU_DEP_1)
	v_add_nc_u64_e32 v[28:29], s[10:11], v[0:1]
	s_wait_loadcnt 0x0
	v_subrev_nc_u32_e32 v25, s12, v10
	v_cmp_lt_i32_e64 s2, v24, v25
	s_cbranch_scc1 .LBB137_23
; %bb.12:
	v_mov_b64_e32 v[0:1], 0
	v_mov_b64_e32 v[12:13], 0
	;; [unrolled: 1-line block ×8, first 2 shown]
	s_and_saveexec_b32 s3, s2
	s_cbranch_execz .LBB137_22
; %bb.13:
	v_add_nc_u32_e32 v0, v32, v27
	v_not_b32_e32 v1, v32
	v_mov_b64_e32 v[10:11], 0
	v_mov_b64_e32 v[20:21], 0
	;; [unrolled: 1-line block ×3, first 2 shown]
	v_subrev_nc_u32_e32 v0, s12, v0
	v_mov_b64_e32 v[18:19], 0
	v_mov_b64_e32 v[16:17], 0
	;; [unrolled: 1-line block ×4, first 2 shown]
	v_add_max_i32_e64 v0, v0, 16, v25
	v_mov_b64_e32 v[30:31], v[28:29]
	s_delay_alu instid0(VALU_DEP_2) | instskip(NEXT) | instid1(VALU_DEP_1)
	v_add3_u32 v0, s12, v0, v1
	v_sub_nc_u32_e32 v34, v0, v27
	v_mov_b64_e32 v[0:1], 0
	s_delay_alu instid0(VALU_DEP_2) | instskip(NEXT) | instid1(VALU_DEP_1)
	v_and_b32_e32 v33, 48, v34
	v_cmp_ne_u32_e32 vcc_lo, 48, v33
	v_mov_b32_e32 v33, v24
	s_and_saveexec_b32 s6, vcc_lo
	s_cbranch_execz .LBB137_17
; %bb.14:
	v_dual_mov_b32 v33, v24 :: v_dual_lshrrev_b32 v10, 4, v34
	v_mov_b64_e32 v[0:1], 0
	v_mov_b64_e32 v[12:13], 0
	;; [unrolled: 1-line block ×3, first 2 shown]
	s_delay_alu instid0(VALU_DEP_4)
	v_add_nc_u32_e32 v10, 1, v10
	v_mov_b64_e32 v[16:17], 0
	v_mov_b64_e32 v[18:19], 0
	v_mov_b64_e32 v[22:23], 0
	v_mov_b64_e32 v[20:21], 0
	v_and_b32_e32 v30, 3, v10
	v_mov_b64_e32 v[10:11], 0
	s_mov_b32 s7, 0
	s_delay_alu instid0(VALU_DEP_2)
	v_sub_nc_u32_e32 v35, 0, v30
	v_mov_b64_e32 v[30:31], v[28:29]
.LBB137_15:                             ; =>This Inner Loop Header: Depth=1
	global_load_b32 v68, v33, s[8:9] scale_offset
	s_clause 0x7
	global_load_b128 v[36:39], v[30:31], off offset:48
	global_load_b128 v[40:43], v[30:31], off offset:32
	;; [unrolled: 1-line block ×3, first 2 shown]
	global_load_b128 v[48:51], v[30:31], off
	global_load_b128 v[52:55], v[30:31], off offset:112
	global_load_b128 v[56:59], v[30:31], off offset:96
	;; [unrolled: 1-line block ×4, first 2 shown]
	s_wait_xcnt 0x0
	v_add_nc_u64_e32 v[30:31], 0x800, v[30:31]
	v_add_co_u32 v35, s10, v35, 1
	s_or_b32 s7, s10, s7
	v_add_nc_u32_e32 v33, 16, v33
	s_wait_loadcnt 0x8
	v_subrev_nc_u32_e32 v68, s12, v68
	s_delay_alu instid0(VALU_DEP_1)
	v_lshlrev_b32_e32 v84, 2, v68
	s_wait_kmcnt 0x0
	s_clause 0x3
	global_load_b128 v[68:71], v84, s[4:5] scale_offset
	global_load_b128 v[72:75], v84, s[4:5] offset:16 scale_offset
	global_load_b128 v[76:79], v84, s[4:5] offset:32 scale_offset
	;; [unrolled: 1-line block ×3, first 2 shown]
	s_wait_loadcnt 0x3
	v_fmac_f64_e32 v[12:13], v[48:49], v[68:69]
	v_fmac_f64_e32 v[0:1], 0, v[68:69]
	v_fmac_f64_e32 v[16:17], v[40:41], v[68:69]
	v_fmac_f64_e32 v[14:15], 0, v[68:69]
	v_fmac_f64_e32 v[22:23], v[64:65], v[68:69]
	v_fmac_f64_e32 v[18:19], 0, v[68:69]
	v_fmac_f64_e32 v[10:11], v[56:57], v[68:69]
	v_fmac_f64_e32 v[20:21], 0, v[68:69]
	v_fmac_f64_e32 v[12:13], 0x80000000, v[70:71]
	v_fmac_f64_e32 v[0:1], v[48:49], v[70:71]
	v_fmac_f64_e32 v[16:17], 0x80000000, v[70:71]
	v_fmac_f64_e32 v[14:15], v[40:41], v[70:71]
	v_fmac_f64_e32 v[22:23], 0x80000000, v[70:71]
	v_fmac_f64_e32 v[18:19], v[64:65], v[70:71]
	v_fmac_f64_e32 v[10:11], 0x80000000, v[70:71]
	v_fmac_f64_e32 v[20:21], v[56:57], v[70:71]
	s_wait_loadcnt 0x2
	v_fmac_f64_e32 v[12:13], v[50:51], v[72:73]
	v_fmac_f64_e32 v[0:1], 0, v[72:73]
	v_fmac_f64_e32 v[16:17], v[42:43], v[72:73]
	v_fmac_f64_e32 v[14:15], 0, v[72:73]
	v_fmac_f64_e32 v[22:23], v[66:67], v[72:73]
	v_fmac_f64_e32 v[18:19], 0, v[72:73]
	v_fmac_f64_e32 v[10:11], v[58:59], v[72:73]
	v_fmac_f64_e32 v[20:21], 0, v[72:73]
	v_fmac_f64_e32 v[12:13], 0x80000000, v[74:75]
	v_fmac_f64_e32 v[0:1], v[50:51], v[74:75]
	v_fmac_f64_e32 v[16:17], 0x80000000, v[74:75]
	v_fmac_f64_e32 v[14:15], v[42:43], v[74:75]
	v_fmac_f64_e32 v[22:23], 0x80000000, v[74:75]
	v_fmac_f64_e32 v[18:19], v[66:67], v[74:75]
	v_fmac_f64_e32 v[10:11], 0x80000000, v[74:75]
	v_fmac_f64_e32 v[20:21], v[58:59], v[74:75]
	;; [unrolled: 17-line block ×4, first 2 shown]
	s_and_not1_b32 exec_lo, exec_lo, s7
	s_cbranch_execnz .LBB137_15
; %bb.16:
	s_or_b32 exec_lo, exec_lo, s7
.LBB137_17:
	s_delay_alu instid0(SALU_CYCLE_1) | instskip(NEXT) | instid1(SALU_CYCLE_1)
	s_or_b32 exec_lo, exec_lo, s6
	s_mov_b32 s6, exec_lo
	v_cmpx_lt_u32_e32 47, v34
	s_cbranch_execz .LBB137_21
; %bb.18:
	s_mov_b32 s7, 0
.LBB137_19:                             ; =>This Inner Loop Header: Depth=1
	global_load_b32 v110, v33, s[8:9] scale_offset
	s_clause 0xf
	global_load_b128 v[34:37], v[30:31], off offset:48
	global_load_b128 v[38:41], v[30:31], off offset:32
	;; [unrolled: 1-line block ×3, first 2 shown]
	global_load_b128 v[46:49], v[30:31], off
	global_load_b128 v[50:53], v[30:31], off offset:112
	global_load_b128 v[54:57], v[30:31], off offset:96
	;; [unrolled: 1-line block ×12, first 2 shown]
	s_clause 0x2
	global_load_b32 v118, v33, s[8:9] offset:64 scale_offset
	global_load_b32 v119, v33, s[8:9] offset:128 scale_offset
	;; [unrolled: 1-line block ×3, first 2 shown]
	s_clause 0x2
	global_load_b128 v[98:101], v[30:31], off offset:4144
	global_load_b128 v[102:105], v[30:31], off offset:4128
	;; [unrolled: 1-line block ×3, first 2 shown]
	s_wait_xcnt 0x3
	v_add_nc_u32_e32 v33, 64, v33
	s_delay_alu instid0(VALU_DEP_1) | instskip(SKIP_3) | instid1(VALU_DEP_1)
	v_cmp_ge_i32_e32 vcc_lo, v33, v25
	s_or_b32 s7, vcc_lo, s7
	s_wait_loadcnt 0x16
	v_subrev_nc_u32_e32 v110, s12, v110
	v_lshlrev_b32_e32 v121, 2, v110
	s_wait_kmcnt 0x0
	s_clause 0x1
	global_load_b128 v[110:113], v121, s[4:5] scale_offset
	global_load_b128 v[114:117], v121, s[4:5] offset:16 scale_offset
	s_wait_loadcnt 0x1
	v_fmac_f64_e32 v[20:21], 0, v[110:111]
	v_fmac_f64_e32 v[10:11], v[54:55], v[110:111]
	;; [unrolled: 1-line block ×16, first 2 shown]
	global_load_b128 v[110:113], v[30:31], off offset:4096
	s_wait_loadcnt 0x1
	v_fmac_f64_e32 v[20:21], 0, v[114:115]
	v_fmac_f64_e32 v[10:11], v[56:57], v[114:115]
	;; [unrolled: 1-line block ×9, first 2 shown]
	global_load_b128 v[54:57], v121, s[4:5] offset:32 scale_offset
	v_fmac_f64_e32 v[0:1], v[48:49], v[116:117]
	v_fmac_f64_e32 v[12:13], 0x80000000, v[116:117]
	;; [unrolled: 1-line block ×7, first 2 shown]
	global_load_b128 v[114:117], v121, s[4:5] offset:48 scale_offset
	s_clause 0x2
	global_load_b128 v[38:41], v[30:31], off offset:4192
	global_load_b128 v[62:65], v[30:31], off offset:4176
	;; [unrolled: 1-line block ×3, first 2 shown]
	s_wait_loadcnt 0x4
	v_fmac_f64_e32 v[20:21], 0, v[54:55]
	v_fmac_f64_e32 v[10:11], v[50:51], v[54:55]
	;; [unrolled: 1-line block ×10, first 2 shown]
	v_subrev_nc_u32_e32 v50, s12, v118
	v_fmac_f64_e32 v[0:1], v[42:43], v[56:57]
	v_fmac_f64_e32 v[12:13], 0x80000000, v[56:57]
	;; [unrolled: 1-line block ×4, first 2 shown]
	v_lshlrev_b32_e32 v118, 2, v50
	v_fmac_f64_e32 v[22:23], 0x80000000, v[56:57]
	v_fmac_f64_e32 v[18:19], v[58:59], v[56:57]
	global_load_b128 v[54:57], v[30:31], off offset:4160
	s_wait_loadcnt 0x4
	v_fmac_f64_e32 v[20:21], 0, v[114:115]
	v_fmac_f64_e32 v[10:11], v[52:53], v[114:115]
	;; [unrolled: 1-line block ×9, first 2 shown]
	global_load_b128 v[50:53], v118, s[4:5] scale_offset
	v_fmac_f64_e32 v[10:11], 0x80000000, v[116:117]
	v_fmac_f64_e32 v[0:1], v[44:45], v[116:117]
	;; [unrolled: 1-line block ×5, first 2 shown]
	global_load_b128 v[42:45], v[30:31], off offset:6192
	v_fmac_f64_e32 v[22:23], 0x80000000, v[116:117]
	v_fmac_f64_e32 v[18:19], v[60:61], v[116:117]
	global_load_b128 v[114:117], v118, s[4:5] offset:16 scale_offset
	s_clause 0x1
	global_load_b128 v[34:37], v[30:31], off offset:6176
	global_load_b128 v[58:61], v[30:31], off offset:6160
	s_wait_loadcnt 0x4
	v_fmac_f64_e32 v[0:1], 0, v[50:51]
	v_fmac_f64_e32 v[12:13], v[78:79], v[50:51]
	v_fmac_f64_e32 v[14:15], 0, v[50:51]
	v_fmac_f64_e32 v[16:17], v[70:71], v[50:51]
	v_fmac_f64_e32 v[18:19], 0, v[50:51]
	v_fmac_f64_e32 v[22:23], v[94:95], v[50:51]
	v_fmac_f64_e32 v[20:21], 0, v[50:51]
	v_fmac_f64_e32 v[10:11], v[86:87], v[50:51]
	v_fmac_f64_e32 v[0:1], v[78:79], v[52:53]
	v_fmac_f64_e32 v[12:13], 0x80000000, v[52:53]
	v_fmac_f64_e32 v[14:15], v[70:71], v[52:53]
	v_fmac_f64_e32 v[16:17], 0x80000000, v[52:53]
	v_subrev_nc_u32_e32 v70, s12, v119
	v_fmac_f64_e32 v[18:19], v[94:95], v[52:53]
	v_fmac_f64_e32 v[22:23], 0x80000000, v[52:53]
	;; [unrolled: 1-line block ×4, first 2 shown]
	v_lshlrev_b32_e32 v119, 2, v70
	global_load_b128 v[50:53], v[30:31], off offset:6144
	s_wait_loadcnt 0x3
	v_fmac_f64_e32 v[0:1], 0, v[114:115]
	v_fmac_f64_e32 v[12:13], v[80:81], v[114:115]
	;; [unrolled: 1-line block ×9, first 2 shown]
	global_load_b128 v[78:81], v118, s[4:5] offset:32 scale_offset
	v_fmac_f64_e32 v[14:15], v[72:73], v[116:117]
	global_load_b128 v[70:73], v118, s[4:5] offset:48 scale_offset
	v_fmac_f64_e32 v[12:13], 0x80000000, v[116:117]
	v_fmac_f64_e32 v[18:19], v[96:97], v[116:117]
	global_load_b128 v[94:97], v119, s[4:5] scale_offset
	v_fmac_f64_e32 v[20:21], v[88:89], v[116:117]
	global_load_b128 v[86:89], v119, s[4:5] offset:16 scale_offset
	v_fmac_f64_e32 v[16:17], 0x80000000, v[116:117]
	v_fmac_f64_e32 v[22:23], 0x80000000, v[116:117]
	;; [unrolled: 1-line block ×3, first 2 shown]
	global_load_b128 v[114:117], v119, s[4:5] offset:32 scale_offset
	s_wait_loadcnt 0x4
	v_fmac_f64_e32 v[0:1], 0, v[78:79]
	v_fmac_f64_e32 v[12:13], v[74:75], v[78:79]
	;; [unrolled: 1-line block ×16, first 2 shown]
	v_subrev_nc_u32_e32 v82, s12, v120
	global_load_b128 v[78:81], v[30:31], off offset:6240
	s_wait_xcnt 0x4
	v_lshlrev_b32_e32 v118, 2, v82
	s_wait_loadcnt 0x4
	v_fmac_f64_e32 v[0:1], 0, v[70:71]
	v_fmac_f64_e32 v[12:13], v[76:77], v[70:71]
	;; [unrolled: 1-line block ×9, first 2 shown]
	global_load_b128 v[74:77], v119, s[4:5] offset:48 scale_offset
	v_fmac_f64_e32 v[14:15], v[68:69], v[72:73]
	global_load_b128 v[66:69], v[30:31], off offset:6208
	v_fmac_f64_e32 v[18:19], v[92:93], v[72:73]
	global_load_b128 v[90:93], v118, s[4:5] scale_offset
	v_fmac_f64_e32 v[12:13], 0x80000000, v[72:73]
	v_fmac_f64_e32 v[20:21], v[84:85], v[72:73]
	;; [unrolled: 1-line block ×5, first 2 shown]
	global_load_b128 v[70:73], v118, s[4:5] offset:16 scale_offset
	global_load_b128 v[82:85], v[30:31], off offset:6256
	s_wait_loadcnt 0x8
	v_fmac_f64_e32 v[0:1], 0, v[94:95]
	v_fmac_f64_e32 v[14:15], 0, v[94:95]
	;; [unrolled: 1-line block ×16, first 2 shown]
	global_load_b128 v[94:97], v[30:31], off offset:6224
	s_wait_xcnt 0x0
	v_add_nc_u64_e32 v[30:31], 0x2000, v[30:31]
	s_wait_loadcnt 0x8
	v_fmac_f64_e32 v[0:1], 0, v[86:87]
	v_fmac_f64_e32 v[14:15], 0, v[86:87]
	;; [unrolled: 1-line block ×9, first 2 shown]
	global_load_b128 v[110:113], v118, s[4:5] offset:32 scale_offset
	v_fmac_f64_e32 v[14:15], v[104:105], v[88:89]
	v_fmac_f64_e32 v[18:19], v[56:57], v[88:89]
	;; [unrolled: 1-line block ×7, first 2 shown]
	global_load_b128 v[38:41], v118, s[4:5] offset:48 scale_offset
	s_wait_loadcnt 0x9
	v_fmac_f64_e32 v[0:1], 0, v[114:115]
	v_fmac_f64_e32 v[14:15], 0, v[114:115]
	v_fmac_f64_e32 v[18:19], 0, v[114:115]
	v_fmac_f64_e32 v[12:13], v[106:107], v[114:115]
	v_fmac_f64_e32 v[20:21], 0, v[114:115]
	v_fmac_f64_e32 v[16:17], v[98:99], v[114:115]
	v_fmac_f64_e32 v[22:23], v[62:63], v[114:115]
	v_fmac_f64_e32 v[10:11], v[46:47], v[114:115]
	v_fmac_f64_e32 v[0:1], v[106:107], v[116:117]
	v_fmac_f64_e32 v[14:15], v[98:99], v[116:117]
	v_fmac_f64_e32 v[18:19], v[62:63], v[116:117]
	v_fmac_f64_e32 v[12:13], 0x80000000, v[116:117]
	v_fmac_f64_e32 v[20:21], v[46:47], v[116:117]
	v_fmac_f64_e32 v[16:17], 0x80000000, v[116:117]
	v_fmac_f64_e32 v[22:23], 0x80000000, v[116:117]
	v_fmac_f64_e32 v[10:11], 0x80000000, v[116:117]
	s_wait_loadcnt 0x7
	v_fmac_f64_e32 v[12:13], v[108:109], v[74:75]
	v_fmac_f64_e32 v[0:1], 0, v[74:75]
	v_fmac_f64_e32 v[16:17], v[100:101], v[74:75]
	v_fmac_f64_e32 v[14:15], 0, v[74:75]
	v_fmac_f64_e32 v[22:23], v[64:65], v[74:75]
	v_fmac_f64_e32 v[18:19], 0, v[74:75]
	v_fmac_f64_e32 v[10:11], v[48:49], v[74:75]
	v_fmac_f64_e32 v[20:21], 0, v[74:75]
	v_fmac_f64_e32 v[12:13], 0x80000000, v[76:77]
	v_fmac_f64_e32 v[0:1], v[108:109], v[76:77]
	v_fmac_f64_e32 v[16:17], 0x80000000, v[76:77]
	v_fmac_f64_e32 v[14:15], v[100:101], v[76:77]
	v_fmac_f64_e32 v[22:23], 0x80000000, v[76:77]
	v_fmac_f64_e32 v[18:19], v[64:65], v[76:77]
	v_fmac_f64_e32 v[10:11], 0x80000000, v[76:77]
	v_fmac_f64_e32 v[20:21], v[48:49], v[76:77]
	;; [unrolled: 17-line block ×6, first 2 shown]
	s_and_not1_b32 exec_lo, exec_lo, s7
	s_cbranch_execnz .LBB137_19
; %bb.20:
	s_or_b32 exec_lo, exec_lo, s7
.LBB137_21:
	s_delay_alu instid0(SALU_CYCLE_1)
	s_or_b32 exec_lo, exec_lo, s6
.LBB137_22:
	s_delay_alu instid0(SALU_CYCLE_1)
	s_or_b32 exec_lo, exec_lo, s3
	s_cbranch_execz .LBB137_24
	s_branch .LBB137_35
.LBB137_23:
                                        ; implicit-def: $vgpr0_vgpr1
                                        ; implicit-def: $vgpr12_vgpr13
                                        ; implicit-def: $vgpr14_vgpr15
                                        ; implicit-def: $vgpr16_vgpr17
                                        ; implicit-def: $vgpr18_vgpr19
                                        ; implicit-def: $vgpr22_vgpr23
                                        ; implicit-def: $vgpr20_vgpr21
                                        ; implicit-def: $vgpr10_vgpr11
.LBB137_24:
	v_mov_b64_e32 v[0:1], 0
	v_mov_b64_e32 v[12:13], 0
	;; [unrolled: 1-line block ×8, first 2 shown]
	s_and_saveexec_b32 s3, s2
	s_cbranch_execz .LBB137_34
; %bb.25:
	v_add_nc_u32_e32 v0, v32, v27
	v_not_b32_e32 v1, v32
	v_mov_b64_e32 v[10:11], 0
	v_mov_b64_e32 v[20:21], 0
	;; [unrolled: 1-line block ×3, first 2 shown]
	v_subrev_nc_u32_e32 v0, s12, v0
	v_mov_b64_e32 v[18:19], 0
	v_mov_b64_e32 v[16:17], 0
	;; [unrolled: 1-line block ×4, first 2 shown]
	v_add_max_i32_e64 v0, v0, 16, v25
	s_mov_b32 s2, exec_lo
	s_delay_alu instid0(VALU_DEP_1) | instskip(NEXT) | instid1(VALU_DEP_1)
	v_add3_u32 v0, s12, v0, v1
	v_sub_nc_u32_e32 v30, v0, v27
	v_mov_b64_e32 v[0:1], 0
	s_delay_alu instid0(VALU_DEP_2) | instskip(NEXT) | instid1(VALU_DEP_1)
	v_and_b32_e32 v31, 48, v30
	v_cmpx_ne_u32_e32 48, v31
	s_cbranch_execz .LBB137_29
; %bb.26:
	v_lshrrev_b32_e32 v0, 4, v30
	v_mov_b64_e32 v[12:13], 0
	v_mov_b64_e32 v[14:15], 0
	;; [unrolled: 1-line block ×4, first 2 shown]
	v_add_nc_u32_e32 v10, 1, v0
	v_mov_b64_e32 v[0:1], 0
	v_mov_b64_e32 v[22:23], 0
	;; [unrolled: 1-line block ×3, first 2 shown]
	s_mov_b32 s6, 0
	v_and_b32_e32 v31, 3, v10
	v_mov_b64_e32 v[10:11], 0
	s_delay_alu instid0(VALU_DEP_2)
	v_sub_nc_u32_e32 v31, 0, v31
.LBB137_27:                             ; =>This Inner Loop Header: Depth=1
	global_load_b32 v40, v24, s[8:9] scale_offset
	s_clause 0x1
	global_load_b128 v[32:35], v[28:29], off offset:16
	global_load_b128 v[36:39], v[28:29], off
	s_wait_xcnt 0x2
	v_add_nc_u32_e32 v24, 16, v24
	v_add_co_u32 v31, s7, v31, 1
	s_or_b32 s6, s7, s6
	s_wait_loadcnt 0x2
	v_subrev_nc_u32_e32 v40, s12, v40
	s_delay_alu instid0(VALU_DEP_1)
	v_lshlrev_b32_e32 v80, 2, v40
	s_wait_kmcnt 0x0
	s_clause 0x1
	global_load_b128 v[40:43], v80, s[4:5] scale_offset
	global_load_b128 v[44:47], v80, s[4:5] offset:16 scale_offset
	s_clause 0x3
	global_load_b128 v[48:51], v[28:29], off offset:32
	global_load_b128 v[52:55], v[28:29], off offset:48
	;; [unrolled: 1-line block ×4, first 2 shown]
	s_clause 0x1
	global_load_b128 v[64:67], v80, s[4:5] offset:32 scale_offset
	global_load_b128 v[68:71], v80, s[4:5] offset:48 scale_offset
	s_clause 0x1
	global_load_b128 v[72:75], v[28:29], off offset:96
	global_load_b128 v[76:79], v[28:29], off offset:112
	s_wait_xcnt 0x0
	v_add_nc_u64_e32 v[28:29], 0x800, v[28:29]
	s_wait_loadcnt 0x9
	v_fmac_f64_e32 v[12:13], v[36:37], v[40:41]
	v_fmac_f64_e32 v[0:1], 0, v[40:41]
	;; [unrolled: 1-line block ×16, first 2 shown]
	s_wait_loadcnt 0x7
	v_fmac_f64_e32 v[12:13], v[48:49], v[44:45]
	v_fmac_f64_e32 v[0:1], 0, v[44:45]
	;; [unrolled: 1-line block ×4, first 2 shown]
	s_wait_loadcnt 0x6
	v_fmac_f64_e32 v[22:23], v[52:53], v[44:45]
	v_fmac_f64_e32 v[18:19], 0, v[44:45]
	;; [unrolled: 1-line block ×12, first 2 shown]
	s_wait_loadcnt 0x3
	v_fmac_f64_e32 v[12:13], v[60:61], v[64:65]
	v_fmac_f64_e32 v[0:1], 0, v[64:65]
	;; [unrolled: 1-line block ×16, first 2 shown]
	s_wait_loadcnt 0x1
	v_fmac_f64_e32 v[12:13], v[72:73], v[68:69]
	v_fmac_f64_e32 v[0:1], 0, v[68:69]
	;; [unrolled: 1-line block ×4, first 2 shown]
	s_wait_loadcnt 0x0
	v_fmac_f64_e32 v[22:23], v[76:77], v[68:69]
	v_fmac_f64_e32 v[18:19], 0, v[68:69]
	;; [unrolled: 1-line block ×12, first 2 shown]
	s_and_not1_b32 exec_lo, exec_lo, s6
	s_cbranch_execnz .LBB137_27
; %bb.28:
	s_or_b32 exec_lo, exec_lo, s6
.LBB137_29:
	s_delay_alu instid0(SALU_CYCLE_1) | instskip(NEXT) | instid1(SALU_CYCLE_1)
	s_or_b32 exec_lo, exec_lo, s2
	s_mov_b32 s2, exec_lo
	v_cmpx_lt_u32_e32 47, v30
	s_cbranch_execz .LBB137_33
; %bb.30:
	s_mov_b32 s6, 0
.LBB137_31:                             ; =>This Inner Loop Header: Depth=1
	s_clause 0x1
	global_load_b32 v38, v24, s[8:9] scale_offset
	global_load_b32 v86, v24, s[8:9] offset:64 scale_offset
	s_clause 0x1
	global_load_b128 v[30:33], v[28:29], off offset:16
	global_load_b128 v[34:37], v[28:29], off
	s_clause 0x1
	global_load_b32 v102, v24, s[8:9] offset:128 scale_offset
	global_load_b32 v103, v24, s[8:9] offset:192 scale_offset
	s_wait_xcnt 0x0
	v_add_nc_u32_e32 v24, 64, v24
	s_delay_alu instid0(VALU_DEP_1)
	v_cmp_ge_i32_e32 vcc_lo, v24, v25
	s_or_b32 s6, vcc_lo, s6
	s_wait_loadcnt 0x5
	v_subrev_nc_u32_e32 v38, s12, v38
	s_wait_loadcnt 0x4
	v_subrev_nc_u32_e32 v86, s12, v86
	s_delay_alu instid0(VALU_DEP_2)
	v_lshlrev_b32_e32 v87, 2, v38
	s_wait_kmcnt 0x0
	global_load_b128 v[38:41], v87, s[4:5] scale_offset
	s_clause 0x1
	global_load_b128 v[42:45], v[28:29], off offset:48
	global_load_b128 v[46:49], v[28:29], off offset:32
	global_load_b128 v[50:53], v87, s[4:5] offset:16 scale_offset
	s_clause 0x1
	global_load_b128 v[54:57], v[28:29], off offset:80
	global_load_b128 v[58:61], v[28:29], off offset:64
	global_load_b128 v[62:65], v87, s[4:5] offset:32 scale_offset
	;; [unrolled: 4-line block ×3, first 2 shown]
	s_clause 0x1
	global_load_b128 v[78:81], v[28:29], off offset:2064
	global_load_b128 v[82:85], v[28:29], off offset:2048
	v_lshlrev_b32_e32 v104, 2, v86
	global_load_b128 v[86:89], v104, s[4:5] scale_offset
	s_clause 0x1
	global_load_b128 v[90:93], v[28:29], off offset:2096
	global_load_b128 v[94:97], v[28:29], off offset:2080
	global_load_b128 v[98:101], v104, s[4:5] offset:16 scale_offset
	s_wait_loadcnt 0xf
	v_fmac_f64_e32 v[12:13], v[34:35], v[38:39]
	v_fmac_f64_e32 v[0:1], 0, v[38:39]
	;; [unrolled: 1-line block ×16, first 2 shown]
	s_clause 0x1
	global_load_b128 v[30:33], v[28:29], off offset:2128
	global_load_b128 v[34:37], v[28:29], off offset:2112
	global_load_b128 v[38:41], v104, s[4:5] offset:32 scale_offset
	s_wait_loadcnt 0xf
	v_fmac_f64_e32 v[12:13], v[46:47], v[50:51]
	v_fmac_f64_e32 v[0:1], 0, v[50:51]
	;; [unrolled: 1-line block ×16, first 2 shown]
	s_clause 0x1
	global_load_b128 v[42:45], v[28:29], off offset:2160
	global_load_b128 v[46:49], v[28:29], off offset:2144
	global_load_b128 v[50:53], v104, s[4:5] offset:48 scale_offset
	s_wait_loadcnt 0xf
	v_fmac_f64_e32 v[12:13], v[58:59], v[62:63]
	v_fmac_f64_e32 v[0:1], 0, v[62:63]
	;; [unrolled: 1-line block ×8, first 2 shown]
	v_subrev_nc_u32_e32 v62, s12, v102
	s_delay_alu instid0(VALU_DEP_1)
	v_lshlrev_b32_e32 v102, 2, v62
	v_fmac_f64_e32 v[12:13], 0x80000000, v[64:65]
	v_fmac_f64_e32 v[0:1], v[58:59], v[64:65]
	;; [unrolled: 1-line block ×8, first 2 shown]
	s_clause 0x1
	global_load_b128 v[54:57], v[28:29], off offset:4112
	global_load_b128 v[58:61], v[28:29], off offset:4096
	global_load_b128 v[62:65], v102, s[4:5] scale_offset
	s_wait_loadcnt 0xf
	v_fmac_f64_e32 v[12:13], v[70:71], v[74:75]
	v_fmac_f64_e32 v[0:1], 0, v[74:75]
	v_fmac_f64_e32 v[16:17], v[72:73], v[74:75]
	v_fmac_f64_e32 v[14:15], 0, v[74:75]
	v_fmac_f64_e32 v[22:23], v[66:67], v[74:75]
	v_fmac_f64_e32 v[18:19], 0, v[74:75]
	v_fmac_f64_e32 v[10:11], v[68:69], v[74:75]
	v_fmac_f64_e32 v[20:21], 0, v[74:75]
	v_fmac_f64_e32 v[12:13], 0x80000000, v[76:77]
	v_fmac_f64_e32 v[0:1], v[70:71], v[76:77]
	v_fmac_f64_e32 v[16:17], 0x80000000, v[76:77]
	v_fmac_f64_e32 v[14:15], v[72:73], v[76:77]
	v_fmac_f64_e32 v[22:23], 0x80000000, v[76:77]
	v_fmac_f64_e32 v[18:19], v[66:67], v[76:77]
	v_fmac_f64_e32 v[10:11], 0x80000000, v[76:77]
	v_fmac_f64_e32 v[20:21], v[68:69], v[76:77]
	s_clause 0x1
	global_load_b128 v[66:69], v[28:29], off offset:4144
	global_load_b128 v[70:73], v[28:29], off offset:4128
	global_load_b128 v[74:77], v102, s[4:5] offset:16 scale_offset
	s_wait_loadcnt 0xf
	v_fmac_f64_e32 v[12:13], v[82:83], v[86:87]
	v_fmac_f64_e32 v[0:1], 0, v[86:87]
	v_fmac_f64_e32 v[16:17], v[84:85], v[86:87]
	v_fmac_f64_e32 v[14:15], 0, v[86:87]
	v_fmac_f64_e32 v[22:23], v[78:79], v[86:87]
	v_fmac_f64_e32 v[18:19], 0, v[86:87]
	v_fmac_f64_e32 v[10:11], v[80:81], v[86:87]
	v_fmac_f64_e32 v[20:21], 0, v[86:87]
	v_fmac_f64_e32 v[12:13], 0x80000000, v[88:89]
	v_fmac_f64_e32 v[0:1], v[82:83], v[88:89]
	v_fmac_f64_e32 v[16:17], 0x80000000, v[88:89]
	v_fmac_f64_e32 v[14:15], v[84:85], v[88:89]
	v_fmac_f64_e32 v[22:23], 0x80000000, v[88:89]
	v_fmac_f64_e32 v[18:19], v[78:79], v[88:89]
	v_fmac_f64_e32 v[10:11], 0x80000000, v[88:89]
	v_fmac_f64_e32 v[20:21], v[80:81], v[88:89]
	s_clause 0x1
	global_load_b128 v[78:81], v[28:29], off offset:4176
	global_load_b128 v[82:85], v[28:29], off offset:4160
	global_load_b128 v[86:89], v102, s[4:5] offset:32 scale_offset
	s_wait_loadcnt 0xf
	v_fmac_f64_e32 v[12:13], v[94:95], v[98:99]
	v_fmac_f64_e32 v[0:1], 0, v[98:99]
	v_fmac_f64_e32 v[16:17], v[96:97], v[98:99]
	v_fmac_f64_e32 v[14:15], 0, v[98:99]
	v_fmac_f64_e32 v[22:23], v[90:91], v[98:99]
	v_fmac_f64_e32 v[18:19], 0, v[98:99]
	v_fmac_f64_e32 v[10:11], v[92:93], v[98:99]
	v_fmac_f64_e32 v[20:21], 0, v[98:99]
	v_fmac_f64_e32 v[12:13], 0x80000000, v[100:101]
	v_fmac_f64_e32 v[0:1], v[94:95], v[100:101]
	v_fmac_f64_e32 v[16:17], 0x80000000, v[100:101]
	v_fmac_f64_e32 v[14:15], v[96:97], v[100:101]
	v_fmac_f64_e32 v[22:23], 0x80000000, v[100:101]
	v_fmac_f64_e32 v[18:19], v[90:91], v[100:101]
	v_fmac_f64_e32 v[10:11], 0x80000000, v[100:101]
	v_fmac_f64_e32 v[20:21], v[92:93], v[100:101]
	s_clause 0x1
	global_load_b128 v[90:93], v[28:29], off offset:4192
	global_load_b128 v[94:97], v[28:29], off offset:4208
	global_load_b128 v[98:101], v102, s[4:5] offset:48 scale_offset
	s_wait_loadcnt 0xf
	v_fmac_f64_e32 v[12:13], v[34:35], v[38:39]
	v_fmac_f64_e32 v[0:1], 0, v[38:39]
	;; [unrolled: 1-line block ×8, first 2 shown]
	v_subrev_nc_u32_e32 v38, s12, v103
	s_delay_alu instid0(VALU_DEP_1)
	v_lshlrev_b32_e32 v106, 2, v38
	v_fmac_f64_e32 v[12:13], 0x80000000, v[40:41]
	v_fmac_f64_e32 v[0:1], v[34:35], v[40:41]
	;; [unrolled: 1-line block ×8, first 2 shown]
	s_clause 0x1
	global_load_b128 v[30:33], v[28:29], off offset:6160
	global_load_b128 v[34:37], v[28:29], off offset:6144
	s_clause 0x1
	global_load_b128 v[38:41], v106, s[4:5] offset:16 scale_offset
	global_load_b128 v[102:105], v106, s[4:5] scale_offset
	s_wait_loadcnt 0x10
	v_fmac_f64_e32 v[12:13], v[46:47], v[50:51]
	v_fmac_f64_e32 v[0:1], 0, v[50:51]
	;; [unrolled: 1-line block ×16, first 2 shown]
	s_clause 0x1
	global_load_b128 v[42:45], v[28:29], off offset:6192
	global_load_b128 v[46:49], v[28:29], off offset:6176
	s_wait_loadcnt 0xf
	v_fmac_f64_e32 v[12:13], v[58:59], v[62:63]
	v_fmac_f64_e32 v[0:1], 0, v[62:63]
	v_fmac_f64_e32 v[16:17], v[60:61], v[62:63]
	v_fmac_f64_e32 v[14:15], 0, v[62:63]
	v_fmac_f64_e32 v[22:23], v[54:55], v[62:63]
	v_fmac_f64_e32 v[18:19], 0, v[62:63]
	v_fmac_f64_e32 v[10:11], v[56:57], v[62:63]
	v_fmac_f64_e32 v[20:21], 0, v[62:63]
	v_fmac_f64_e32 v[12:13], 0x80000000, v[64:65]
	v_fmac_f64_e32 v[0:1], v[58:59], v[64:65]
	v_fmac_f64_e32 v[16:17], 0x80000000, v[64:65]
	v_fmac_f64_e32 v[14:15], v[60:61], v[64:65]
	v_fmac_f64_e32 v[22:23], 0x80000000, v[64:65]
	v_fmac_f64_e32 v[18:19], v[54:55], v[64:65]
	v_fmac_f64_e32 v[10:11], 0x80000000, v[64:65]
	v_fmac_f64_e32 v[20:21], v[56:57], v[64:65]
	s_clause 0x1
	global_load_b128 v[50:53], v[28:29], off offset:6224
	global_load_b128 v[54:57], v[28:29], off offset:6208
	s_clause 0x1
	global_load_b128 v[58:61], v106, s[4:5] offset:48 scale_offset
	global_load_b128 v[62:65], v106, s[4:5] offset:32 scale_offset
	s_wait_loadcnt 0x10
	v_fmac_f64_e32 v[12:13], v[70:71], v[74:75]
	v_fmac_f64_e32 v[0:1], 0, v[74:75]
	;; [unrolled: 1-line block ×16, first 2 shown]
	s_clause 0x1
	global_load_b128 v[66:69], v[28:29], off offset:6240
	global_load_b128 v[70:73], v[28:29], off offset:6256
	s_wait_xcnt 0x0
	v_add_nc_u64_e32 v[28:29], 0x2000, v[28:29]
	s_wait_loadcnt 0xf
	v_fmac_f64_e32 v[12:13], v[82:83], v[86:87]
	v_fmac_f64_e32 v[0:1], 0, v[86:87]
	v_fmac_f64_e32 v[16:17], v[84:85], v[86:87]
	v_fmac_f64_e32 v[14:15], 0, v[86:87]
	v_fmac_f64_e32 v[22:23], v[78:79], v[86:87]
	v_fmac_f64_e32 v[18:19], 0, v[86:87]
	v_fmac_f64_e32 v[10:11], v[80:81], v[86:87]
	v_fmac_f64_e32 v[20:21], 0, v[86:87]
	v_fmac_f64_e32 v[12:13], 0x80000000, v[88:89]
	v_fmac_f64_e32 v[0:1], v[82:83], v[88:89]
	v_fmac_f64_e32 v[16:17], 0x80000000, v[88:89]
	v_fmac_f64_e32 v[14:15], v[84:85], v[88:89]
	v_fmac_f64_e32 v[22:23], 0x80000000, v[88:89]
	v_fmac_f64_e32 v[18:19], v[78:79], v[88:89]
	v_fmac_f64_e32 v[10:11], 0x80000000, v[88:89]
	v_fmac_f64_e32 v[20:21], v[80:81], v[88:89]
	s_wait_loadcnt 0xc
	v_fmac_f64_e32 v[12:13], v[90:91], v[98:99]
	v_fmac_f64_e32 v[0:1], 0, v[98:99]
	v_fmac_f64_e32 v[16:17], v[92:93], v[98:99]
	v_fmac_f64_e32 v[14:15], 0, v[98:99]
	v_fmac_f64_e32 v[22:23], v[94:95], v[98:99]
	v_fmac_f64_e32 v[18:19], 0, v[98:99]
	v_fmac_f64_e32 v[10:11], v[96:97], v[98:99]
	v_fmac_f64_e32 v[20:21], 0, v[98:99]
	v_fmac_f64_e32 v[12:13], 0x80000000, v[100:101]
	v_fmac_f64_e32 v[0:1], v[90:91], v[100:101]
	v_fmac_f64_e32 v[16:17], 0x80000000, v[100:101]
	v_fmac_f64_e32 v[14:15], v[92:93], v[100:101]
	v_fmac_f64_e32 v[22:23], 0x80000000, v[100:101]
	v_fmac_f64_e32 v[18:19], v[94:95], v[100:101]
	v_fmac_f64_e32 v[10:11], 0x80000000, v[100:101]
	v_fmac_f64_e32 v[20:21], v[96:97], v[100:101]
	;; [unrolled: 17-line block ×5, first 2 shown]
	s_wait_loadcnt 0x1
	v_fmac_f64_e32 v[12:13], v[66:67], v[58:59]
	v_fmac_f64_e32 v[0:1], 0, v[58:59]
	;; [unrolled: 1-line block ×4, first 2 shown]
	s_wait_loadcnt 0x0
	v_fmac_f64_e32 v[22:23], v[70:71], v[58:59]
	v_fmac_f64_e32 v[18:19], 0, v[58:59]
	;; [unrolled: 1-line block ×12, first 2 shown]
	s_and_not1_b32 exec_lo, exec_lo, s6
	s_cbranch_execnz .LBB137_31
; %bb.32:
	s_or_b32 exec_lo, exec_lo, s6
.LBB137_33:
	s_delay_alu instid0(SALU_CYCLE_1)
	s_or_b32 exec_lo, exec_lo, s2
.LBB137_34:
	s_delay_alu instid0(SALU_CYCLE_1)
	s_or_b32 exec_lo, exec_lo, s3
.LBB137_35:
	v_mbcnt_lo_u32_b32 v44, -1, 0
	s_delay_alu instid0(VALU_DEP_1) | instskip(NEXT) | instid1(VALU_DEP_1)
	v_xor_b32_e32 v24, 8, v44
	v_cmp_gt_i32_e32 vcc_lo, 32, v24
	v_cndmask_b32_e32 v24, v44, v24, vcc_lo
	s_delay_alu instid0(VALU_DEP_1)
	v_lshlrev_b32_e32 v41, 2, v24
	ds_bpermute_b32 v38, v41, v10
	ds_bpermute_b32 v39, v41, v11
	s_wait_dscnt 0x0
	v_add_f64_e32 v[10:11], v[10:11], v[38:39]
	ds_bpermute_b32 v32, v41, v14
	ds_bpermute_b32 v33, v41, v15
	;; [unrolled: 1-line block ×14, first 2 shown]
	s_wait_dscnt 0xc
	v_add_f64_e32 v[14:15], v[14:15], v[32:33]
	s_wait_dscnt 0xa
	v_add_f64_e32 v[12:13], v[12:13], v[24:25]
	s_wait_dscnt 0x8
	v_dual_add_f64 v[16:17], v[16:17], v[30:31] :: v_dual_bitop2_b32 v24, 4, v44 bitop3:0x14
	s_wait_dscnt 0x6
	v_add_f64_e32 v[0:1], v[0:1], v[28:29]
	s_wait_dscnt 0x4
	v_add_f64_e32 v[22:23], v[22:23], v[34:35]
	v_cmp_gt_i32_e32 vcc_lo, 32, v24
	s_wait_dscnt 0x2
	v_add_f64_e32 v[18:19], v[18:19], v[36:37]
	s_wait_dscnt 0x0
	v_add_f64_e32 v[20:21], v[20:21], v[40:41]
	v_cndmask_b32_e32 v24, v44, v24, vcc_lo
	s_delay_alu instid0(VALU_DEP_1)
	v_lshlrev_b32_e32 v41, 2, v24
	ds_bpermute_b32 v38, v41, v10
	ds_bpermute_b32 v39, v41, v11
	;; [unrolled: 1-line block ×4, first 2 shown]
	s_wait_dscnt 0x0
	v_add_f64_e32 v[14:15], v[14:15], v[32:33]
	v_add_f64_e32 v[32:33], v[10:11], v[38:39]
	ds_bpermute_b32 v24, v41, v12
	ds_bpermute_b32 v25, v41, v13
	;; [unrolled: 1-line block ×12, first 2 shown]
	s_wait_dscnt 0xa
	v_add_f64_e32 v[12:13], v[12:13], v[24:25]
	s_wait_dscnt 0x8
	v_add_f64_e32 v[24:25], v[0:1], v[28:29]
	s_wait_dscnt 0x6
	v_dual_add_f64 v[16:17], v[16:17], v[30:31] :: v_dual_bitop2_b32 v0, 2, v44 bitop3:0x14
	s_wait_dscnt 0x4
	v_add_f64_e32 v[30:31], v[22:23], v[34:35]
	s_wait_dscnt 0x2
	v_add_f64_e32 v[18:19], v[18:19], v[36:37]
	v_cmp_gt_i32_e32 vcc_lo, 32, v0
	s_wait_dscnt 0x0
	v_add_f64_e32 v[20:21], v[20:21], v[40:41]
	v_cndmask_b32_e32 v0, v44, v0, vcc_lo
	s_delay_alu instid0(VALU_DEP_1)
	v_lshlrev_b32_e32 v28, 2, v0
	ds_bpermute_b32 v34, v28, v14
	ds_bpermute_b32 v35, v28, v15
	ds_bpermute_b32 v40, v28, v32
	ds_bpermute_b32 v41, v28, v33
	ds_bpermute_b32 v0, v28, v12
	ds_bpermute_b32 v1, v28, v13
	ds_bpermute_b32 v10, v28, v24
	ds_bpermute_b32 v11, v28, v25
	ds_bpermute_b32 v22, v28, v16
	ds_bpermute_b32 v23, v28, v17
	ds_bpermute_b32 v36, v28, v30
	ds_bpermute_b32 v37, v28, v31
	ds_bpermute_b32 v38, v28, v18
	ds_bpermute_b32 v39, v28, v19
	ds_bpermute_b32 v42, v28, v20
	ds_bpermute_b32 v43, v28, v21
	s_wait_dscnt 0xa
	v_add_f64_e32 v[0:1], v[12:13], v[0:1]
	s_wait_dscnt 0x8
	v_add_f64_e32 v[28:29], v[24:25], v[10:11]
	;; [unrolled: 2-line block ×3, first 2 shown]
	v_add_f64_e32 v[22:23], v[14:15], v[34:35]
	s_wait_dscnt 0x4
	v_add_f64_e32 v[12:13], v[30:31], v[36:37]
	v_add_f64_e32 v[14:15], v[32:33], v[40:41]
	s_wait_dscnt 0x2
	v_add_f64_e32 v[18:19], v[18:19], v[38:39]
	s_wait_dscnt 0x0
	v_dual_add_f64 v[16:17], v[20:21], v[42:43] :: v_dual_bitop2_b32 v20, 1, v44 bitop3:0x14
	s_delay_alu instid0(VALU_DEP_1) | instskip(SKIP_2) | instid1(VALU_DEP_2)
	v_cmp_gt_i32_e32 vcc_lo, 32, v20
	v_cndmask_b32_e32 v20, v44, v20, vcc_lo
	v_cmp_eq_u32_e32 vcc_lo, 15, v27
	v_lshlrev_b32_e32 v35, 2, v20
	ds_bpermute_b32 v20, v35, v0
	ds_bpermute_b32 v21, v35, v1
	;; [unrolled: 1-line block ×16, first 2 shown]
	s_and_b32 exec_lo, exec_lo, vcc_lo
	s_cbranch_execz .LBB137_8
; %bb.36:
	s_wait_dscnt 0xc
	v_add_f64_e32 v[28:29], v[28:29], v[40:41]
	s_wait_dscnt 0x8
	v_add_f64_e32 v[38:39], v[22:23], v[38:39]
	;; [unrolled: 2-line block ×4, first 2 shown]
	v_add_f64_e32 v[0:1], v[0:1], v[20:21]
	v_add_f64_e32 v[40:41], v[10:11], v[24:25]
	;; [unrolled: 1-line block ×4, first 2 shown]
	v_cmp_eq_f64_e32 vcc_lo, 0, v[2:3]
	v_cmp_eq_f64_e64 s2, 0, v[4:5]
	s_load_b64 s[0:1], s[0:1], 0x60
	v_mul_f64_e64 v[22:23], v[28:29], -v[8:9]
	v_mul_f64_e32 v[24:25], v[6:7], v[28:29]
	v_mul_f64_e64 v[18:19], v[38:39], -v[8:9]
	v_mul_f64_e32 v[20:21], v[6:7], v[38:39]
	;; [unrolled: 2-line block ×4, first 2 shown]
	s_and_b32 s2, vcc_lo, s2
	v_fmac_f64_e32 v[22:23], v[6:7], v[0:1]
	v_fmac_f64_e32 v[24:25], v[8:9], v[0:1]
	;; [unrolled: 1-line block ×8, first 2 shown]
	v_lshlrev_b32_e32 v0, 2, v26
	s_and_saveexec_b32 s3, s2
	s_delay_alu instid0(SALU_CYCLE_1)
	s_xor_b32 s2, exec_lo, s3
	s_cbranch_execz .LBB137_38
; %bb.37:
	s_wait_kmcnt 0x0
	s_clause 0x3
	global_store_b128 v0, v[22:25], s[0:1] scale_offset
	global_store_b128 v0, v[18:21], s[0:1] offset:16 scale_offset
	global_store_b128 v0, v[14:17], s[0:1] offset:32 scale_offset
	;; [unrolled: 1-line block ×3, first 2 shown]
                                        ; implicit-def: $vgpr4_vgpr5
                                        ; implicit-def: $vgpr22_vgpr23
                                        ; implicit-def: $vgpr0
                                        ; implicit-def: $vgpr18_vgpr19
                                        ; implicit-def: $vgpr14_vgpr15
                                        ; implicit-def: $vgpr10_vgpr11
.LBB137_38:
	s_wait_xcnt 0x0
	s_and_not1_saveexec_b32 s2, s2
	s_cbranch_execz .LBB137_8
; %bb.39:
	s_wait_kmcnt 0x0
	s_clause 0x3
	global_load_b128 v[6:9], v0, s[0:1] scale_offset
	global_load_b128 v[26:29], v0, s[0:1] offset:16 scale_offset
	global_load_b128 v[30:33], v0, s[0:1] offset:32 scale_offset
	;; [unrolled: 1-line block ×3, first 2 shown]
	s_wait_loadcnt 0x3
	v_fmac_f64_e32 v[22:23], v[2:3], v[6:7]
	v_fmac_f64_e32 v[24:25], v[4:5], v[6:7]
	s_wait_loadcnt 0x2
	v_fmac_f64_e32 v[18:19], v[2:3], v[26:27]
	v_fmac_f64_e32 v[20:21], v[4:5], v[26:27]
	;; [unrolled: 3-line block ×4, first 2 shown]
	v_fma_f64 v[22:23], -v[4:5], v[8:9], v[22:23]
	v_fmac_f64_e32 v[24:25], v[2:3], v[8:9]
	v_fma_f64 v[18:19], -v[4:5], v[28:29], v[18:19]
	v_fmac_f64_e32 v[20:21], v[2:3], v[28:29]
	;; [unrolled: 2-line block ×4, first 2 shown]
	s_clause 0x3
	global_store_b128 v0, v[22:25], s[0:1] scale_offset
	global_store_b128 v0, v[18:21], s[0:1] offset:16 scale_offset
	global_store_b128 v0, v[14:17], s[0:1] offset:32 scale_offset
	;; [unrolled: 1-line block ×3, first 2 shown]
	s_sendmsg sendmsg(MSG_DEALLOC_VGPRS)
	s_endpgm
	.section	.rodata,"a",@progbits
	.p2align	6, 0x0
	.amdhsa_kernel _ZN9rocsparseL18bsrxmvn_4x4_kernelILj128ELj16E21rocsparse_complex_numIdEiidS2_S2_EEvT3_20rocsparse_direction_NS_24const_host_device_scalarIT1_EES3_PKS3_PKT2_SC_S9_PKT4_PKT5_S7_PT6_21rocsparse_index_base_b
		.amdhsa_group_segment_fixed_size 0
		.amdhsa_private_segment_fixed_size 0
		.amdhsa_kernarg_size 112
		.amdhsa_user_sgpr_count 2
		.amdhsa_user_sgpr_dispatch_ptr 0
		.amdhsa_user_sgpr_queue_ptr 0
		.amdhsa_user_sgpr_kernarg_segment_ptr 1
		.amdhsa_user_sgpr_dispatch_id 0
		.amdhsa_user_sgpr_kernarg_preload_length 0
		.amdhsa_user_sgpr_kernarg_preload_offset 0
		.amdhsa_user_sgpr_private_segment_size 0
		.amdhsa_wavefront_size32 1
		.amdhsa_uses_dynamic_stack 0
		.amdhsa_enable_private_segment 0
		.amdhsa_system_sgpr_workgroup_id_x 1
		.amdhsa_system_sgpr_workgroup_id_y 0
		.amdhsa_system_sgpr_workgroup_id_z 0
		.amdhsa_system_sgpr_workgroup_info 0
		.amdhsa_system_vgpr_workitem_id 0
		.amdhsa_next_free_vgpr 122
		.amdhsa_next_free_sgpr 14
		.amdhsa_named_barrier_count 0
		.amdhsa_reserve_vcc 1
		.amdhsa_float_round_mode_32 0
		.amdhsa_float_round_mode_16_64 0
		.amdhsa_float_denorm_mode_32 3
		.amdhsa_float_denorm_mode_16_64 3
		.amdhsa_fp16_overflow 0
		.amdhsa_memory_ordered 1
		.amdhsa_forward_progress 1
		.amdhsa_inst_pref_size 60
		.amdhsa_round_robin_scheduling 0
		.amdhsa_exception_fp_ieee_invalid_op 0
		.amdhsa_exception_fp_denorm_src 0
		.amdhsa_exception_fp_ieee_div_zero 0
		.amdhsa_exception_fp_ieee_overflow 0
		.amdhsa_exception_fp_ieee_underflow 0
		.amdhsa_exception_fp_ieee_inexact 0
		.amdhsa_exception_int_div_zero 0
	.end_amdhsa_kernel
	.section	.text._ZN9rocsparseL18bsrxmvn_4x4_kernelILj128ELj16E21rocsparse_complex_numIdEiidS2_S2_EEvT3_20rocsparse_direction_NS_24const_host_device_scalarIT1_EES3_PKS3_PKT2_SC_S9_PKT4_PKT5_S7_PT6_21rocsparse_index_base_b,"axG",@progbits,_ZN9rocsparseL18bsrxmvn_4x4_kernelILj128ELj16E21rocsparse_complex_numIdEiidS2_S2_EEvT3_20rocsparse_direction_NS_24const_host_device_scalarIT1_EES3_PKS3_PKT2_SC_S9_PKT4_PKT5_S7_PT6_21rocsparse_index_base_b,comdat
.Lfunc_end137:
	.size	_ZN9rocsparseL18bsrxmvn_4x4_kernelILj128ELj16E21rocsparse_complex_numIdEiidS2_S2_EEvT3_20rocsparse_direction_NS_24const_host_device_scalarIT1_EES3_PKS3_PKT2_SC_S9_PKT4_PKT5_S7_PT6_21rocsparse_index_base_b, .Lfunc_end137-_ZN9rocsparseL18bsrxmvn_4x4_kernelILj128ELj16E21rocsparse_complex_numIdEiidS2_S2_EEvT3_20rocsparse_direction_NS_24const_host_device_scalarIT1_EES3_PKS3_PKT2_SC_S9_PKT4_PKT5_S7_PT6_21rocsparse_index_base_b
                                        ; -- End function
	.set _ZN9rocsparseL18bsrxmvn_4x4_kernelILj128ELj16E21rocsparse_complex_numIdEiidS2_S2_EEvT3_20rocsparse_direction_NS_24const_host_device_scalarIT1_EES3_PKS3_PKT2_SC_S9_PKT4_PKT5_S7_PT6_21rocsparse_index_base_b.num_vgpr, 122
	.set _ZN9rocsparseL18bsrxmvn_4x4_kernelILj128ELj16E21rocsparse_complex_numIdEiidS2_S2_EEvT3_20rocsparse_direction_NS_24const_host_device_scalarIT1_EES3_PKS3_PKT2_SC_S9_PKT4_PKT5_S7_PT6_21rocsparse_index_base_b.num_agpr, 0
	.set _ZN9rocsparseL18bsrxmvn_4x4_kernelILj128ELj16E21rocsparse_complex_numIdEiidS2_S2_EEvT3_20rocsparse_direction_NS_24const_host_device_scalarIT1_EES3_PKS3_PKT2_SC_S9_PKT4_PKT5_S7_PT6_21rocsparse_index_base_b.numbered_sgpr, 14
	.set _ZN9rocsparseL18bsrxmvn_4x4_kernelILj128ELj16E21rocsparse_complex_numIdEiidS2_S2_EEvT3_20rocsparse_direction_NS_24const_host_device_scalarIT1_EES3_PKS3_PKT2_SC_S9_PKT4_PKT5_S7_PT6_21rocsparse_index_base_b.num_named_barrier, 0
	.set _ZN9rocsparseL18bsrxmvn_4x4_kernelILj128ELj16E21rocsparse_complex_numIdEiidS2_S2_EEvT3_20rocsparse_direction_NS_24const_host_device_scalarIT1_EES3_PKS3_PKT2_SC_S9_PKT4_PKT5_S7_PT6_21rocsparse_index_base_b.private_seg_size, 0
	.set _ZN9rocsparseL18bsrxmvn_4x4_kernelILj128ELj16E21rocsparse_complex_numIdEiidS2_S2_EEvT3_20rocsparse_direction_NS_24const_host_device_scalarIT1_EES3_PKS3_PKT2_SC_S9_PKT4_PKT5_S7_PT6_21rocsparse_index_base_b.uses_vcc, 1
	.set _ZN9rocsparseL18bsrxmvn_4x4_kernelILj128ELj16E21rocsparse_complex_numIdEiidS2_S2_EEvT3_20rocsparse_direction_NS_24const_host_device_scalarIT1_EES3_PKS3_PKT2_SC_S9_PKT4_PKT5_S7_PT6_21rocsparse_index_base_b.uses_flat_scratch, 0
	.set _ZN9rocsparseL18bsrxmvn_4x4_kernelILj128ELj16E21rocsparse_complex_numIdEiidS2_S2_EEvT3_20rocsparse_direction_NS_24const_host_device_scalarIT1_EES3_PKS3_PKT2_SC_S9_PKT4_PKT5_S7_PT6_21rocsparse_index_base_b.has_dyn_sized_stack, 0
	.set _ZN9rocsparseL18bsrxmvn_4x4_kernelILj128ELj16E21rocsparse_complex_numIdEiidS2_S2_EEvT3_20rocsparse_direction_NS_24const_host_device_scalarIT1_EES3_PKS3_PKT2_SC_S9_PKT4_PKT5_S7_PT6_21rocsparse_index_base_b.has_recursion, 0
	.set _ZN9rocsparseL18bsrxmvn_4x4_kernelILj128ELj16E21rocsparse_complex_numIdEiidS2_S2_EEvT3_20rocsparse_direction_NS_24const_host_device_scalarIT1_EES3_PKS3_PKT2_SC_S9_PKT4_PKT5_S7_PT6_21rocsparse_index_base_b.has_indirect_call, 0
	.section	.AMDGPU.csdata,"",@progbits
; Kernel info:
; codeLenInByte = 7668
; TotalNumSgprs: 16
; NumVgprs: 122
; ScratchSize: 0
; MemoryBound: 0
; FloatMode: 240
; IeeeMode: 1
; LDSByteSize: 0 bytes/workgroup (compile time only)
; SGPRBlocks: 0
; VGPRBlocks: 7
; NumSGPRsForWavesPerEU: 16
; NumVGPRsForWavesPerEU: 122
; NamedBarCnt: 0
; Occupancy: 8
; WaveLimiterHint : 1
; COMPUTE_PGM_RSRC2:SCRATCH_EN: 0
; COMPUTE_PGM_RSRC2:USER_SGPR: 2
; COMPUTE_PGM_RSRC2:TRAP_HANDLER: 0
; COMPUTE_PGM_RSRC2:TGID_X_EN: 1
; COMPUTE_PGM_RSRC2:TGID_Y_EN: 0
; COMPUTE_PGM_RSRC2:TGID_Z_EN: 0
; COMPUTE_PGM_RSRC2:TIDIG_COMP_CNT: 0
	.section	.text._ZN9rocsparseL18bsrxmvn_4x4_kernelILj128ELj32E21rocsparse_complex_numIdEiidS2_S2_EEvT3_20rocsparse_direction_NS_24const_host_device_scalarIT1_EES3_PKS3_PKT2_SC_S9_PKT4_PKT5_S7_PT6_21rocsparse_index_base_b,"axG",@progbits,_ZN9rocsparseL18bsrxmvn_4x4_kernelILj128ELj32E21rocsparse_complex_numIdEiidS2_S2_EEvT3_20rocsparse_direction_NS_24const_host_device_scalarIT1_EES3_PKS3_PKT2_SC_S9_PKT4_PKT5_S7_PT6_21rocsparse_index_base_b,comdat
	.globl	_ZN9rocsparseL18bsrxmvn_4x4_kernelILj128ELj32E21rocsparse_complex_numIdEiidS2_S2_EEvT3_20rocsparse_direction_NS_24const_host_device_scalarIT1_EES3_PKS3_PKT2_SC_S9_PKT4_PKT5_S7_PT6_21rocsparse_index_base_b ; -- Begin function _ZN9rocsparseL18bsrxmvn_4x4_kernelILj128ELj32E21rocsparse_complex_numIdEiidS2_S2_EEvT3_20rocsparse_direction_NS_24const_host_device_scalarIT1_EES3_PKS3_PKT2_SC_S9_PKT4_PKT5_S7_PT6_21rocsparse_index_base_b
	.p2align	8
	.type	_ZN9rocsparseL18bsrxmvn_4x4_kernelILj128ELj32E21rocsparse_complex_numIdEiidS2_S2_EEvT3_20rocsparse_direction_NS_24const_host_device_scalarIT1_EES3_PKS3_PKT2_SC_S9_PKT4_PKT5_S7_PT6_21rocsparse_index_base_b,@function
_ZN9rocsparseL18bsrxmvn_4x4_kernelILj128ELj32E21rocsparse_complex_numIdEiidS2_S2_EEvT3_20rocsparse_direction_NS_24const_host_device_scalarIT1_EES3_PKS3_PKT2_SC_S9_PKT4_PKT5_S7_PT6_21rocsparse_index_base_b: ; @_ZN9rocsparseL18bsrxmvn_4x4_kernelILj128ELj32E21rocsparse_complex_numIdEiidS2_S2_EEvT3_20rocsparse_direction_NS_24const_host_device_scalarIT1_EES3_PKS3_PKT2_SC_S9_PKT4_PKT5_S7_PT6_21rocsparse_index_base_b
; %bb.0:
	s_clause 0x1
	s_load_b64 s[12:13], s[0:1], 0x68
	s_load_b64 s[2:3], s[0:1], 0x8
	v_mov_b32_e32 v1, 0
	s_add_nc_u64 s[4:5], s[0:1], 8
	s_load_b64 s[6:7], s[0:1], 0x50
	s_wait_kmcnt 0x0
	s_bitcmp1_b32 s13, 0
	s_cselect_b32 s3, s5, s3
	s_cselect_b32 s2, s4, s2
	flat_load_b128 v[6:9], v1, s[2:3]
	s_wait_xcnt 0x0
	s_add_nc_u64 s[2:3], s[0:1], 0x50
	s_delay_alu instid0(SALU_CYCLE_1)
	s_cselect_b32 s3, s3, s7
	s_cselect_b32 s2, s2, s6
	flat_load_b128 v[2:5], v1, s[2:3]
	s_wait_loadcnt_dscnt 0x101
	v_cmp_eq_f64_e32 vcc_lo, 0, v[6:7]
	s_wait_xcnt 0x0
	v_cmp_eq_f64_e64 s2, 0, v[8:9]
	s_and_b32 s4, vcc_lo, s2
	s_mov_b32 s2, -1
	s_and_saveexec_b32 s3, s4
	s_cbranch_execz .LBB138_2
; %bb.1:
	s_wait_loadcnt_dscnt 0x0
	v_cmp_neq_f64_e32 vcc_lo, 1.0, v[2:3]
	v_cmp_neq_f64_e64 s2, 0, v[4:5]
	s_or_b32 s2, vcc_lo, s2
	s_delay_alu instid0(SALU_CYCLE_1)
	s_or_not1_b32 s2, s2, exec_lo
.LBB138_2:
	s_or_b32 exec_lo, exec_lo, s3
	s_and_saveexec_b32 s3, s2
	s_cbranch_execz .LBB138_8
; %bb.3:
	s_clause 0x1
	s_load_b64 s[4:5], s[0:1], 0x20
	s_load_b64 s[2:3], s[0:1], 0x0
	s_bfe_u32 s6, ttmp6, 0x4000c
	s_and_b32 s7, ttmp6, 15
	s_add_co_i32 s6, s6, 1
	s_getreg_b32 s8, hwreg(HW_REG_IB_STS2, 6, 4)
	s_mul_i32 s6, ttmp9, s6
	v_lshrrev_b32_e32 v1, 5, v0
	s_add_co_i32 s7, s7, s6
	s_cmp_eq_u32 s8, 0
	s_cselect_b32 s6, ttmp9, s7
	s_delay_alu instid0(VALU_DEP_1) | instid1(SALU_CYCLE_1)
	v_lshl_or_b32 v26, s6, 2, v1
	s_mov_b32 s6, 0
	s_wait_kmcnt 0x0
	s_cmp_lg_u64 s[4:5], 0
	s_cbranch_scc0 .LBB138_9
; %bb.4:
	s_load_b32 s6, s[0:1], 0x18
	s_mov_b32 s7, 0
                                        ; implicit-def: $vgpr1
	s_wait_kmcnt 0x0
	v_cmp_gt_i32_e32 vcc_lo, s6, v26
	s_mov_b32 s6, 0
	s_and_saveexec_b32 s8, vcc_lo
	s_delay_alu instid0(SALU_CYCLE_1)
	s_xor_b32 s8, exec_lo, s8
	s_cbranch_execz .LBB138_6
; %bb.5:
	global_load_b32 v1, v26, s[4:5] scale_offset
	s_mov_b32 s6, exec_lo
	s_wait_loadcnt 0x0
	v_subrev_nc_u32_e32 v1, s12, v1
.LBB138_6:
	s_or_b32 exec_lo, exec_lo, s8
	s_delay_alu instid0(SALU_CYCLE_1)
	s_and_b32 vcc_lo, exec_lo, s7
	s_cbranch_vccz .LBB138_10
.LBB138_7:
	v_cmp_gt_i32_e32 vcc_lo, s2, v26
	s_and_not1_b32 s2, s6, exec_lo
	s_and_b32 s4, vcc_lo, exec_lo
	s_delay_alu instid0(SALU_CYCLE_1) | instskip(NEXT) | instid1(SALU_CYCLE_1)
	s_or_b32 s6, s2, s4
	s_and_b32 exec_lo, exec_lo, s6
	s_cbranch_execnz .LBB138_11
.LBB138_8:
	s_sendmsg sendmsg(MSG_DEALLOC_VGPRS)
	s_endpgm
.LBB138_9:
                                        ; implicit-def: $vgpr1
	s_cbranch_execnz .LBB138_7
.LBB138_10:
	s_delay_alu instid0(VALU_DEP_1)
	v_mov_b32_e32 v26, v1
	s_and_b32 exec_lo, exec_lo, s6
	s_cbranch_execz .LBB138_8
.LBB138_11:
	s_load_b256 s[4:11], s[0:1], 0x28
	s_wait_kmcnt 0x0
	global_load_b32 v32, v26, s[4:5] scale_offset
	s_cmp_eq_u64 s[6:7], 0
	s_cselect_b32 vcc_lo, -1, 0
	v_ashrrev_i32_e32 v27, 31, v26
	s_cmp_eq_u32 s3, 1
	s_delay_alu instid0(VALU_DEP_1) | instskip(SKIP_1) | instid1(VALU_DEP_2)
	v_lshlrev_b64_e32 v[10:11], 2, v[26:27]
	v_and_b32_e32 v27, 31, v0
	v_add_nc_u64_e32 v[12:13], s[4:5], v[10:11]
	v_add_nc_u64_e32 v[10:11], s[6:7], v[10:11]
	s_wait_xcnt 0x0
	s_load_b64 s[4:5], s[0:1], 0x48
	s_delay_alu instid0(VALU_DEP_2) | instskip(NEXT) | instid1(VALU_DEP_1)
	v_add_nc_u64_e32 v[12:13], 4, v[12:13]
	v_cndmask_b32_e32 v11, v11, v13, vcc_lo
	s_wait_loadcnt 0x0
	v_subrev_nc_u32_e32 v0, s12, v32
	s_delay_alu instid0(VALU_DEP_1) | instskip(SKIP_2) | instid1(VALU_DEP_1)
	v_dual_cndmask_b32 v10, v10, v12, vcc_lo :: v_dual_add_nc_u32 v24, v0, v27
	global_load_b32 v10, v[10:11], off
	v_ashrrev_i32_e32 v25, 31, v24
	v_lshlrev_b64_e32 v[0:1], 7, v[24:25]
	s_delay_alu instid0(VALU_DEP_1) | instskip(SKIP_2) | instid1(VALU_DEP_1)
	v_add_nc_u64_e32 v[28:29], s[10:11], v[0:1]
	s_wait_loadcnt 0x0
	v_subrev_nc_u32_e32 v25, s12, v10
	v_cmp_lt_i32_e64 s2, v24, v25
	s_cbranch_scc1 .LBB138_23
; %bb.12:
	v_mov_b64_e32 v[0:1], 0
	v_mov_b64_e32 v[12:13], 0
	;; [unrolled: 1-line block ×8, first 2 shown]
	s_and_saveexec_b32 s3, s2
	s_cbranch_execz .LBB138_22
; %bb.13:
	v_add_nc_u32_e32 v0, v32, v27
	v_not_b32_e32 v1, v32
	v_mov_b64_e32 v[10:11], 0
	v_mov_b64_e32 v[20:21], 0
	;; [unrolled: 1-line block ×3, first 2 shown]
	v_subrev_nc_u32_e32 v0, s12, v0
	v_mov_b64_e32 v[18:19], 0
	v_mov_b64_e32 v[16:17], 0
	;; [unrolled: 1-line block ×4, first 2 shown]
	v_add_max_i32_e64 v0, v0, 32, v25
	v_mov_b64_e32 v[30:31], v[28:29]
	s_delay_alu instid0(VALU_DEP_2) | instskip(NEXT) | instid1(VALU_DEP_1)
	v_add3_u32 v0, s12, v0, v1
	v_sub_nc_u32_e32 v34, v0, v27
	v_mov_b64_e32 v[0:1], 0
	s_delay_alu instid0(VALU_DEP_2) | instskip(NEXT) | instid1(VALU_DEP_1)
	v_and_b32_e32 v33, 0x60, v34
	v_cmp_ne_u32_e32 vcc_lo, 0x60, v33
	v_mov_b32_e32 v33, v24
	s_and_saveexec_b32 s6, vcc_lo
	s_cbranch_execz .LBB138_17
; %bb.14:
	v_dual_mov_b32 v33, v24 :: v_dual_lshrrev_b32 v10, 5, v34
	v_mov_b64_e32 v[0:1], 0
	v_mov_b64_e32 v[12:13], 0
	;; [unrolled: 1-line block ×3, first 2 shown]
	s_delay_alu instid0(VALU_DEP_4)
	v_add_nc_u32_e32 v10, 1, v10
	v_mov_b64_e32 v[16:17], 0
	v_mov_b64_e32 v[18:19], 0
	;; [unrolled: 1-line block ×4, first 2 shown]
	v_and_b32_e32 v30, 3, v10
	v_mov_b64_e32 v[10:11], 0
	s_mov_b32 s7, 0
	s_delay_alu instid0(VALU_DEP_2)
	v_sub_nc_u32_e32 v35, 0, v30
	v_mov_b64_e32 v[30:31], v[28:29]
.LBB138_15:                             ; =>This Inner Loop Header: Depth=1
	global_load_b32 v68, v33, s[8:9] scale_offset
	s_clause 0x7
	global_load_b128 v[36:39], v[30:31], off offset:48
	global_load_b128 v[40:43], v[30:31], off offset:32
	;; [unrolled: 1-line block ×3, first 2 shown]
	global_load_b128 v[48:51], v[30:31], off
	global_load_b128 v[52:55], v[30:31], off offset:112
	global_load_b128 v[56:59], v[30:31], off offset:96
	;; [unrolled: 1-line block ×4, first 2 shown]
	s_wait_xcnt 0x0
	v_add_nc_u64_e32 v[30:31], 0x1000, v[30:31]
	v_add_co_u32 v35, s10, v35, 1
	s_or_b32 s7, s10, s7
	v_add_nc_u32_e32 v33, 32, v33
	s_wait_loadcnt 0x8
	v_subrev_nc_u32_e32 v68, s12, v68
	s_delay_alu instid0(VALU_DEP_1)
	v_lshlrev_b32_e32 v84, 2, v68
	s_wait_kmcnt 0x0
	s_clause 0x3
	global_load_b128 v[68:71], v84, s[4:5] scale_offset
	global_load_b128 v[72:75], v84, s[4:5] offset:16 scale_offset
	global_load_b128 v[76:79], v84, s[4:5] offset:32 scale_offset
	;; [unrolled: 1-line block ×3, first 2 shown]
	s_wait_loadcnt 0x3
	v_fmac_f64_e32 v[12:13], v[48:49], v[68:69]
	v_fmac_f64_e32 v[0:1], 0, v[68:69]
	v_fmac_f64_e32 v[16:17], v[40:41], v[68:69]
	v_fmac_f64_e32 v[14:15], 0, v[68:69]
	v_fmac_f64_e32 v[22:23], v[64:65], v[68:69]
	v_fmac_f64_e32 v[18:19], 0, v[68:69]
	v_fmac_f64_e32 v[10:11], v[56:57], v[68:69]
	v_fmac_f64_e32 v[20:21], 0, v[68:69]
	v_fmac_f64_e32 v[12:13], 0x80000000, v[70:71]
	v_fmac_f64_e32 v[0:1], v[48:49], v[70:71]
	v_fmac_f64_e32 v[16:17], 0x80000000, v[70:71]
	v_fmac_f64_e32 v[14:15], v[40:41], v[70:71]
	v_fmac_f64_e32 v[22:23], 0x80000000, v[70:71]
	v_fmac_f64_e32 v[18:19], v[64:65], v[70:71]
	v_fmac_f64_e32 v[10:11], 0x80000000, v[70:71]
	v_fmac_f64_e32 v[20:21], v[56:57], v[70:71]
	s_wait_loadcnt 0x2
	v_fmac_f64_e32 v[12:13], v[50:51], v[72:73]
	v_fmac_f64_e32 v[0:1], 0, v[72:73]
	v_fmac_f64_e32 v[16:17], v[42:43], v[72:73]
	v_fmac_f64_e32 v[14:15], 0, v[72:73]
	v_fmac_f64_e32 v[22:23], v[66:67], v[72:73]
	v_fmac_f64_e32 v[18:19], 0, v[72:73]
	v_fmac_f64_e32 v[10:11], v[58:59], v[72:73]
	v_fmac_f64_e32 v[20:21], 0, v[72:73]
	v_fmac_f64_e32 v[12:13], 0x80000000, v[74:75]
	v_fmac_f64_e32 v[0:1], v[50:51], v[74:75]
	v_fmac_f64_e32 v[16:17], 0x80000000, v[74:75]
	v_fmac_f64_e32 v[14:15], v[42:43], v[74:75]
	v_fmac_f64_e32 v[22:23], 0x80000000, v[74:75]
	v_fmac_f64_e32 v[18:19], v[66:67], v[74:75]
	v_fmac_f64_e32 v[10:11], 0x80000000, v[74:75]
	v_fmac_f64_e32 v[20:21], v[58:59], v[74:75]
	;; [unrolled: 17-line block ×4, first 2 shown]
	s_and_not1_b32 exec_lo, exec_lo, s7
	s_cbranch_execnz .LBB138_15
; %bb.16:
	s_or_b32 exec_lo, exec_lo, s7
.LBB138_17:
	s_delay_alu instid0(SALU_CYCLE_1) | instskip(NEXT) | instid1(SALU_CYCLE_1)
	s_or_b32 exec_lo, exec_lo, s6
	s_mov_b32 s6, exec_lo
	v_cmpx_lt_u32_e32 0x5f, v34
	s_cbranch_execz .LBB138_21
; %bb.18:
	s_mov_b32 s7, 0
.LBB138_19:                             ; =>This Inner Loop Header: Depth=1
	global_load_b32 v110, v33, s[8:9] scale_offset
	s_clause 0xf
	global_load_b128 v[34:37], v[30:31], off offset:48
	global_load_b128 v[38:41], v[30:31], off offset:32
	;; [unrolled: 1-line block ×3, first 2 shown]
	global_load_b128 v[46:49], v[30:31], off
	global_load_b128 v[50:53], v[30:31], off offset:112
	global_load_b128 v[54:57], v[30:31], off offset:96
	;; [unrolled: 1-line block ×12, first 2 shown]
	s_clause 0x2
	global_load_b32 v118, v33, s[8:9] offset:128 scale_offset
	global_load_b32 v119, v33, s[8:9] offset:256 scale_offset
	;; [unrolled: 1-line block ×3, first 2 shown]
	s_clause 0x2
	global_load_b128 v[98:101], v[30:31], off offset:8240
	global_load_b128 v[102:105], v[30:31], off offset:8224
	;; [unrolled: 1-line block ×3, first 2 shown]
	s_wait_xcnt 0x3
	v_add_nc_u32_e32 v33, 0x80, v33
	s_delay_alu instid0(VALU_DEP_1) | instskip(SKIP_3) | instid1(VALU_DEP_1)
	v_cmp_ge_i32_e32 vcc_lo, v33, v25
	s_or_b32 s7, vcc_lo, s7
	s_wait_loadcnt 0x16
	v_subrev_nc_u32_e32 v110, s12, v110
	v_lshlrev_b32_e32 v121, 2, v110
	s_wait_kmcnt 0x0
	s_clause 0x1
	global_load_b128 v[110:113], v121, s[4:5] scale_offset
	global_load_b128 v[114:117], v121, s[4:5] offset:16 scale_offset
	s_wait_loadcnt 0x1
	v_fmac_f64_e32 v[20:21], 0, v[110:111]
	v_fmac_f64_e32 v[10:11], v[54:55], v[110:111]
	;; [unrolled: 1-line block ×16, first 2 shown]
	global_load_b128 v[110:113], v[30:31], off offset:8192
	s_wait_loadcnt 0x1
	v_fmac_f64_e32 v[20:21], 0, v[114:115]
	v_fmac_f64_e32 v[10:11], v[56:57], v[114:115]
	;; [unrolled: 1-line block ×9, first 2 shown]
	global_load_b128 v[54:57], v121, s[4:5] offset:32 scale_offset
	v_fmac_f64_e32 v[0:1], v[48:49], v[116:117]
	v_fmac_f64_e32 v[12:13], 0x80000000, v[116:117]
	;; [unrolled: 1-line block ×7, first 2 shown]
	global_load_b128 v[114:117], v121, s[4:5] offset:48 scale_offset
	s_clause 0x2
	global_load_b128 v[38:41], v[30:31], off offset:8288
	global_load_b128 v[62:65], v[30:31], off offset:8272
	;; [unrolled: 1-line block ×3, first 2 shown]
	s_wait_loadcnt 0x4
	v_fmac_f64_e32 v[20:21], 0, v[54:55]
	v_fmac_f64_e32 v[10:11], v[50:51], v[54:55]
	;; [unrolled: 1-line block ×10, first 2 shown]
	v_subrev_nc_u32_e32 v50, s12, v118
	v_fmac_f64_e32 v[0:1], v[42:43], v[56:57]
	v_fmac_f64_e32 v[12:13], 0x80000000, v[56:57]
	;; [unrolled: 1-line block ×4, first 2 shown]
	v_lshlrev_b32_e32 v118, 2, v50
	v_fmac_f64_e32 v[22:23], 0x80000000, v[56:57]
	v_fmac_f64_e32 v[18:19], v[58:59], v[56:57]
	global_load_b128 v[54:57], v[30:31], off offset:8256
	s_wait_loadcnt 0x4
	v_fmac_f64_e32 v[20:21], 0, v[114:115]
	v_fmac_f64_e32 v[10:11], v[52:53], v[114:115]
	;; [unrolled: 1-line block ×9, first 2 shown]
	global_load_b128 v[50:53], v118, s[4:5] scale_offset
	v_fmac_f64_e32 v[10:11], 0x80000000, v[116:117]
	v_fmac_f64_e32 v[0:1], v[44:45], v[116:117]
	;; [unrolled: 1-line block ×5, first 2 shown]
	global_load_b128 v[42:45], v[30:31], off offset:12336
	v_fmac_f64_e32 v[22:23], 0x80000000, v[116:117]
	v_fmac_f64_e32 v[18:19], v[60:61], v[116:117]
	global_load_b128 v[114:117], v118, s[4:5] offset:16 scale_offset
	s_clause 0x1
	global_load_b128 v[34:37], v[30:31], off offset:12320
	global_load_b128 v[58:61], v[30:31], off offset:12304
	s_wait_loadcnt 0x4
	v_fmac_f64_e32 v[0:1], 0, v[50:51]
	v_fmac_f64_e32 v[12:13], v[78:79], v[50:51]
	;; [unrolled: 1-line block ×12, first 2 shown]
	v_subrev_nc_u32_e32 v70, s12, v119
	v_fmac_f64_e32 v[18:19], v[94:95], v[52:53]
	v_fmac_f64_e32 v[22:23], 0x80000000, v[52:53]
	;; [unrolled: 1-line block ×4, first 2 shown]
	v_lshlrev_b32_e32 v119, 2, v70
	global_load_b128 v[50:53], v[30:31], off offset:12288
	s_wait_loadcnt 0x3
	v_fmac_f64_e32 v[0:1], 0, v[114:115]
	v_fmac_f64_e32 v[12:13], v[80:81], v[114:115]
	;; [unrolled: 1-line block ×9, first 2 shown]
	global_load_b128 v[78:81], v118, s[4:5] offset:32 scale_offset
	v_fmac_f64_e32 v[14:15], v[72:73], v[116:117]
	global_load_b128 v[70:73], v118, s[4:5] offset:48 scale_offset
	v_fmac_f64_e32 v[12:13], 0x80000000, v[116:117]
	v_fmac_f64_e32 v[18:19], v[96:97], v[116:117]
	global_load_b128 v[94:97], v119, s[4:5] scale_offset
	v_fmac_f64_e32 v[20:21], v[88:89], v[116:117]
	global_load_b128 v[86:89], v119, s[4:5] offset:16 scale_offset
	v_fmac_f64_e32 v[16:17], 0x80000000, v[116:117]
	v_fmac_f64_e32 v[22:23], 0x80000000, v[116:117]
	;; [unrolled: 1-line block ×3, first 2 shown]
	global_load_b128 v[114:117], v119, s[4:5] offset:32 scale_offset
	s_wait_loadcnt 0x4
	v_fmac_f64_e32 v[0:1], 0, v[78:79]
	v_fmac_f64_e32 v[12:13], v[74:75], v[78:79]
	;; [unrolled: 1-line block ×16, first 2 shown]
	v_subrev_nc_u32_e32 v82, s12, v120
	global_load_b128 v[78:81], v[30:31], off offset:12384
	s_wait_xcnt 0x4
	v_lshlrev_b32_e32 v118, 2, v82
	s_wait_loadcnt 0x4
	v_fmac_f64_e32 v[0:1], 0, v[70:71]
	v_fmac_f64_e32 v[12:13], v[76:77], v[70:71]
	;; [unrolled: 1-line block ×9, first 2 shown]
	global_load_b128 v[74:77], v119, s[4:5] offset:48 scale_offset
	v_fmac_f64_e32 v[14:15], v[68:69], v[72:73]
	global_load_b128 v[66:69], v[30:31], off offset:12352
	v_fmac_f64_e32 v[18:19], v[92:93], v[72:73]
	global_load_b128 v[90:93], v118, s[4:5] scale_offset
	v_fmac_f64_e32 v[12:13], 0x80000000, v[72:73]
	v_fmac_f64_e32 v[20:21], v[84:85], v[72:73]
	;; [unrolled: 1-line block ×5, first 2 shown]
	global_load_b128 v[70:73], v118, s[4:5] offset:16 scale_offset
	global_load_b128 v[82:85], v[30:31], off offset:12400
	s_wait_loadcnt 0x8
	v_fmac_f64_e32 v[0:1], 0, v[94:95]
	v_fmac_f64_e32 v[14:15], 0, v[94:95]
	;; [unrolled: 1-line block ×16, first 2 shown]
	global_load_b128 v[94:97], v[30:31], off offset:12368
	s_wait_xcnt 0x0
	v_add_nc_u64_e32 v[30:31], 0x4000, v[30:31]
	s_wait_loadcnt 0x8
	v_fmac_f64_e32 v[0:1], 0, v[86:87]
	v_fmac_f64_e32 v[14:15], 0, v[86:87]
	;; [unrolled: 1-line block ×9, first 2 shown]
	global_load_b128 v[110:113], v118, s[4:5] offset:32 scale_offset
	v_fmac_f64_e32 v[14:15], v[104:105], v[88:89]
	v_fmac_f64_e32 v[18:19], v[56:57], v[88:89]
	;; [unrolled: 1-line block ×7, first 2 shown]
	global_load_b128 v[38:41], v118, s[4:5] offset:48 scale_offset
	s_wait_loadcnt 0x9
	v_fmac_f64_e32 v[0:1], 0, v[114:115]
	v_fmac_f64_e32 v[14:15], 0, v[114:115]
	v_fmac_f64_e32 v[18:19], 0, v[114:115]
	v_fmac_f64_e32 v[12:13], v[106:107], v[114:115]
	v_fmac_f64_e32 v[20:21], 0, v[114:115]
	v_fmac_f64_e32 v[16:17], v[98:99], v[114:115]
	v_fmac_f64_e32 v[22:23], v[62:63], v[114:115]
	v_fmac_f64_e32 v[10:11], v[46:47], v[114:115]
	v_fmac_f64_e32 v[0:1], v[106:107], v[116:117]
	v_fmac_f64_e32 v[14:15], v[98:99], v[116:117]
	v_fmac_f64_e32 v[18:19], v[62:63], v[116:117]
	v_fmac_f64_e32 v[12:13], 0x80000000, v[116:117]
	v_fmac_f64_e32 v[20:21], v[46:47], v[116:117]
	v_fmac_f64_e32 v[16:17], 0x80000000, v[116:117]
	v_fmac_f64_e32 v[22:23], 0x80000000, v[116:117]
	v_fmac_f64_e32 v[10:11], 0x80000000, v[116:117]
	s_wait_loadcnt 0x7
	v_fmac_f64_e32 v[12:13], v[108:109], v[74:75]
	v_fmac_f64_e32 v[0:1], 0, v[74:75]
	v_fmac_f64_e32 v[16:17], v[100:101], v[74:75]
	v_fmac_f64_e32 v[14:15], 0, v[74:75]
	v_fmac_f64_e32 v[22:23], v[64:65], v[74:75]
	v_fmac_f64_e32 v[18:19], 0, v[74:75]
	v_fmac_f64_e32 v[10:11], v[48:49], v[74:75]
	v_fmac_f64_e32 v[20:21], 0, v[74:75]
	v_fmac_f64_e32 v[12:13], 0x80000000, v[76:77]
	v_fmac_f64_e32 v[0:1], v[108:109], v[76:77]
	v_fmac_f64_e32 v[16:17], 0x80000000, v[76:77]
	v_fmac_f64_e32 v[14:15], v[100:101], v[76:77]
	v_fmac_f64_e32 v[22:23], 0x80000000, v[76:77]
	v_fmac_f64_e32 v[18:19], v[64:65], v[76:77]
	v_fmac_f64_e32 v[10:11], 0x80000000, v[76:77]
	v_fmac_f64_e32 v[20:21], v[48:49], v[76:77]
	;; [unrolled: 17-line block ×6, first 2 shown]
	s_and_not1_b32 exec_lo, exec_lo, s7
	s_cbranch_execnz .LBB138_19
; %bb.20:
	s_or_b32 exec_lo, exec_lo, s7
.LBB138_21:
	s_delay_alu instid0(SALU_CYCLE_1)
	s_or_b32 exec_lo, exec_lo, s6
.LBB138_22:
	s_delay_alu instid0(SALU_CYCLE_1)
	s_or_b32 exec_lo, exec_lo, s3
	s_cbranch_execz .LBB138_24
	s_branch .LBB138_35
.LBB138_23:
                                        ; implicit-def: $vgpr0_vgpr1
                                        ; implicit-def: $vgpr12_vgpr13
                                        ; implicit-def: $vgpr14_vgpr15
                                        ; implicit-def: $vgpr16_vgpr17
                                        ; implicit-def: $vgpr18_vgpr19
                                        ; implicit-def: $vgpr22_vgpr23
                                        ; implicit-def: $vgpr20_vgpr21
                                        ; implicit-def: $vgpr10_vgpr11
.LBB138_24:
	v_mov_b64_e32 v[0:1], 0
	v_mov_b64_e32 v[12:13], 0
	;; [unrolled: 1-line block ×8, first 2 shown]
	s_and_saveexec_b32 s3, s2
	s_cbranch_execz .LBB138_34
; %bb.25:
	v_add_nc_u32_e32 v0, v32, v27
	v_not_b32_e32 v1, v32
	v_mov_b64_e32 v[10:11], 0
	v_mov_b64_e32 v[20:21], 0
	;; [unrolled: 1-line block ×3, first 2 shown]
	v_subrev_nc_u32_e32 v0, s12, v0
	v_mov_b64_e32 v[18:19], 0
	v_mov_b64_e32 v[16:17], 0
	;; [unrolled: 1-line block ×4, first 2 shown]
	v_add_max_i32_e64 v0, v0, 32, v25
	s_mov_b32 s2, exec_lo
	s_delay_alu instid0(VALU_DEP_1) | instskip(NEXT) | instid1(VALU_DEP_1)
	v_add3_u32 v0, s12, v0, v1
	v_sub_nc_u32_e32 v30, v0, v27
	v_mov_b64_e32 v[0:1], 0
	s_delay_alu instid0(VALU_DEP_2) | instskip(NEXT) | instid1(VALU_DEP_1)
	v_and_b32_e32 v31, 0x60, v30
	v_cmpx_ne_u32_e32 0x60, v31
	s_cbranch_execz .LBB138_29
; %bb.26:
	v_lshrrev_b32_e32 v0, 5, v30
	v_mov_b64_e32 v[12:13], 0
	v_mov_b64_e32 v[14:15], 0
	;; [unrolled: 1-line block ×4, first 2 shown]
	v_add_nc_u32_e32 v10, 1, v0
	v_mov_b64_e32 v[0:1], 0
	v_mov_b64_e32 v[22:23], 0
	;; [unrolled: 1-line block ×3, first 2 shown]
	s_mov_b32 s6, 0
	v_and_b32_e32 v31, 3, v10
	v_mov_b64_e32 v[10:11], 0
	s_delay_alu instid0(VALU_DEP_2)
	v_sub_nc_u32_e32 v31, 0, v31
.LBB138_27:                             ; =>This Inner Loop Header: Depth=1
	global_load_b32 v40, v24, s[8:9] scale_offset
	s_clause 0x1
	global_load_b128 v[32:35], v[28:29], off offset:16
	global_load_b128 v[36:39], v[28:29], off
	s_wait_xcnt 0x2
	v_add_nc_u32_e32 v24, 32, v24
	v_add_co_u32 v31, s7, v31, 1
	s_or_b32 s6, s7, s6
	s_wait_loadcnt 0x2
	v_subrev_nc_u32_e32 v40, s12, v40
	s_delay_alu instid0(VALU_DEP_1)
	v_lshlrev_b32_e32 v80, 2, v40
	s_wait_kmcnt 0x0
	s_clause 0x1
	global_load_b128 v[40:43], v80, s[4:5] scale_offset
	global_load_b128 v[44:47], v80, s[4:5] offset:16 scale_offset
	s_clause 0x3
	global_load_b128 v[48:51], v[28:29], off offset:32
	global_load_b128 v[52:55], v[28:29], off offset:48
	;; [unrolled: 1-line block ×4, first 2 shown]
	s_clause 0x1
	global_load_b128 v[64:67], v80, s[4:5] offset:32 scale_offset
	global_load_b128 v[68:71], v80, s[4:5] offset:48 scale_offset
	s_clause 0x1
	global_load_b128 v[72:75], v[28:29], off offset:96
	global_load_b128 v[76:79], v[28:29], off offset:112
	s_wait_xcnt 0x0
	v_add_nc_u64_e32 v[28:29], 0x1000, v[28:29]
	s_wait_loadcnt 0x9
	v_fmac_f64_e32 v[12:13], v[36:37], v[40:41]
	v_fmac_f64_e32 v[0:1], 0, v[40:41]
	;; [unrolled: 1-line block ×16, first 2 shown]
	s_wait_loadcnt 0x7
	v_fmac_f64_e32 v[12:13], v[48:49], v[44:45]
	v_fmac_f64_e32 v[0:1], 0, v[44:45]
	;; [unrolled: 1-line block ×4, first 2 shown]
	s_wait_loadcnt 0x6
	v_fmac_f64_e32 v[22:23], v[52:53], v[44:45]
	v_fmac_f64_e32 v[18:19], 0, v[44:45]
	v_fmac_f64_e32 v[10:11], v[54:55], v[44:45]
	v_fmac_f64_e32 v[20:21], 0, v[44:45]
	v_fmac_f64_e32 v[12:13], 0x80000000, v[46:47]
	v_fmac_f64_e32 v[0:1], v[48:49], v[46:47]
	v_fmac_f64_e32 v[16:17], 0x80000000, v[46:47]
	v_fmac_f64_e32 v[14:15], v[50:51], v[46:47]
	v_fmac_f64_e32 v[22:23], 0x80000000, v[46:47]
	v_fmac_f64_e32 v[18:19], v[52:53], v[46:47]
	v_fmac_f64_e32 v[10:11], 0x80000000, v[46:47]
	v_fmac_f64_e32 v[20:21], v[54:55], v[46:47]
	s_wait_loadcnt 0x3
	v_fmac_f64_e32 v[12:13], v[60:61], v[64:65]
	v_fmac_f64_e32 v[0:1], 0, v[64:65]
	;; [unrolled: 1-line block ×16, first 2 shown]
	s_wait_loadcnt 0x1
	v_fmac_f64_e32 v[12:13], v[72:73], v[68:69]
	v_fmac_f64_e32 v[0:1], 0, v[68:69]
	;; [unrolled: 1-line block ×4, first 2 shown]
	s_wait_loadcnt 0x0
	v_fmac_f64_e32 v[22:23], v[76:77], v[68:69]
	v_fmac_f64_e32 v[18:19], 0, v[68:69]
	v_fmac_f64_e32 v[10:11], v[78:79], v[68:69]
	v_fmac_f64_e32 v[20:21], 0, v[68:69]
	v_fmac_f64_e32 v[12:13], 0x80000000, v[70:71]
	v_fmac_f64_e32 v[0:1], v[72:73], v[70:71]
	v_fmac_f64_e32 v[16:17], 0x80000000, v[70:71]
	v_fmac_f64_e32 v[14:15], v[74:75], v[70:71]
	v_fmac_f64_e32 v[22:23], 0x80000000, v[70:71]
	v_fmac_f64_e32 v[18:19], v[76:77], v[70:71]
	v_fmac_f64_e32 v[10:11], 0x80000000, v[70:71]
	v_fmac_f64_e32 v[20:21], v[78:79], v[70:71]
	s_and_not1_b32 exec_lo, exec_lo, s6
	s_cbranch_execnz .LBB138_27
; %bb.28:
	s_or_b32 exec_lo, exec_lo, s6
.LBB138_29:
	s_delay_alu instid0(SALU_CYCLE_1) | instskip(NEXT) | instid1(SALU_CYCLE_1)
	s_or_b32 exec_lo, exec_lo, s2
	s_mov_b32 s2, exec_lo
	v_cmpx_lt_u32_e32 0x5f, v30
	s_cbranch_execz .LBB138_33
; %bb.30:
	s_mov_b32 s6, 0
.LBB138_31:                             ; =>This Inner Loop Header: Depth=1
	s_clause 0x1
	global_load_b32 v38, v24, s[8:9] scale_offset
	global_load_b32 v86, v24, s[8:9] offset:128 scale_offset
	s_clause 0x1
	global_load_b128 v[30:33], v[28:29], off offset:16
	global_load_b128 v[34:37], v[28:29], off
	s_clause 0x1
	global_load_b32 v102, v24, s[8:9] offset:256 scale_offset
	global_load_b32 v103, v24, s[8:9] offset:384 scale_offset
	s_wait_xcnt 0x0
	v_add_nc_u32_e32 v24, 0x80, v24
	s_delay_alu instid0(VALU_DEP_1)
	v_cmp_ge_i32_e32 vcc_lo, v24, v25
	s_or_b32 s6, vcc_lo, s6
	s_wait_loadcnt 0x5
	v_subrev_nc_u32_e32 v38, s12, v38
	s_wait_loadcnt 0x4
	v_subrev_nc_u32_e32 v86, s12, v86
	s_delay_alu instid0(VALU_DEP_2) | instskip(NEXT) | instid1(VALU_DEP_2)
	v_lshlrev_b32_e32 v87, 2, v38
	v_lshlrev_b32_e32 v104, 2, v86
	s_wait_kmcnt 0x0
	global_load_b128 v[38:41], v87, s[4:5] scale_offset
	s_clause 0x1
	global_load_b128 v[42:45], v[28:29], off offset:48
	global_load_b128 v[46:49], v[28:29], off offset:32
	global_load_b128 v[50:53], v87, s[4:5] offset:16 scale_offset
	s_clause 0x1
	global_load_b128 v[54:57], v[28:29], off offset:80
	global_load_b128 v[58:61], v[28:29], off offset:64
	global_load_b128 v[62:65], v87, s[4:5] offset:32 scale_offset
	;; [unrolled: 4-line block ×3, first 2 shown]
	s_clause 0x1
	global_load_b128 v[78:81], v[28:29], off offset:4112
	global_load_b128 v[82:85], v[28:29], off offset:4096
	global_load_b128 v[86:89], v104, s[4:5] scale_offset
	s_clause 0x1
	global_load_b128 v[90:93], v[28:29], off offset:4144
	global_load_b128 v[94:97], v[28:29], off offset:4128
	global_load_b128 v[98:101], v104, s[4:5] offset:16 scale_offset
	s_wait_loadcnt 0xf
	v_fmac_f64_e32 v[12:13], v[34:35], v[38:39]
	v_fmac_f64_e32 v[0:1], 0, v[38:39]
	;; [unrolled: 1-line block ×16, first 2 shown]
	s_clause 0x1
	global_load_b128 v[30:33], v[28:29], off offset:4176
	global_load_b128 v[34:37], v[28:29], off offset:4160
	global_load_b128 v[38:41], v104, s[4:5] offset:32 scale_offset
	s_wait_loadcnt 0xf
	v_fmac_f64_e32 v[12:13], v[46:47], v[50:51]
	v_fmac_f64_e32 v[0:1], 0, v[50:51]
	;; [unrolled: 1-line block ×16, first 2 shown]
	s_clause 0x1
	global_load_b128 v[42:45], v[28:29], off offset:4208
	global_load_b128 v[46:49], v[28:29], off offset:4192
	global_load_b128 v[50:53], v104, s[4:5] offset:48 scale_offset
	s_wait_loadcnt 0xf
	v_fmac_f64_e32 v[12:13], v[58:59], v[62:63]
	v_fmac_f64_e32 v[0:1], 0, v[62:63]
	;; [unrolled: 1-line block ×8, first 2 shown]
	v_subrev_nc_u32_e32 v62, s12, v102
	s_delay_alu instid0(VALU_DEP_1)
	v_lshlrev_b32_e32 v102, 2, v62
	v_fmac_f64_e32 v[12:13], 0x80000000, v[64:65]
	v_fmac_f64_e32 v[0:1], v[58:59], v[64:65]
	;; [unrolled: 1-line block ×8, first 2 shown]
	s_clause 0x1
	global_load_b128 v[54:57], v[28:29], off offset:8208
	global_load_b128 v[58:61], v[28:29], off offset:8192
	global_load_b128 v[62:65], v102, s[4:5] scale_offset
	s_wait_loadcnt 0xf
	v_fmac_f64_e32 v[12:13], v[70:71], v[74:75]
	v_fmac_f64_e32 v[0:1], 0, v[74:75]
	v_fmac_f64_e32 v[16:17], v[72:73], v[74:75]
	v_fmac_f64_e32 v[14:15], 0, v[74:75]
	v_fmac_f64_e32 v[22:23], v[66:67], v[74:75]
	v_fmac_f64_e32 v[18:19], 0, v[74:75]
	v_fmac_f64_e32 v[10:11], v[68:69], v[74:75]
	v_fmac_f64_e32 v[20:21], 0, v[74:75]
	v_fmac_f64_e32 v[12:13], 0x80000000, v[76:77]
	v_fmac_f64_e32 v[0:1], v[70:71], v[76:77]
	v_fmac_f64_e32 v[16:17], 0x80000000, v[76:77]
	v_fmac_f64_e32 v[14:15], v[72:73], v[76:77]
	v_fmac_f64_e32 v[22:23], 0x80000000, v[76:77]
	v_fmac_f64_e32 v[18:19], v[66:67], v[76:77]
	v_fmac_f64_e32 v[10:11], 0x80000000, v[76:77]
	v_fmac_f64_e32 v[20:21], v[68:69], v[76:77]
	s_clause 0x1
	global_load_b128 v[66:69], v[28:29], off offset:8240
	global_load_b128 v[70:73], v[28:29], off offset:8224
	global_load_b128 v[74:77], v102, s[4:5] offset:16 scale_offset
	s_wait_loadcnt 0xf
	v_fmac_f64_e32 v[12:13], v[82:83], v[86:87]
	v_fmac_f64_e32 v[0:1], 0, v[86:87]
	v_fmac_f64_e32 v[16:17], v[84:85], v[86:87]
	v_fmac_f64_e32 v[14:15], 0, v[86:87]
	v_fmac_f64_e32 v[22:23], v[78:79], v[86:87]
	v_fmac_f64_e32 v[18:19], 0, v[86:87]
	v_fmac_f64_e32 v[10:11], v[80:81], v[86:87]
	v_fmac_f64_e32 v[20:21], 0, v[86:87]
	v_fmac_f64_e32 v[12:13], 0x80000000, v[88:89]
	v_fmac_f64_e32 v[0:1], v[82:83], v[88:89]
	v_fmac_f64_e32 v[16:17], 0x80000000, v[88:89]
	v_fmac_f64_e32 v[14:15], v[84:85], v[88:89]
	v_fmac_f64_e32 v[22:23], 0x80000000, v[88:89]
	v_fmac_f64_e32 v[18:19], v[78:79], v[88:89]
	v_fmac_f64_e32 v[10:11], 0x80000000, v[88:89]
	v_fmac_f64_e32 v[20:21], v[80:81], v[88:89]
	s_clause 0x1
	global_load_b128 v[78:81], v[28:29], off offset:8272
	global_load_b128 v[82:85], v[28:29], off offset:8256
	global_load_b128 v[86:89], v102, s[4:5] offset:32 scale_offset
	;; [unrolled: 21-line block ×3, first 2 shown]
	s_wait_loadcnt 0xf
	v_fmac_f64_e32 v[12:13], v[34:35], v[38:39]
	v_fmac_f64_e32 v[0:1], 0, v[38:39]
	;; [unrolled: 1-line block ×8, first 2 shown]
	v_subrev_nc_u32_e32 v38, s12, v103
	s_delay_alu instid0(VALU_DEP_1)
	v_lshlrev_b32_e32 v106, 2, v38
	v_fmac_f64_e32 v[12:13], 0x80000000, v[40:41]
	v_fmac_f64_e32 v[0:1], v[34:35], v[40:41]
	;; [unrolled: 1-line block ×8, first 2 shown]
	s_clause 0x1
	global_load_b128 v[30:33], v[28:29], off offset:12304
	global_load_b128 v[34:37], v[28:29], off offset:12288
	s_clause 0x1
	global_load_b128 v[38:41], v106, s[4:5] offset:16 scale_offset
	global_load_b128 v[102:105], v106, s[4:5] scale_offset
	s_wait_loadcnt 0x10
	v_fmac_f64_e32 v[12:13], v[46:47], v[50:51]
	v_fmac_f64_e32 v[0:1], 0, v[50:51]
	;; [unrolled: 1-line block ×16, first 2 shown]
	s_clause 0x1
	global_load_b128 v[42:45], v[28:29], off offset:12336
	global_load_b128 v[46:49], v[28:29], off offset:12320
	s_wait_loadcnt 0xf
	v_fmac_f64_e32 v[12:13], v[58:59], v[62:63]
	v_fmac_f64_e32 v[0:1], 0, v[62:63]
	;; [unrolled: 1-line block ×16, first 2 shown]
	s_clause 0x1
	global_load_b128 v[50:53], v[28:29], off offset:12368
	global_load_b128 v[54:57], v[28:29], off offset:12352
	s_clause 0x1
	global_load_b128 v[58:61], v106, s[4:5] offset:48 scale_offset
	global_load_b128 v[62:65], v106, s[4:5] offset:32 scale_offset
	s_wait_loadcnt 0x10
	v_fmac_f64_e32 v[12:13], v[70:71], v[74:75]
	v_fmac_f64_e32 v[0:1], 0, v[74:75]
	;; [unrolled: 1-line block ×16, first 2 shown]
	s_clause 0x1
	global_load_b128 v[66:69], v[28:29], off offset:12384
	global_load_b128 v[70:73], v[28:29], off offset:12400
	s_wait_xcnt 0x0
	v_add_nc_u64_e32 v[28:29], 0x4000, v[28:29]
	s_wait_loadcnt 0xf
	v_fmac_f64_e32 v[12:13], v[82:83], v[86:87]
	v_fmac_f64_e32 v[0:1], 0, v[86:87]
	v_fmac_f64_e32 v[16:17], v[84:85], v[86:87]
	v_fmac_f64_e32 v[14:15], 0, v[86:87]
	v_fmac_f64_e32 v[22:23], v[78:79], v[86:87]
	v_fmac_f64_e32 v[18:19], 0, v[86:87]
	v_fmac_f64_e32 v[10:11], v[80:81], v[86:87]
	v_fmac_f64_e32 v[20:21], 0, v[86:87]
	v_fmac_f64_e32 v[12:13], 0x80000000, v[88:89]
	v_fmac_f64_e32 v[0:1], v[82:83], v[88:89]
	v_fmac_f64_e32 v[16:17], 0x80000000, v[88:89]
	v_fmac_f64_e32 v[14:15], v[84:85], v[88:89]
	v_fmac_f64_e32 v[22:23], 0x80000000, v[88:89]
	v_fmac_f64_e32 v[18:19], v[78:79], v[88:89]
	v_fmac_f64_e32 v[10:11], 0x80000000, v[88:89]
	v_fmac_f64_e32 v[20:21], v[80:81], v[88:89]
	s_wait_loadcnt 0xc
	v_fmac_f64_e32 v[12:13], v[90:91], v[98:99]
	v_fmac_f64_e32 v[0:1], 0, v[98:99]
	v_fmac_f64_e32 v[16:17], v[92:93], v[98:99]
	v_fmac_f64_e32 v[14:15], 0, v[98:99]
	v_fmac_f64_e32 v[22:23], v[94:95], v[98:99]
	v_fmac_f64_e32 v[18:19], 0, v[98:99]
	v_fmac_f64_e32 v[10:11], v[96:97], v[98:99]
	v_fmac_f64_e32 v[20:21], 0, v[98:99]
	v_fmac_f64_e32 v[12:13], 0x80000000, v[100:101]
	v_fmac_f64_e32 v[0:1], v[90:91], v[100:101]
	v_fmac_f64_e32 v[16:17], 0x80000000, v[100:101]
	v_fmac_f64_e32 v[14:15], v[92:93], v[100:101]
	v_fmac_f64_e32 v[22:23], 0x80000000, v[100:101]
	v_fmac_f64_e32 v[18:19], v[94:95], v[100:101]
	v_fmac_f64_e32 v[10:11], 0x80000000, v[100:101]
	v_fmac_f64_e32 v[20:21], v[96:97], v[100:101]
	;; [unrolled: 17-line block ×5, first 2 shown]
	s_wait_loadcnt 0x1
	v_fmac_f64_e32 v[12:13], v[66:67], v[58:59]
	v_fmac_f64_e32 v[0:1], 0, v[58:59]
	;; [unrolled: 1-line block ×4, first 2 shown]
	s_wait_loadcnt 0x0
	v_fmac_f64_e32 v[22:23], v[70:71], v[58:59]
	v_fmac_f64_e32 v[18:19], 0, v[58:59]
	;; [unrolled: 1-line block ×12, first 2 shown]
	s_and_not1_b32 exec_lo, exec_lo, s6
	s_cbranch_execnz .LBB138_31
; %bb.32:
	s_or_b32 exec_lo, exec_lo, s6
.LBB138_33:
	s_delay_alu instid0(SALU_CYCLE_1)
	s_or_b32 exec_lo, exec_lo, s2
.LBB138_34:
	s_delay_alu instid0(SALU_CYCLE_1)
	s_or_b32 exec_lo, exec_lo, s3
.LBB138_35:
	v_mbcnt_lo_u32_b32 v44, -1, 0
	s_delay_alu instid0(VALU_DEP_1) | instskip(NEXT) | instid1(VALU_DEP_1)
	v_xor_b32_e32 v24, 16, v44
	v_cmp_gt_i32_e32 vcc_lo, 32, v24
	v_cndmask_b32_e32 v24, v44, v24, vcc_lo
	s_delay_alu instid0(VALU_DEP_1)
	v_lshlrev_b32_e32 v41, 2, v24
	ds_bpermute_b32 v38, v41, v10
	ds_bpermute_b32 v39, v41, v11
	s_wait_dscnt 0x0
	v_add_f64_e32 v[10:11], v[10:11], v[38:39]
	ds_bpermute_b32 v24, v41, v12
	ds_bpermute_b32 v25, v41, v13
	;; [unrolled: 1-line block ×14, first 2 shown]
	s_wait_dscnt 0xc
	v_add_f64_e32 v[12:13], v[12:13], v[24:25]
	s_wait_dscnt 0xa
	v_dual_add_f64 v[16:17], v[16:17], v[30:31] :: v_dual_bitop2_b32 v24, 8, v44 bitop3:0x14
	s_wait_dscnt 0x8
	v_add_f64_e32 v[14:15], v[14:15], v[32:33]
	s_wait_dscnt 0x6
	v_add_f64_e32 v[22:23], v[22:23], v[34:35]
	v_cmp_gt_i32_e32 vcc_lo, 32, v24
	s_wait_dscnt 0x4
	v_add_f64_e32 v[0:1], v[0:1], v[28:29]
	s_wait_dscnt 0x2
	v_add_f64_e32 v[18:19], v[18:19], v[36:37]
	;; [unrolled: 2-line block ×3, first 2 shown]
	v_cndmask_b32_e32 v24, v44, v24, vcc_lo
	s_delay_alu instid0(VALU_DEP_1)
	v_lshlrev_b32_e32 v41, 2, v24
	ds_bpermute_b32 v38, v41, v10
	ds_bpermute_b32 v39, v41, v11
	s_wait_dscnt 0x0
	v_add_f64_e32 v[10:11], v[10:11], v[38:39]
	ds_bpermute_b32 v32, v41, v14
	ds_bpermute_b32 v33, v41, v15
	;; [unrolled: 1-line block ×14, first 2 shown]
	s_wait_dscnt 0xc
	v_add_f64_e32 v[14:15], v[14:15], v[32:33]
	s_wait_dscnt 0xa
	v_add_f64_e32 v[12:13], v[12:13], v[24:25]
	s_wait_dscnt 0x8
	v_dual_add_f64 v[16:17], v[16:17], v[30:31] :: v_dual_bitop2_b32 v24, 4, v44 bitop3:0x14
	s_wait_dscnt 0x6
	v_add_f64_e32 v[0:1], v[0:1], v[28:29]
	s_wait_dscnt 0x4
	v_add_f64_e32 v[22:23], v[22:23], v[34:35]
	v_cmp_gt_i32_e32 vcc_lo, 32, v24
	s_wait_dscnt 0x2
	v_add_f64_e32 v[18:19], v[18:19], v[36:37]
	s_wait_dscnt 0x0
	v_add_f64_e32 v[20:21], v[20:21], v[40:41]
	v_cndmask_b32_e32 v24, v44, v24, vcc_lo
	s_delay_alu instid0(VALU_DEP_1)
	v_lshlrev_b32_e32 v41, 2, v24
	ds_bpermute_b32 v38, v41, v10
	ds_bpermute_b32 v39, v41, v11
	;; [unrolled: 1-line block ×4, first 2 shown]
	s_wait_dscnt 0x0
	v_add_f64_e32 v[14:15], v[14:15], v[32:33]
	v_add_f64_e32 v[32:33], v[10:11], v[38:39]
	ds_bpermute_b32 v24, v41, v12
	ds_bpermute_b32 v25, v41, v13
	;; [unrolled: 1-line block ×12, first 2 shown]
	s_wait_dscnt 0xa
	v_add_f64_e32 v[12:13], v[12:13], v[24:25]
	s_wait_dscnt 0x8
	v_add_f64_e32 v[24:25], v[0:1], v[28:29]
	s_wait_dscnt 0x6
	v_dual_add_f64 v[16:17], v[16:17], v[30:31] :: v_dual_bitop2_b32 v0, 2, v44 bitop3:0x14
	s_wait_dscnt 0x4
	v_add_f64_e32 v[30:31], v[22:23], v[34:35]
	s_wait_dscnt 0x2
	v_add_f64_e32 v[18:19], v[18:19], v[36:37]
	v_cmp_gt_i32_e32 vcc_lo, 32, v0
	s_wait_dscnt 0x0
	v_add_f64_e32 v[20:21], v[20:21], v[40:41]
	v_cndmask_b32_e32 v0, v44, v0, vcc_lo
	s_delay_alu instid0(VALU_DEP_1)
	v_lshlrev_b32_e32 v28, 2, v0
	ds_bpermute_b32 v34, v28, v14
	ds_bpermute_b32 v35, v28, v15
	;; [unrolled: 1-line block ×16, first 2 shown]
	s_wait_dscnt 0xa
	v_add_f64_e32 v[0:1], v[12:13], v[0:1]
	s_wait_dscnt 0x8
	v_add_f64_e32 v[28:29], v[24:25], v[10:11]
	;; [unrolled: 2-line block ×3, first 2 shown]
	v_add_f64_e32 v[22:23], v[14:15], v[34:35]
	s_wait_dscnt 0x4
	v_add_f64_e32 v[12:13], v[30:31], v[36:37]
	v_add_f64_e32 v[14:15], v[32:33], v[40:41]
	s_wait_dscnt 0x2
	v_add_f64_e32 v[18:19], v[18:19], v[38:39]
	s_wait_dscnt 0x0
	v_dual_add_f64 v[16:17], v[20:21], v[42:43] :: v_dual_bitop2_b32 v20, 1, v44 bitop3:0x14
	s_delay_alu instid0(VALU_DEP_1) | instskip(SKIP_2) | instid1(VALU_DEP_2)
	v_cmp_gt_i32_e32 vcc_lo, 32, v20
	v_cndmask_b32_e32 v20, v44, v20, vcc_lo
	v_cmp_eq_u32_e32 vcc_lo, 31, v27
	v_lshlrev_b32_e32 v35, 2, v20
	ds_bpermute_b32 v20, v35, v0
	ds_bpermute_b32 v21, v35, v1
	;; [unrolled: 1-line block ×16, first 2 shown]
	s_and_b32 exec_lo, exec_lo, vcc_lo
	s_cbranch_execz .LBB138_8
; %bb.36:
	s_wait_dscnt 0xc
	v_add_f64_e32 v[28:29], v[28:29], v[40:41]
	s_wait_dscnt 0x8
	v_add_f64_e32 v[38:39], v[22:23], v[38:39]
	;; [unrolled: 2-line block ×4, first 2 shown]
	v_add_f64_e32 v[0:1], v[0:1], v[20:21]
	v_add_f64_e32 v[40:41], v[10:11], v[24:25]
	;; [unrolled: 1-line block ×4, first 2 shown]
	v_cmp_eq_f64_e32 vcc_lo, 0, v[2:3]
	v_cmp_eq_f64_e64 s2, 0, v[4:5]
	s_load_b64 s[0:1], s[0:1], 0x60
	v_mul_f64_e64 v[22:23], v[28:29], -v[8:9]
	v_mul_f64_e32 v[24:25], v[6:7], v[28:29]
	v_mul_f64_e64 v[18:19], v[38:39], -v[8:9]
	v_mul_f64_e32 v[20:21], v[6:7], v[38:39]
	;; [unrolled: 2-line block ×4, first 2 shown]
	s_and_b32 s2, vcc_lo, s2
	v_fmac_f64_e32 v[22:23], v[6:7], v[0:1]
	v_fmac_f64_e32 v[24:25], v[8:9], v[0:1]
	;; [unrolled: 1-line block ×8, first 2 shown]
	v_lshlrev_b32_e32 v0, 2, v26
	s_and_saveexec_b32 s3, s2
	s_delay_alu instid0(SALU_CYCLE_1)
	s_xor_b32 s2, exec_lo, s3
	s_cbranch_execz .LBB138_38
; %bb.37:
	s_wait_kmcnt 0x0
	s_clause 0x3
	global_store_b128 v0, v[22:25], s[0:1] scale_offset
	global_store_b128 v0, v[18:21], s[0:1] offset:16 scale_offset
	global_store_b128 v0, v[14:17], s[0:1] offset:32 scale_offset
	;; [unrolled: 1-line block ×3, first 2 shown]
                                        ; implicit-def: $vgpr4_vgpr5
                                        ; implicit-def: $vgpr22_vgpr23
                                        ; implicit-def: $vgpr0
                                        ; implicit-def: $vgpr18_vgpr19
                                        ; implicit-def: $vgpr14_vgpr15
                                        ; implicit-def: $vgpr10_vgpr11
.LBB138_38:
	s_wait_xcnt 0x0
	s_and_not1_saveexec_b32 s2, s2
	s_cbranch_execz .LBB138_8
; %bb.39:
	s_wait_kmcnt 0x0
	s_clause 0x3
	global_load_b128 v[6:9], v0, s[0:1] scale_offset
	global_load_b128 v[26:29], v0, s[0:1] offset:16 scale_offset
	global_load_b128 v[30:33], v0, s[0:1] offset:32 scale_offset
	;; [unrolled: 1-line block ×3, first 2 shown]
	s_wait_loadcnt 0x3
	v_fmac_f64_e32 v[22:23], v[2:3], v[6:7]
	v_fmac_f64_e32 v[24:25], v[4:5], v[6:7]
	s_wait_loadcnt 0x2
	v_fmac_f64_e32 v[18:19], v[2:3], v[26:27]
	v_fmac_f64_e32 v[20:21], v[4:5], v[26:27]
	;; [unrolled: 3-line block ×4, first 2 shown]
	v_fma_f64 v[22:23], -v[4:5], v[8:9], v[22:23]
	v_fmac_f64_e32 v[24:25], v[2:3], v[8:9]
	v_fma_f64 v[18:19], -v[4:5], v[28:29], v[18:19]
	v_fmac_f64_e32 v[20:21], v[2:3], v[28:29]
	;; [unrolled: 2-line block ×4, first 2 shown]
	s_clause 0x3
	global_store_b128 v0, v[22:25], s[0:1] scale_offset
	global_store_b128 v0, v[18:21], s[0:1] offset:16 scale_offset
	global_store_b128 v0, v[14:17], s[0:1] offset:32 scale_offset
	;; [unrolled: 1-line block ×3, first 2 shown]
	s_sendmsg sendmsg(MSG_DEALLOC_VGPRS)
	s_endpgm
	.section	.rodata,"a",@progbits
	.p2align	6, 0x0
	.amdhsa_kernel _ZN9rocsparseL18bsrxmvn_4x4_kernelILj128ELj32E21rocsparse_complex_numIdEiidS2_S2_EEvT3_20rocsparse_direction_NS_24const_host_device_scalarIT1_EES3_PKS3_PKT2_SC_S9_PKT4_PKT5_S7_PT6_21rocsparse_index_base_b
		.amdhsa_group_segment_fixed_size 0
		.amdhsa_private_segment_fixed_size 0
		.amdhsa_kernarg_size 112
		.amdhsa_user_sgpr_count 2
		.amdhsa_user_sgpr_dispatch_ptr 0
		.amdhsa_user_sgpr_queue_ptr 0
		.amdhsa_user_sgpr_kernarg_segment_ptr 1
		.amdhsa_user_sgpr_dispatch_id 0
		.amdhsa_user_sgpr_kernarg_preload_length 0
		.amdhsa_user_sgpr_kernarg_preload_offset 0
		.amdhsa_user_sgpr_private_segment_size 0
		.amdhsa_wavefront_size32 1
		.amdhsa_uses_dynamic_stack 0
		.amdhsa_enable_private_segment 0
		.amdhsa_system_sgpr_workgroup_id_x 1
		.amdhsa_system_sgpr_workgroup_id_y 0
		.amdhsa_system_sgpr_workgroup_id_z 0
		.amdhsa_system_sgpr_workgroup_info 0
		.amdhsa_system_vgpr_workitem_id 0
		.amdhsa_next_free_vgpr 122
		.amdhsa_next_free_sgpr 14
		.amdhsa_named_barrier_count 0
		.amdhsa_reserve_vcc 1
		.amdhsa_float_round_mode_32 0
		.amdhsa_float_round_mode_16_64 0
		.amdhsa_float_denorm_mode_32 3
		.amdhsa_float_denorm_mode_16_64 3
		.amdhsa_fp16_overflow 0
		.amdhsa_memory_ordered 1
		.amdhsa_forward_progress 1
		.amdhsa_inst_pref_size 62
		.amdhsa_round_robin_scheduling 0
		.amdhsa_exception_fp_ieee_invalid_op 0
		.amdhsa_exception_fp_denorm_src 0
		.amdhsa_exception_fp_ieee_div_zero 0
		.amdhsa_exception_fp_ieee_overflow 0
		.amdhsa_exception_fp_ieee_underflow 0
		.amdhsa_exception_fp_ieee_inexact 0
		.amdhsa_exception_int_div_zero 0
	.end_amdhsa_kernel
	.section	.text._ZN9rocsparseL18bsrxmvn_4x4_kernelILj128ELj32E21rocsparse_complex_numIdEiidS2_S2_EEvT3_20rocsparse_direction_NS_24const_host_device_scalarIT1_EES3_PKS3_PKT2_SC_S9_PKT4_PKT5_S7_PT6_21rocsparse_index_base_b,"axG",@progbits,_ZN9rocsparseL18bsrxmvn_4x4_kernelILj128ELj32E21rocsparse_complex_numIdEiidS2_S2_EEvT3_20rocsparse_direction_NS_24const_host_device_scalarIT1_EES3_PKS3_PKT2_SC_S9_PKT4_PKT5_S7_PT6_21rocsparse_index_base_b,comdat
.Lfunc_end138:
	.size	_ZN9rocsparseL18bsrxmvn_4x4_kernelILj128ELj32E21rocsparse_complex_numIdEiidS2_S2_EEvT3_20rocsparse_direction_NS_24const_host_device_scalarIT1_EES3_PKS3_PKT2_SC_S9_PKT4_PKT5_S7_PT6_21rocsparse_index_base_b, .Lfunc_end138-_ZN9rocsparseL18bsrxmvn_4x4_kernelILj128ELj32E21rocsparse_complex_numIdEiidS2_S2_EEvT3_20rocsparse_direction_NS_24const_host_device_scalarIT1_EES3_PKS3_PKT2_SC_S9_PKT4_PKT5_S7_PT6_21rocsparse_index_base_b
                                        ; -- End function
	.set _ZN9rocsparseL18bsrxmvn_4x4_kernelILj128ELj32E21rocsparse_complex_numIdEiidS2_S2_EEvT3_20rocsparse_direction_NS_24const_host_device_scalarIT1_EES3_PKS3_PKT2_SC_S9_PKT4_PKT5_S7_PT6_21rocsparse_index_base_b.num_vgpr, 122
	.set _ZN9rocsparseL18bsrxmvn_4x4_kernelILj128ELj32E21rocsparse_complex_numIdEiidS2_S2_EEvT3_20rocsparse_direction_NS_24const_host_device_scalarIT1_EES3_PKS3_PKT2_SC_S9_PKT4_PKT5_S7_PT6_21rocsparse_index_base_b.num_agpr, 0
	.set _ZN9rocsparseL18bsrxmvn_4x4_kernelILj128ELj32E21rocsparse_complex_numIdEiidS2_S2_EEvT3_20rocsparse_direction_NS_24const_host_device_scalarIT1_EES3_PKS3_PKT2_SC_S9_PKT4_PKT5_S7_PT6_21rocsparse_index_base_b.numbered_sgpr, 14
	.set _ZN9rocsparseL18bsrxmvn_4x4_kernelILj128ELj32E21rocsparse_complex_numIdEiidS2_S2_EEvT3_20rocsparse_direction_NS_24const_host_device_scalarIT1_EES3_PKS3_PKT2_SC_S9_PKT4_PKT5_S7_PT6_21rocsparse_index_base_b.num_named_barrier, 0
	.set _ZN9rocsparseL18bsrxmvn_4x4_kernelILj128ELj32E21rocsparse_complex_numIdEiidS2_S2_EEvT3_20rocsparse_direction_NS_24const_host_device_scalarIT1_EES3_PKS3_PKT2_SC_S9_PKT4_PKT5_S7_PT6_21rocsparse_index_base_b.private_seg_size, 0
	.set _ZN9rocsparseL18bsrxmvn_4x4_kernelILj128ELj32E21rocsparse_complex_numIdEiidS2_S2_EEvT3_20rocsparse_direction_NS_24const_host_device_scalarIT1_EES3_PKS3_PKT2_SC_S9_PKT4_PKT5_S7_PT6_21rocsparse_index_base_b.uses_vcc, 1
	.set _ZN9rocsparseL18bsrxmvn_4x4_kernelILj128ELj32E21rocsparse_complex_numIdEiidS2_S2_EEvT3_20rocsparse_direction_NS_24const_host_device_scalarIT1_EES3_PKS3_PKT2_SC_S9_PKT4_PKT5_S7_PT6_21rocsparse_index_base_b.uses_flat_scratch, 0
	.set _ZN9rocsparseL18bsrxmvn_4x4_kernelILj128ELj32E21rocsparse_complex_numIdEiidS2_S2_EEvT3_20rocsparse_direction_NS_24const_host_device_scalarIT1_EES3_PKS3_PKT2_SC_S9_PKT4_PKT5_S7_PT6_21rocsparse_index_base_b.has_dyn_sized_stack, 0
	.set _ZN9rocsparseL18bsrxmvn_4x4_kernelILj128ELj32E21rocsparse_complex_numIdEiidS2_S2_EEvT3_20rocsparse_direction_NS_24const_host_device_scalarIT1_EES3_PKS3_PKT2_SC_S9_PKT4_PKT5_S7_PT6_21rocsparse_index_base_b.has_recursion, 0
	.set _ZN9rocsparseL18bsrxmvn_4x4_kernelILj128ELj32E21rocsparse_complex_numIdEiidS2_S2_EEvT3_20rocsparse_direction_NS_24const_host_device_scalarIT1_EES3_PKS3_PKT2_SC_S9_PKT4_PKT5_S7_PT6_21rocsparse_index_base_b.has_indirect_call, 0
	.section	.AMDGPU.csdata,"",@progbits
; Kernel info:
; codeLenInByte = 7916
; TotalNumSgprs: 16
; NumVgprs: 122
; ScratchSize: 0
; MemoryBound: 0
; FloatMode: 240
; IeeeMode: 1
; LDSByteSize: 0 bytes/workgroup (compile time only)
; SGPRBlocks: 0
; VGPRBlocks: 7
; NumSGPRsForWavesPerEU: 16
; NumVGPRsForWavesPerEU: 122
; NamedBarCnt: 0
; Occupancy: 8
; WaveLimiterHint : 1
; COMPUTE_PGM_RSRC2:SCRATCH_EN: 0
; COMPUTE_PGM_RSRC2:USER_SGPR: 2
; COMPUTE_PGM_RSRC2:TRAP_HANDLER: 0
; COMPUTE_PGM_RSRC2:TGID_X_EN: 1
; COMPUTE_PGM_RSRC2:TGID_Y_EN: 0
; COMPUTE_PGM_RSRC2:TGID_Z_EN: 0
; COMPUTE_PGM_RSRC2:TIDIG_COMP_CNT: 0
	.section	.text._ZN9rocsparseL18bsrxmvn_4x4_kernelILj128ELj64E21rocsparse_complex_numIdEiidS2_S2_EEvT3_20rocsparse_direction_NS_24const_host_device_scalarIT1_EES3_PKS3_PKT2_SC_S9_PKT4_PKT5_S7_PT6_21rocsparse_index_base_b,"axG",@progbits,_ZN9rocsparseL18bsrxmvn_4x4_kernelILj128ELj64E21rocsparse_complex_numIdEiidS2_S2_EEvT3_20rocsparse_direction_NS_24const_host_device_scalarIT1_EES3_PKS3_PKT2_SC_S9_PKT4_PKT5_S7_PT6_21rocsparse_index_base_b,comdat
	.globl	_ZN9rocsparseL18bsrxmvn_4x4_kernelILj128ELj64E21rocsparse_complex_numIdEiidS2_S2_EEvT3_20rocsparse_direction_NS_24const_host_device_scalarIT1_EES3_PKS3_PKT2_SC_S9_PKT4_PKT5_S7_PT6_21rocsparse_index_base_b ; -- Begin function _ZN9rocsparseL18bsrxmvn_4x4_kernelILj128ELj64E21rocsparse_complex_numIdEiidS2_S2_EEvT3_20rocsparse_direction_NS_24const_host_device_scalarIT1_EES3_PKS3_PKT2_SC_S9_PKT4_PKT5_S7_PT6_21rocsparse_index_base_b
	.p2align	8
	.type	_ZN9rocsparseL18bsrxmvn_4x4_kernelILj128ELj64E21rocsparse_complex_numIdEiidS2_S2_EEvT3_20rocsparse_direction_NS_24const_host_device_scalarIT1_EES3_PKS3_PKT2_SC_S9_PKT4_PKT5_S7_PT6_21rocsparse_index_base_b,@function
_ZN9rocsparseL18bsrxmvn_4x4_kernelILj128ELj64E21rocsparse_complex_numIdEiidS2_S2_EEvT3_20rocsparse_direction_NS_24const_host_device_scalarIT1_EES3_PKS3_PKT2_SC_S9_PKT4_PKT5_S7_PT6_21rocsparse_index_base_b: ; @_ZN9rocsparseL18bsrxmvn_4x4_kernelILj128ELj64E21rocsparse_complex_numIdEiidS2_S2_EEvT3_20rocsparse_direction_NS_24const_host_device_scalarIT1_EES3_PKS3_PKT2_SC_S9_PKT4_PKT5_S7_PT6_21rocsparse_index_base_b
; %bb.0:
	s_clause 0x1
	s_load_b64 s[12:13], s[0:1], 0x68
	s_load_b64 s[2:3], s[0:1], 0x8
	v_mov_b32_e32 v1, 0
	s_add_nc_u64 s[4:5], s[0:1], 8
	s_load_b64 s[6:7], s[0:1], 0x50
	s_wait_kmcnt 0x0
	s_bitcmp1_b32 s13, 0
	s_cselect_b32 s3, s5, s3
	s_cselect_b32 s2, s4, s2
	flat_load_b128 v[6:9], v1, s[2:3]
	s_wait_xcnt 0x0
	s_add_nc_u64 s[2:3], s[0:1], 0x50
	s_delay_alu instid0(SALU_CYCLE_1)
	s_cselect_b32 s3, s3, s7
	s_cselect_b32 s2, s2, s6
	flat_load_b128 v[2:5], v1, s[2:3]
	s_wait_loadcnt_dscnt 0x101
	v_cmp_eq_f64_e32 vcc_lo, 0, v[6:7]
	s_wait_xcnt 0x0
	v_cmp_eq_f64_e64 s2, 0, v[8:9]
	s_and_b32 s4, vcc_lo, s2
	s_mov_b32 s2, -1
	s_and_saveexec_b32 s3, s4
	s_cbranch_execz .LBB139_2
; %bb.1:
	s_wait_loadcnt_dscnt 0x0
	v_cmp_neq_f64_e32 vcc_lo, 1.0, v[2:3]
	v_cmp_neq_f64_e64 s2, 0, v[4:5]
	s_or_b32 s2, vcc_lo, s2
	s_delay_alu instid0(SALU_CYCLE_1)
	s_or_not1_b32 s2, s2, exec_lo
.LBB139_2:
	s_or_b32 exec_lo, exec_lo, s3
	s_and_saveexec_b32 s3, s2
	s_cbranch_execz .LBB139_8
; %bb.3:
	s_clause 0x1
	s_load_b64 s[4:5], s[0:1], 0x20
	s_load_b64 s[2:3], s[0:1], 0x0
	s_bfe_u32 s6, ttmp6, 0x4000c
	s_and_b32 s7, ttmp6, 15
	s_add_co_i32 s6, s6, 1
	s_getreg_b32 s8, hwreg(HW_REG_IB_STS2, 6, 4)
	s_mul_i32 s6, ttmp9, s6
	v_lshrrev_b32_e32 v1, 6, v0
	s_add_co_i32 s7, s7, s6
	s_cmp_eq_u32 s8, 0
	s_cselect_b32 s6, ttmp9, s7
	s_delay_alu instid0(VALU_DEP_1) | instid1(SALU_CYCLE_1)
	v_lshl_or_b32 v26, s6, 1, v1
	s_mov_b32 s6, 0
	s_wait_kmcnt 0x0
	s_cmp_lg_u64 s[4:5], 0
	s_cbranch_scc0 .LBB139_9
; %bb.4:
	s_load_b32 s6, s[0:1], 0x18
	s_mov_b32 s7, 0
                                        ; implicit-def: $vgpr1
	s_wait_kmcnt 0x0
	v_cmp_gt_i32_e32 vcc_lo, s6, v26
	s_mov_b32 s6, 0
	s_and_saveexec_b32 s8, vcc_lo
	s_delay_alu instid0(SALU_CYCLE_1)
	s_xor_b32 s8, exec_lo, s8
	s_cbranch_execz .LBB139_6
; %bb.5:
	global_load_b32 v1, v26, s[4:5] scale_offset
	s_mov_b32 s6, exec_lo
	s_wait_loadcnt 0x0
	v_subrev_nc_u32_e32 v1, s12, v1
.LBB139_6:
	s_or_b32 exec_lo, exec_lo, s8
	s_delay_alu instid0(SALU_CYCLE_1)
	s_and_b32 vcc_lo, exec_lo, s7
	s_cbranch_vccz .LBB139_10
.LBB139_7:
	v_cmp_gt_i32_e32 vcc_lo, s2, v26
	s_and_not1_b32 s2, s6, exec_lo
	s_and_b32 s4, vcc_lo, exec_lo
	s_delay_alu instid0(SALU_CYCLE_1) | instskip(NEXT) | instid1(SALU_CYCLE_1)
	s_or_b32 s6, s2, s4
	s_and_b32 exec_lo, exec_lo, s6
	s_cbranch_execnz .LBB139_11
.LBB139_8:
	s_sendmsg sendmsg(MSG_DEALLOC_VGPRS)
	s_endpgm
.LBB139_9:
                                        ; implicit-def: $vgpr1
	s_cbranch_execnz .LBB139_7
.LBB139_10:
	s_delay_alu instid0(VALU_DEP_1)
	v_mov_b32_e32 v26, v1
	s_and_b32 exec_lo, exec_lo, s6
	s_cbranch_execz .LBB139_8
.LBB139_11:
	s_load_b256 s[4:11], s[0:1], 0x28
	s_wait_kmcnt 0x0
	global_load_b32 v32, v26, s[4:5] scale_offset
	s_cmp_eq_u64 s[6:7], 0
	s_cselect_b32 vcc_lo, -1, 0
	v_ashrrev_i32_e32 v27, 31, v26
	s_cmp_eq_u32 s3, 1
	s_delay_alu instid0(VALU_DEP_1) | instskip(SKIP_1) | instid1(VALU_DEP_2)
	v_lshlrev_b64_e32 v[10:11], 2, v[26:27]
	v_and_b32_e32 v27, 63, v0
	v_add_nc_u64_e32 v[12:13], s[4:5], v[10:11]
	v_add_nc_u64_e32 v[10:11], s[6:7], v[10:11]
	s_wait_xcnt 0x0
	s_load_b64 s[4:5], s[0:1], 0x48
	s_delay_alu instid0(VALU_DEP_2) | instskip(NEXT) | instid1(VALU_DEP_1)
	v_add_nc_u64_e32 v[12:13], 4, v[12:13]
	v_cndmask_b32_e32 v11, v11, v13, vcc_lo
	s_wait_loadcnt 0x0
	v_subrev_nc_u32_e32 v0, s12, v32
	s_delay_alu instid0(VALU_DEP_1) | instskip(SKIP_2) | instid1(VALU_DEP_1)
	v_dual_cndmask_b32 v10, v10, v12, vcc_lo :: v_dual_add_nc_u32 v24, v0, v27
	global_load_b32 v10, v[10:11], off
	v_ashrrev_i32_e32 v25, 31, v24
	v_lshlrev_b64_e32 v[0:1], 7, v[24:25]
	s_delay_alu instid0(VALU_DEP_1) | instskip(SKIP_2) | instid1(VALU_DEP_1)
	v_add_nc_u64_e32 v[28:29], s[10:11], v[0:1]
	s_wait_loadcnt 0x0
	v_subrev_nc_u32_e32 v25, s12, v10
	v_cmp_lt_i32_e64 s2, v24, v25
	s_cbranch_scc1 .LBB139_23
; %bb.12:
	v_mov_b64_e32 v[0:1], 0
	v_mov_b64_e32 v[12:13], 0
	;; [unrolled: 1-line block ×8, first 2 shown]
	s_and_saveexec_b32 s3, s2
	s_cbranch_execz .LBB139_22
; %bb.13:
	v_add_nc_u32_e32 v0, v32, v27
	v_not_b32_e32 v1, v32
	v_mov_b64_e32 v[10:11], 0
	v_mov_b64_e32 v[20:21], 0
	;; [unrolled: 1-line block ×3, first 2 shown]
	v_subrev_nc_u32_e32 v0, s12, v0
	v_mov_b64_e32 v[18:19], 0
	v_mov_b64_e32 v[16:17], 0
	;; [unrolled: 1-line block ×4, first 2 shown]
	v_add_max_i32_e64 v0, v0, 64, v25
	v_mov_b64_e32 v[30:31], v[28:29]
	s_delay_alu instid0(VALU_DEP_2) | instskip(NEXT) | instid1(VALU_DEP_1)
	v_add3_u32 v0, s12, v0, v1
	v_sub_nc_u32_e32 v34, v0, v27
	v_mov_b64_e32 v[0:1], 0
	s_delay_alu instid0(VALU_DEP_2) | instskip(NEXT) | instid1(VALU_DEP_1)
	v_and_b32_e32 v33, 0xc0, v34
	v_cmp_ne_u32_e32 vcc_lo, 0xc0, v33
	v_mov_b32_e32 v33, v24
	s_and_saveexec_b32 s6, vcc_lo
	s_cbranch_execz .LBB139_17
; %bb.14:
	v_dual_mov_b32 v33, v24 :: v_dual_lshrrev_b32 v10, 6, v34
	v_mov_b64_e32 v[0:1], 0
	v_mov_b64_e32 v[12:13], 0
	;; [unrolled: 1-line block ×3, first 2 shown]
	s_delay_alu instid0(VALU_DEP_4)
	v_add_nc_u32_e32 v10, 1, v10
	v_mov_b64_e32 v[16:17], 0
	v_mov_b64_e32 v[18:19], 0
	;; [unrolled: 1-line block ×4, first 2 shown]
	v_and_b32_e32 v30, 3, v10
	v_mov_b64_e32 v[10:11], 0
	s_mov_b32 s7, 0
	s_delay_alu instid0(VALU_DEP_2)
	v_sub_nc_u32_e32 v35, 0, v30
	v_mov_b64_e32 v[30:31], v[28:29]
.LBB139_15:                             ; =>This Inner Loop Header: Depth=1
	global_load_b32 v68, v33, s[8:9] scale_offset
	s_clause 0x7
	global_load_b128 v[36:39], v[30:31], off offset:48
	global_load_b128 v[40:43], v[30:31], off offset:32
	;; [unrolled: 1-line block ×3, first 2 shown]
	global_load_b128 v[48:51], v[30:31], off
	global_load_b128 v[52:55], v[30:31], off offset:112
	global_load_b128 v[56:59], v[30:31], off offset:96
	;; [unrolled: 1-line block ×4, first 2 shown]
	s_wait_xcnt 0x0
	v_add_nc_u64_e32 v[30:31], 0x2000, v[30:31]
	v_add_co_u32 v35, s10, v35, 1
	s_or_b32 s7, s10, s7
	v_add_nc_u32_e32 v33, 64, v33
	s_wait_loadcnt 0x8
	v_subrev_nc_u32_e32 v68, s12, v68
	s_delay_alu instid0(VALU_DEP_1)
	v_lshlrev_b32_e32 v84, 2, v68
	s_wait_kmcnt 0x0
	s_clause 0x3
	global_load_b128 v[68:71], v84, s[4:5] scale_offset
	global_load_b128 v[72:75], v84, s[4:5] offset:16 scale_offset
	global_load_b128 v[76:79], v84, s[4:5] offset:32 scale_offset
	;; [unrolled: 1-line block ×3, first 2 shown]
	s_wait_loadcnt 0x3
	v_fmac_f64_e32 v[12:13], v[48:49], v[68:69]
	v_fmac_f64_e32 v[0:1], 0, v[68:69]
	v_fmac_f64_e32 v[16:17], v[40:41], v[68:69]
	v_fmac_f64_e32 v[14:15], 0, v[68:69]
	v_fmac_f64_e32 v[22:23], v[64:65], v[68:69]
	v_fmac_f64_e32 v[18:19], 0, v[68:69]
	v_fmac_f64_e32 v[10:11], v[56:57], v[68:69]
	v_fmac_f64_e32 v[20:21], 0, v[68:69]
	v_fmac_f64_e32 v[12:13], 0x80000000, v[70:71]
	v_fmac_f64_e32 v[0:1], v[48:49], v[70:71]
	v_fmac_f64_e32 v[16:17], 0x80000000, v[70:71]
	v_fmac_f64_e32 v[14:15], v[40:41], v[70:71]
	v_fmac_f64_e32 v[22:23], 0x80000000, v[70:71]
	v_fmac_f64_e32 v[18:19], v[64:65], v[70:71]
	v_fmac_f64_e32 v[10:11], 0x80000000, v[70:71]
	v_fmac_f64_e32 v[20:21], v[56:57], v[70:71]
	s_wait_loadcnt 0x2
	v_fmac_f64_e32 v[12:13], v[50:51], v[72:73]
	v_fmac_f64_e32 v[0:1], 0, v[72:73]
	v_fmac_f64_e32 v[16:17], v[42:43], v[72:73]
	v_fmac_f64_e32 v[14:15], 0, v[72:73]
	v_fmac_f64_e32 v[22:23], v[66:67], v[72:73]
	v_fmac_f64_e32 v[18:19], 0, v[72:73]
	v_fmac_f64_e32 v[10:11], v[58:59], v[72:73]
	v_fmac_f64_e32 v[20:21], 0, v[72:73]
	v_fmac_f64_e32 v[12:13], 0x80000000, v[74:75]
	v_fmac_f64_e32 v[0:1], v[50:51], v[74:75]
	v_fmac_f64_e32 v[16:17], 0x80000000, v[74:75]
	v_fmac_f64_e32 v[14:15], v[42:43], v[74:75]
	v_fmac_f64_e32 v[22:23], 0x80000000, v[74:75]
	v_fmac_f64_e32 v[18:19], v[66:67], v[74:75]
	v_fmac_f64_e32 v[10:11], 0x80000000, v[74:75]
	v_fmac_f64_e32 v[20:21], v[58:59], v[74:75]
	;; [unrolled: 17-line block ×4, first 2 shown]
	s_and_not1_b32 exec_lo, exec_lo, s7
	s_cbranch_execnz .LBB139_15
; %bb.16:
	s_or_b32 exec_lo, exec_lo, s7
.LBB139_17:
	s_delay_alu instid0(SALU_CYCLE_1) | instskip(NEXT) | instid1(SALU_CYCLE_1)
	s_or_b32 exec_lo, exec_lo, s6
	s_mov_b32 s6, exec_lo
	v_cmpx_lt_u32_e32 0xbf, v34
	s_cbranch_execz .LBB139_21
; %bb.18:
	s_mov_b32 s7, 0
.LBB139_19:                             ; =>This Inner Loop Header: Depth=1
	global_load_b32 v110, v33, s[8:9] scale_offset
	s_clause 0xf
	global_load_b128 v[34:37], v[30:31], off offset:48
	global_load_b128 v[38:41], v[30:31], off offset:32
	;; [unrolled: 1-line block ×3, first 2 shown]
	global_load_b128 v[46:49], v[30:31], off
	global_load_b128 v[50:53], v[30:31], off offset:112
	global_load_b128 v[54:57], v[30:31], off offset:96
	;; [unrolled: 1-line block ×12, first 2 shown]
	s_clause 0x2
	global_load_b32 v118, v33, s[8:9] offset:256 scale_offset
	global_load_b32 v119, v33, s[8:9] offset:512 scale_offset
	;; [unrolled: 1-line block ×3, first 2 shown]
	s_clause 0x2
	global_load_b128 v[98:101], v[30:31], off offset:16432
	global_load_b128 v[102:105], v[30:31], off offset:16416
	;; [unrolled: 1-line block ×3, first 2 shown]
	s_wait_xcnt 0x3
	v_add_nc_u32_e32 v33, 0x100, v33
	s_delay_alu instid0(VALU_DEP_1) | instskip(SKIP_3) | instid1(VALU_DEP_1)
	v_cmp_ge_i32_e32 vcc_lo, v33, v25
	s_or_b32 s7, vcc_lo, s7
	s_wait_loadcnt 0x16
	v_subrev_nc_u32_e32 v110, s12, v110
	v_lshlrev_b32_e32 v121, 2, v110
	s_wait_kmcnt 0x0
	s_clause 0x1
	global_load_b128 v[110:113], v121, s[4:5] scale_offset
	global_load_b128 v[114:117], v121, s[4:5] offset:16 scale_offset
	s_wait_loadcnt 0x1
	v_fmac_f64_e32 v[20:21], 0, v[110:111]
	v_fmac_f64_e32 v[10:11], v[54:55], v[110:111]
	;; [unrolled: 1-line block ×16, first 2 shown]
	global_load_b128 v[110:113], v[30:31], off offset:16384
	s_wait_loadcnt 0x1
	v_fmac_f64_e32 v[20:21], 0, v[114:115]
	v_fmac_f64_e32 v[10:11], v[56:57], v[114:115]
	;; [unrolled: 1-line block ×9, first 2 shown]
	global_load_b128 v[54:57], v121, s[4:5] offset:32 scale_offset
	v_fmac_f64_e32 v[0:1], v[48:49], v[116:117]
	v_fmac_f64_e32 v[12:13], 0x80000000, v[116:117]
	;; [unrolled: 1-line block ×7, first 2 shown]
	global_load_b128 v[114:117], v121, s[4:5] offset:48 scale_offset
	s_clause 0x2
	global_load_b128 v[38:41], v[30:31], off offset:16480
	global_load_b128 v[62:65], v[30:31], off offset:16464
	;; [unrolled: 1-line block ×3, first 2 shown]
	s_wait_loadcnt 0x4
	v_fmac_f64_e32 v[20:21], 0, v[54:55]
	v_fmac_f64_e32 v[10:11], v[50:51], v[54:55]
	;; [unrolled: 1-line block ×10, first 2 shown]
	v_subrev_nc_u32_e32 v50, s12, v118
	v_fmac_f64_e32 v[0:1], v[42:43], v[56:57]
	v_fmac_f64_e32 v[12:13], 0x80000000, v[56:57]
	;; [unrolled: 1-line block ×4, first 2 shown]
	v_lshlrev_b32_e32 v118, 2, v50
	v_fmac_f64_e32 v[22:23], 0x80000000, v[56:57]
	v_fmac_f64_e32 v[18:19], v[58:59], v[56:57]
	global_load_b128 v[54:57], v[30:31], off offset:16448
	s_wait_loadcnt 0x4
	v_fmac_f64_e32 v[20:21], 0, v[114:115]
	v_fmac_f64_e32 v[10:11], v[52:53], v[114:115]
	;; [unrolled: 1-line block ×9, first 2 shown]
	global_load_b128 v[50:53], v118, s[4:5] scale_offset
	v_fmac_f64_e32 v[10:11], 0x80000000, v[116:117]
	v_fmac_f64_e32 v[0:1], v[44:45], v[116:117]
	;; [unrolled: 1-line block ×5, first 2 shown]
	global_load_b128 v[42:45], v[30:31], off offset:24624
	v_fmac_f64_e32 v[22:23], 0x80000000, v[116:117]
	v_fmac_f64_e32 v[18:19], v[60:61], v[116:117]
	global_load_b128 v[114:117], v118, s[4:5] offset:16 scale_offset
	s_clause 0x1
	global_load_b128 v[34:37], v[30:31], off offset:24608
	global_load_b128 v[58:61], v[30:31], off offset:24592
	s_wait_loadcnt 0x4
	v_fmac_f64_e32 v[0:1], 0, v[50:51]
	v_fmac_f64_e32 v[12:13], v[78:79], v[50:51]
	;; [unrolled: 1-line block ×12, first 2 shown]
	v_subrev_nc_u32_e32 v70, s12, v119
	v_fmac_f64_e32 v[18:19], v[94:95], v[52:53]
	v_fmac_f64_e32 v[22:23], 0x80000000, v[52:53]
	;; [unrolled: 1-line block ×4, first 2 shown]
	v_lshlrev_b32_e32 v119, 2, v70
	global_load_b128 v[50:53], v[30:31], off offset:24576
	s_wait_loadcnt 0x3
	v_fmac_f64_e32 v[0:1], 0, v[114:115]
	v_fmac_f64_e32 v[12:13], v[80:81], v[114:115]
	;; [unrolled: 1-line block ×9, first 2 shown]
	global_load_b128 v[78:81], v118, s[4:5] offset:32 scale_offset
	v_fmac_f64_e32 v[14:15], v[72:73], v[116:117]
	global_load_b128 v[70:73], v118, s[4:5] offset:48 scale_offset
	v_fmac_f64_e32 v[12:13], 0x80000000, v[116:117]
	v_fmac_f64_e32 v[18:19], v[96:97], v[116:117]
	global_load_b128 v[94:97], v119, s[4:5] scale_offset
	v_fmac_f64_e32 v[20:21], v[88:89], v[116:117]
	global_load_b128 v[86:89], v119, s[4:5] offset:16 scale_offset
	v_fmac_f64_e32 v[16:17], 0x80000000, v[116:117]
	v_fmac_f64_e32 v[22:23], 0x80000000, v[116:117]
	v_fmac_f64_e32 v[10:11], 0x80000000, v[116:117]
	global_load_b128 v[114:117], v119, s[4:5] offset:32 scale_offset
	s_wait_loadcnt 0x4
	v_fmac_f64_e32 v[0:1], 0, v[78:79]
	v_fmac_f64_e32 v[12:13], v[74:75], v[78:79]
	;; [unrolled: 1-line block ×16, first 2 shown]
	v_subrev_nc_u32_e32 v82, s12, v120
	global_load_b128 v[78:81], v[30:31], off offset:24672
	s_wait_xcnt 0x4
	v_lshlrev_b32_e32 v118, 2, v82
	s_wait_loadcnt 0x4
	v_fmac_f64_e32 v[0:1], 0, v[70:71]
	v_fmac_f64_e32 v[12:13], v[76:77], v[70:71]
	;; [unrolled: 1-line block ×9, first 2 shown]
	global_load_b128 v[74:77], v119, s[4:5] offset:48 scale_offset
	v_fmac_f64_e32 v[14:15], v[68:69], v[72:73]
	global_load_b128 v[66:69], v[30:31], off offset:24640
	v_fmac_f64_e32 v[18:19], v[92:93], v[72:73]
	global_load_b128 v[90:93], v118, s[4:5] scale_offset
	v_fmac_f64_e32 v[12:13], 0x80000000, v[72:73]
	v_fmac_f64_e32 v[20:21], v[84:85], v[72:73]
	;; [unrolled: 1-line block ×5, first 2 shown]
	global_load_b128 v[70:73], v118, s[4:5] offset:16 scale_offset
	global_load_b128 v[82:85], v[30:31], off offset:24688
	s_wait_loadcnt 0x8
	v_fmac_f64_e32 v[0:1], 0, v[94:95]
	v_fmac_f64_e32 v[14:15], 0, v[94:95]
	;; [unrolled: 1-line block ×16, first 2 shown]
	global_load_b128 v[94:97], v[30:31], off offset:24656
	s_wait_xcnt 0x0
	v_add_nc_u64_e32 v[30:31], 0x8000, v[30:31]
	s_wait_loadcnt 0x8
	v_fmac_f64_e32 v[0:1], 0, v[86:87]
	v_fmac_f64_e32 v[14:15], 0, v[86:87]
	;; [unrolled: 1-line block ×9, first 2 shown]
	global_load_b128 v[110:113], v118, s[4:5] offset:32 scale_offset
	v_fmac_f64_e32 v[14:15], v[104:105], v[88:89]
	v_fmac_f64_e32 v[18:19], v[56:57], v[88:89]
	;; [unrolled: 1-line block ×7, first 2 shown]
	global_load_b128 v[38:41], v118, s[4:5] offset:48 scale_offset
	s_wait_loadcnt 0x9
	v_fmac_f64_e32 v[0:1], 0, v[114:115]
	v_fmac_f64_e32 v[14:15], 0, v[114:115]
	v_fmac_f64_e32 v[18:19], 0, v[114:115]
	v_fmac_f64_e32 v[12:13], v[106:107], v[114:115]
	v_fmac_f64_e32 v[20:21], 0, v[114:115]
	v_fmac_f64_e32 v[16:17], v[98:99], v[114:115]
	v_fmac_f64_e32 v[22:23], v[62:63], v[114:115]
	v_fmac_f64_e32 v[10:11], v[46:47], v[114:115]
	v_fmac_f64_e32 v[0:1], v[106:107], v[116:117]
	v_fmac_f64_e32 v[14:15], v[98:99], v[116:117]
	v_fmac_f64_e32 v[18:19], v[62:63], v[116:117]
	v_fmac_f64_e32 v[12:13], 0x80000000, v[116:117]
	v_fmac_f64_e32 v[20:21], v[46:47], v[116:117]
	v_fmac_f64_e32 v[16:17], 0x80000000, v[116:117]
	v_fmac_f64_e32 v[22:23], 0x80000000, v[116:117]
	v_fmac_f64_e32 v[10:11], 0x80000000, v[116:117]
	s_wait_loadcnt 0x7
	v_fmac_f64_e32 v[12:13], v[108:109], v[74:75]
	v_fmac_f64_e32 v[0:1], 0, v[74:75]
	v_fmac_f64_e32 v[16:17], v[100:101], v[74:75]
	v_fmac_f64_e32 v[14:15], 0, v[74:75]
	v_fmac_f64_e32 v[22:23], v[64:65], v[74:75]
	v_fmac_f64_e32 v[18:19], 0, v[74:75]
	v_fmac_f64_e32 v[10:11], v[48:49], v[74:75]
	v_fmac_f64_e32 v[20:21], 0, v[74:75]
	v_fmac_f64_e32 v[12:13], 0x80000000, v[76:77]
	v_fmac_f64_e32 v[0:1], v[108:109], v[76:77]
	v_fmac_f64_e32 v[16:17], 0x80000000, v[76:77]
	v_fmac_f64_e32 v[14:15], v[100:101], v[76:77]
	v_fmac_f64_e32 v[22:23], 0x80000000, v[76:77]
	v_fmac_f64_e32 v[18:19], v[64:65], v[76:77]
	v_fmac_f64_e32 v[10:11], 0x80000000, v[76:77]
	v_fmac_f64_e32 v[20:21], v[48:49], v[76:77]
	;; [unrolled: 17-line block ×6, first 2 shown]
	s_and_not1_b32 exec_lo, exec_lo, s7
	s_cbranch_execnz .LBB139_19
; %bb.20:
	s_or_b32 exec_lo, exec_lo, s7
.LBB139_21:
	s_delay_alu instid0(SALU_CYCLE_1)
	s_or_b32 exec_lo, exec_lo, s6
.LBB139_22:
	s_delay_alu instid0(SALU_CYCLE_1)
	s_or_b32 exec_lo, exec_lo, s3
	s_cbranch_execz .LBB139_24
	s_branch .LBB139_35
.LBB139_23:
                                        ; implicit-def: $vgpr0_vgpr1
                                        ; implicit-def: $vgpr12_vgpr13
                                        ; implicit-def: $vgpr14_vgpr15
                                        ; implicit-def: $vgpr16_vgpr17
                                        ; implicit-def: $vgpr18_vgpr19
                                        ; implicit-def: $vgpr22_vgpr23
                                        ; implicit-def: $vgpr20_vgpr21
                                        ; implicit-def: $vgpr10_vgpr11
.LBB139_24:
	v_mov_b64_e32 v[0:1], 0
	v_mov_b64_e32 v[12:13], 0
	;; [unrolled: 1-line block ×8, first 2 shown]
	s_and_saveexec_b32 s3, s2
	s_cbranch_execz .LBB139_34
; %bb.25:
	v_add_nc_u32_e32 v0, v32, v27
	v_not_b32_e32 v1, v32
	v_mov_b64_e32 v[10:11], 0
	v_mov_b64_e32 v[20:21], 0
	;; [unrolled: 1-line block ×3, first 2 shown]
	v_subrev_nc_u32_e32 v0, s12, v0
	v_mov_b64_e32 v[18:19], 0
	v_mov_b64_e32 v[16:17], 0
	;; [unrolled: 1-line block ×4, first 2 shown]
	v_add_max_i32_e64 v0, v0, 64, v25
	s_mov_b32 s2, exec_lo
	s_delay_alu instid0(VALU_DEP_1) | instskip(NEXT) | instid1(VALU_DEP_1)
	v_add3_u32 v0, s12, v0, v1
	v_sub_nc_u32_e32 v30, v0, v27
	v_mov_b64_e32 v[0:1], 0
	s_delay_alu instid0(VALU_DEP_2) | instskip(NEXT) | instid1(VALU_DEP_1)
	v_and_b32_e32 v31, 0xc0, v30
	v_cmpx_ne_u32_e32 0xc0, v31
	s_cbranch_execz .LBB139_29
; %bb.26:
	v_lshrrev_b32_e32 v0, 6, v30
	v_mov_b64_e32 v[12:13], 0
	v_mov_b64_e32 v[14:15], 0
	;; [unrolled: 1-line block ×4, first 2 shown]
	v_add_nc_u32_e32 v10, 1, v0
	v_mov_b64_e32 v[0:1], 0
	v_mov_b64_e32 v[22:23], 0
	;; [unrolled: 1-line block ×3, first 2 shown]
	s_mov_b32 s6, 0
	v_and_b32_e32 v31, 3, v10
	v_mov_b64_e32 v[10:11], 0
	s_delay_alu instid0(VALU_DEP_2)
	v_sub_nc_u32_e32 v31, 0, v31
.LBB139_27:                             ; =>This Inner Loop Header: Depth=1
	global_load_b32 v40, v24, s[8:9] scale_offset
	s_clause 0x1
	global_load_b128 v[32:35], v[28:29], off offset:16
	global_load_b128 v[36:39], v[28:29], off
	s_wait_xcnt 0x2
	v_add_nc_u32_e32 v24, 64, v24
	v_add_co_u32 v31, s7, v31, 1
	s_or_b32 s6, s7, s6
	s_wait_loadcnt 0x2
	v_subrev_nc_u32_e32 v40, s12, v40
	s_delay_alu instid0(VALU_DEP_1)
	v_lshlrev_b32_e32 v80, 2, v40
	s_wait_kmcnt 0x0
	s_clause 0x1
	global_load_b128 v[40:43], v80, s[4:5] scale_offset
	global_load_b128 v[44:47], v80, s[4:5] offset:16 scale_offset
	s_clause 0x3
	global_load_b128 v[48:51], v[28:29], off offset:32
	global_load_b128 v[52:55], v[28:29], off offset:48
	;; [unrolled: 1-line block ×4, first 2 shown]
	s_clause 0x1
	global_load_b128 v[64:67], v80, s[4:5] offset:32 scale_offset
	global_load_b128 v[68:71], v80, s[4:5] offset:48 scale_offset
	s_clause 0x1
	global_load_b128 v[72:75], v[28:29], off offset:96
	global_load_b128 v[76:79], v[28:29], off offset:112
	s_wait_xcnt 0x0
	v_add_nc_u64_e32 v[28:29], 0x2000, v[28:29]
	s_wait_loadcnt 0x9
	v_fmac_f64_e32 v[12:13], v[36:37], v[40:41]
	v_fmac_f64_e32 v[0:1], 0, v[40:41]
	;; [unrolled: 1-line block ×16, first 2 shown]
	s_wait_loadcnt 0x7
	v_fmac_f64_e32 v[12:13], v[48:49], v[44:45]
	v_fmac_f64_e32 v[0:1], 0, v[44:45]
	;; [unrolled: 1-line block ×4, first 2 shown]
	s_wait_loadcnt 0x6
	v_fmac_f64_e32 v[22:23], v[52:53], v[44:45]
	v_fmac_f64_e32 v[18:19], 0, v[44:45]
	;; [unrolled: 1-line block ×12, first 2 shown]
	s_wait_loadcnt 0x3
	v_fmac_f64_e32 v[12:13], v[60:61], v[64:65]
	v_fmac_f64_e32 v[0:1], 0, v[64:65]
	;; [unrolled: 1-line block ×16, first 2 shown]
	s_wait_loadcnt 0x1
	v_fmac_f64_e32 v[12:13], v[72:73], v[68:69]
	v_fmac_f64_e32 v[0:1], 0, v[68:69]
	;; [unrolled: 1-line block ×4, first 2 shown]
	s_wait_loadcnt 0x0
	v_fmac_f64_e32 v[22:23], v[76:77], v[68:69]
	v_fmac_f64_e32 v[18:19], 0, v[68:69]
	v_fmac_f64_e32 v[10:11], v[78:79], v[68:69]
	v_fmac_f64_e32 v[20:21], 0, v[68:69]
	v_fmac_f64_e32 v[12:13], 0x80000000, v[70:71]
	v_fmac_f64_e32 v[0:1], v[72:73], v[70:71]
	v_fmac_f64_e32 v[16:17], 0x80000000, v[70:71]
	v_fmac_f64_e32 v[14:15], v[74:75], v[70:71]
	v_fmac_f64_e32 v[22:23], 0x80000000, v[70:71]
	v_fmac_f64_e32 v[18:19], v[76:77], v[70:71]
	v_fmac_f64_e32 v[10:11], 0x80000000, v[70:71]
	v_fmac_f64_e32 v[20:21], v[78:79], v[70:71]
	s_and_not1_b32 exec_lo, exec_lo, s6
	s_cbranch_execnz .LBB139_27
; %bb.28:
	s_or_b32 exec_lo, exec_lo, s6
.LBB139_29:
	s_delay_alu instid0(SALU_CYCLE_1) | instskip(NEXT) | instid1(SALU_CYCLE_1)
	s_or_b32 exec_lo, exec_lo, s2
	s_mov_b32 s2, exec_lo
	v_cmpx_lt_u32_e32 0xbf, v30
	s_cbranch_execz .LBB139_33
; %bb.30:
	s_mov_b32 s6, 0
.LBB139_31:                             ; =>This Inner Loop Header: Depth=1
	s_clause 0x1
	global_load_b32 v38, v24, s[8:9] scale_offset
	global_load_b32 v86, v24, s[8:9] offset:256 scale_offset
	s_clause 0x1
	global_load_b128 v[30:33], v[28:29], off offset:16
	global_load_b128 v[34:37], v[28:29], off
	s_clause 0x1
	global_load_b32 v102, v24, s[8:9] offset:512 scale_offset
	global_load_b32 v103, v24, s[8:9] offset:768 scale_offset
	s_wait_xcnt 0x0
	v_add_nc_u32_e32 v24, 0x100, v24
	s_delay_alu instid0(VALU_DEP_1)
	v_cmp_ge_i32_e32 vcc_lo, v24, v25
	s_or_b32 s6, vcc_lo, s6
	s_wait_loadcnt 0x5
	v_subrev_nc_u32_e32 v38, s12, v38
	s_wait_loadcnt 0x4
	v_subrev_nc_u32_e32 v86, s12, v86
	s_delay_alu instid0(VALU_DEP_2) | instskip(NEXT) | instid1(VALU_DEP_2)
	v_lshlrev_b32_e32 v87, 2, v38
	v_lshlrev_b32_e32 v104, 2, v86
	s_wait_kmcnt 0x0
	global_load_b128 v[38:41], v87, s[4:5] scale_offset
	s_clause 0x1
	global_load_b128 v[42:45], v[28:29], off offset:48
	global_load_b128 v[46:49], v[28:29], off offset:32
	global_load_b128 v[50:53], v87, s[4:5] offset:16 scale_offset
	s_clause 0x1
	global_load_b128 v[54:57], v[28:29], off offset:80
	global_load_b128 v[58:61], v[28:29], off offset:64
	global_load_b128 v[62:65], v87, s[4:5] offset:32 scale_offset
	;; [unrolled: 4-line block ×3, first 2 shown]
	s_clause 0x1
	global_load_b128 v[78:81], v[28:29], off offset:8208
	global_load_b128 v[82:85], v[28:29], off offset:8192
	global_load_b128 v[86:89], v104, s[4:5] scale_offset
	s_clause 0x1
	global_load_b128 v[90:93], v[28:29], off offset:8240
	global_load_b128 v[94:97], v[28:29], off offset:8224
	global_load_b128 v[98:101], v104, s[4:5] offset:16 scale_offset
	s_wait_loadcnt 0xf
	v_fmac_f64_e32 v[12:13], v[34:35], v[38:39]
	v_fmac_f64_e32 v[0:1], 0, v[38:39]
	;; [unrolled: 1-line block ×16, first 2 shown]
	s_clause 0x1
	global_load_b128 v[30:33], v[28:29], off offset:8272
	global_load_b128 v[34:37], v[28:29], off offset:8256
	global_load_b128 v[38:41], v104, s[4:5] offset:32 scale_offset
	s_wait_loadcnt 0xf
	v_fmac_f64_e32 v[12:13], v[46:47], v[50:51]
	v_fmac_f64_e32 v[0:1], 0, v[50:51]
	;; [unrolled: 1-line block ×16, first 2 shown]
	s_clause 0x1
	global_load_b128 v[42:45], v[28:29], off offset:8304
	global_load_b128 v[46:49], v[28:29], off offset:8288
	global_load_b128 v[50:53], v104, s[4:5] offset:48 scale_offset
	s_wait_loadcnt 0xf
	v_fmac_f64_e32 v[12:13], v[58:59], v[62:63]
	v_fmac_f64_e32 v[0:1], 0, v[62:63]
	;; [unrolled: 1-line block ×8, first 2 shown]
	v_subrev_nc_u32_e32 v62, s12, v102
	s_delay_alu instid0(VALU_DEP_1)
	v_lshlrev_b32_e32 v102, 2, v62
	v_fmac_f64_e32 v[12:13], 0x80000000, v[64:65]
	v_fmac_f64_e32 v[0:1], v[58:59], v[64:65]
	;; [unrolled: 1-line block ×8, first 2 shown]
	s_clause 0x1
	global_load_b128 v[54:57], v[28:29], off offset:16400
	global_load_b128 v[58:61], v[28:29], off offset:16384
	global_load_b128 v[62:65], v102, s[4:5] scale_offset
	s_wait_loadcnt 0xf
	v_fmac_f64_e32 v[12:13], v[70:71], v[74:75]
	v_fmac_f64_e32 v[0:1], 0, v[74:75]
	v_fmac_f64_e32 v[16:17], v[72:73], v[74:75]
	v_fmac_f64_e32 v[14:15], 0, v[74:75]
	v_fmac_f64_e32 v[22:23], v[66:67], v[74:75]
	v_fmac_f64_e32 v[18:19], 0, v[74:75]
	v_fmac_f64_e32 v[10:11], v[68:69], v[74:75]
	v_fmac_f64_e32 v[20:21], 0, v[74:75]
	v_fmac_f64_e32 v[12:13], 0x80000000, v[76:77]
	v_fmac_f64_e32 v[0:1], v[70:71], v[76:77]
	v_fmac_f64_e32 v[16:17], 0x80000000, v[76:77]
	v_fmac_f64_e32 v[14:15], v[72:73], v[76:77]
	v_fmac_f64_e32 v[22:23], 0x80000000, v[76:77]
	v_fmac_f64_e32 v[18:19], v[66:67], v[76:77]
	v_fmac_f64_e32 v[10:11], 0x80000000, v[76:77]
	v_fmac_f64_e32 v[20:21], v[68:69], v[76:77]
	s_clause 0x1
	global_load_b128 v[66:69], v[28:29], off offset:16432
	global_load_b128 v[70:73], v[28:29], off offset:16416
	global_load_b128 v[74:77], v102, s[4:5] offset:16 scale_offset
	s_wait_loadcnt 0xf
	v_fmac_f64_e32 v[12:13], v[82:83], v[86:87]
	v_fmac_f64_e32 v[0:1], 0, v[86:87]
	v_fmac_f64_e32 v[16:17], v[84:85], v[86:87]
	v_fmac_f64_e32 v[14:15], 0, v[86:87]
	v_fmac_f64_e32 v[22:23], v[78:79], v[86:87]
	v_fmac_f64_e32 v[18:19], 0, v[86:87]
	v_fmac_f64_e32 v[10:11], v[80:81], v[86:87]
	v_fmac_f64_e32 v[20:21], 0, v[86:87]
	v_fmac_f64_e32 v[12:13], 0x80000000, v[88:89]
	v_fmac_f64_e32 v[0:1], v[82:83], v[88:89]
	v_fmac_f64_e32 v[16:17], 0x80000000, v[88:89]
	v_fmac_f64_e32 v[14:15], v[84:85], v[88:89]
	v_fmac_f64_e32 v[22:23], 0x80000000, v[88:89]
	v_fmac_f64_e32 v[18:19], v[78:79], v[88:89]
	v_fmac_f64_e32 v[10:11], 0x80000000, v[88:89]
	v_fmac_f64_e32 v[20:21], v[80:81], v[88:89]
	s_clause 0x1
	global_load_b128 v[78:81], v[28:29], off offset:16464
	global_load_b128 v[82:85], v[28:29], off offset:16448
	global_load_b128 v[86:89], v102, s[4:5] offset:32 scale_offset
	;; [unrolled: 21-line block ×3, first 2 shown]
	s_wait_loadcnt 0xf
	v_fmac_f64_e32 v[12:13], v[34:35], v[38:39]
	v_fmac_f64_e32 v[0:1], 0, v[38:39]
	;; [unrolled: 1-line block ×8, first 2 shown]
	v_subrev_nc_u32_e32 v38, s12, v103
	s_delay_alu instid0(VALU_DEP_1)
	v_lshlrev_b32_e32 v106, 2, v38
	v_fmac_f64_e32 v[12:13], 0x80000000, v[40:41]
	v_fmac_f64_e32 v[0:1], v[34:35], v[40:41]
	;; [unrolled: 1-line block ×8, first 2 shown]
	s_clause 0x1
	global_load_b128 v[30:33], v[28:29], off offset:24592
	global_load_b128 v[34:37], v[28:29], off offset:24576
	s_clause 0x1
	global_load_b128 v[38:41], v106, s[4:5] offset:16 scale_offset
	global_load_b128 v[102:105], v106, s[4:5] scale_offset
	s_wait_loadcnt 0x10
	v_fmac_f64_e32 v[12:13], v[46:47], v[50:51]
	v_fmac_f64_e32 v[0:1], 0, v[50:51]
	;; [unrolled: 1-line block ×16, first 2 shown]
	s_clause 0x1
	global_load_b128 v[42:45], v[28:29], off offset:24624
	global_load_b128 v[46:49], v[28:29], off offset:24608
	s_wait_loadcnt 0xf
	v_fmac_f64_e32 v[12:13], v[58:59], v[62:63]
	v_fmac_f64_e32 v[0:1], 0, v[62:63]
	;; [unrolled: 1-line block ×16, first 2 shown]
	s_clause 0x1
	global_load_b128 v[50:53], v[28:29], off offset:24656
	global_load_b128 v[54:57], v[28:29], off offset:24640
	s_clause 0x1
	global_load_b128 v[58:61], v106, s[4:5] offset:48 scale_offset
	global_load_b128 v[62:65], v106, s[4:5] offset:32 scale_offset
	s_wait_loadcnt 0x10
	v_fmac_f64_e32 v[12:13], v[70:71], v[74:75]
	v_fmac_f64_e32 v[0:1], 0, v[74:75]
	;; [unrolled: 1-line block ×16, first 2 shown]
	s_clause 0x1
	global_load_b128 v[66:69], v[28:29], off offset:24672
	global_load_b128 v[70:73], v[28:29], off offset:24688
	s_wait_xcnt 0x0
	v_add_nc_u64_e32 v[28:29], 0x8000, v[28:29]
	s_wait_loadcnt 0xf
	v_fmac_f64_e32 v[12:13], v[82:83], v[86:87]
	v_fmac_f64_e32 v[0:1], 0, v[86:87]
	v_fmac_f64_e32 v[16:17], v[84:85], v[86:87]
	v_fmac_f64_e32 v[14:15], 0, v[86:87]
	v_fmac_f64_e32 v[22:23], v[78:79], v[86:87]
	v_fmac_f64_e32 v[18:19], 0, v[86:87]
	v_fmac_f64_e32 v[10:11], v[80:81], v[86:87]
	v_fmac_f64_e32 v[20:21], 0, v[86:87]
	v_fmac_f64_e32 v[12:13], 0x80000000, v[88:89]
	v_fmac_f64_e32 v[0:1], v[82:83], v[88:89]
	v_fmac_f64_e32 v[16:17], 0x80000000, v[88:89]
	v_fmac_f64_e32 v[14:15], v[84:85], v[88:89]
	v_fmac_f64_e32 v[22:23], 0x80000000, v[88:89]
	v_fmac_f64_e32 v[18:19], v[78:79], v[88:89]
	v_fmac_f64_e32 v[10:11], 0x80000000, v[88:89]
	v_fmac_f64_e32 v[20:21], v[80:81], v[88:89]
	s_wait_loadcnt 0xc
	v_fmac_f64_e32 v[12:13], v[90:91], v[98:99]
	v_fmac_f64_e32 v[0:1], 0, v[98:99]
	v_fmac_f64_e32 v[16:17], v[92:93], v[98:99]
	v_fmac_f64_e32 v[14:15], 0, v[98:99]
	v_fmac_f64_e32 v[22:23], v[94:95], v[98:99]
	v_fmac_f64_e32 v[18:19], 0, v[98:99]
	v_fmac_f64_e32 v[10:11], v[96:97], v[98:99]
	v_fmac_f64_e32 v[20:21], 0, v[98:99]
	v_fmac_f64_e32 v[12:13], 0x80000000, v[100:101]
	v_fmac_f64_e32 v[0:1], v[90:91], v[100:101]
	v_fmac_f64_e32 v[16:17], 0x80000000, v[100:101]
	v_fmac_f64_e32 v[14:15], v[92:93], v[100:101]
	v_fmac_f64_e32 v[22:23], 0x80000000, v[100:101]
	v_fmac_f64_e32 v[18:19], v[94:95], v[100:101]
	v_fmac_f64_e32 v[10:11], 0x80000000, v[100:101]
	v_fmac_f64_e32 v[20:21], v[96:97], v[100:101]
	;; [unrolled: 17-line block ×5, first 2 shown]
	s_wait_loadcnt 0x1
	v_fmac_f64_e32 v[12:13], v[66:67], v[58:59]
	v_fmac_f64_e32 v[0:1], 0, v[58:59]
	;; [unrolled: 1-line block ×4, first 2 shown]
	s_wait_loadcnt 0x0
	v_fmac_f64_e32 v[22:23], v[70:71], v[58:59]
	v_fmac_f64_e32 v[18:19], 0, v[58:59]
	;; [unrolled: 1-line block ×12, first 2 shown]
	s_and_not1_b32 exec_lo, exec_lo, s6
	s_cbranch_execnz .LBB139_31
; %bb.32:
	s_or_b32 exec_lo, exec_lo, s6
.LBB139_33:
	s_delay_alu instid0(SALU_CYCLE_1)
	s_or_b32 exec_lo, exec_lo, s2
.LBB139_34:
	s_delay_alu instid0(SALU_CYCLE_1)
	s_or_b32 exec_lo, exec_lo, s3
.LBB139_35:
	v_mbcnt_lo_u32_b32 v44, -1, 0
	s_delay_alu instid0(VALU_DEP_1) | instskip(NEXT) | instid1(VALU_DEP_1)
	v_or_b32_e32 v24, 32, v44
	v_cmp_gt_i32_e32 vcc_lo, 32, v24
	v_cndmask_b32_e32 v24, v44, v24, vcc_lo
	s_delay_alu instid0(VALU_DEP_1)
	v_lshlrev_b32_e32 v41, 2, v24
	ds_bpermute_b32 v38, v41, v10
	ds_bpermute_b32 v39, v41, v11
	s_wait_dscnt 0x0
	v_add_f64_e32 v[10:11], v[10:11], v[38:39]
	ds_bpermute_b32 v24, v41, v12
	ds_bpermute_b32 v25, v41, v13
	;; [unrolled: 1-line block ×14, first 2 shown]
	s_wait_dscnt 0xc
	v_add_f64_e32 v[12:13], v[12:13], v[24:25]
	s_wait_dscnt 0xa
	v_dual_add_f64 v[16:17], v[16:17], v[30:31] :: v_dual_bitop2_b32 v24, 16, v44 bitop3:0x14
	s_wait_dscnt 0x8
	v_add_f64_e32 v[22:23], v[22:23], v[34:35]
	s_wait_dscnt 0x6
	v_add_f64_e32 v[0:1], v[0:1], v[28:29]
	v_cmp_gt_i32_e32 vcc_lo, 32, v24
	s_wait_dscnt 0x4
	v_add_f64_e32 v[14:15], v[14:15], v[32:33]
	s_wait_dscnt 0x2
	v_add_f64_e32 v[18:19], v[18:19], v[36:37]
	;; [unrolled: 2-line block ×3, first 2 shown]
	v_cndmask_b32_e32 v24, v44, v24, vcc_lo
	s_delay_alu instid0(VALU_DEP_1)
	v_lshlrev_b32_e32 v41, 2, v24
	ds_bpermute_b32 v38, v41, v10
	ds_bpermute_b32 v39, v41, v11
	s_wait_dscnt 0x0
	v_add_f64_e32 v[10:11], v[10:11], v[38:39]
	ds_bpermute_b32 v24, v41, v12
	ds_bpermute_b32 v25, v41, v13
	;; [unrolled: 1-line block ×14, first 2 shown]
	s_wait_dscnt 0xc
	v_add_f64_e32 v[12:13], v[12:13], v[24:25]
	s_wait_dscnt 0xa
	v_dual_add_f64 v[16:17], v[16:17], v[30:31] :: v_dual_bitop2_b32 v24, 8, v44 bitop3:0x14
	s_wait_dscnt 0x8
	v_add_f64_e32 v[14:15], v[14:15], v[32:33]
	s_wait_dscnt 0x6
	v_add_f64_e32 v[22:23], v[22:23], v[34:35]
	v_cmp_gt_i32_e32 vcc_lo, 32, v24
	s_wait_dscnt 0x4
	v_add_f64_e32 v[0:1], v[0:1], v[28:29]
	s_wait_dscnt 0x2
	v_add_f64_e32 v[18:19], v[18:19], v[36:37]
	;; [unrolled: 2-line block ×3, first 2 shown]
	v_cndmask_b32_e32 v24, v44, v24, vcc_lo
	s_delay_alu instid0(VALU_DEP_1)
	v_lshlrev_b32_e32 v41, 2, v24
	ds_bpermute_b32 v38, v41, v10
	ds_bpermute_b32 v39, v41, v11
	s_wait_dscnt 0x0
	v_add_f64_e32 v[10:11], v[10:11], v[38:39]
	ds_bpermute_b32 v32, v41, v14
	ds_bpermute_b32 v33, v41, v15
	;; [unrolled: 1-line block ×14, first 2 shown]
	s_wait_dscnt 0xc
	v_add_f64_e32 v[14:15], v[14:15], v[32:33]
	s_wait_dscnt 0xa
	v_add_f64_e32 v[12:13], v[12:13], v[24:25]
	s_wait_dscnt 0x8
	v_dual_add_f64 v[16:17], v[16:17], v[30:31] :: v_dual_bitop2_b32 v24, 4, v44 bitop3:0x14
	s_wait_dscnt 0x6
	v_add_f64_e32 v[0:1], v[0:1], v[28:29]
	s_wait_dscnt 0x4
	v_add_f64_e32 v[22:23], v[22:23], v[34:35]
	v_cmp_gt_i32_e32 vcc_lo, 32, v24
	s_wait_dscnt 0x2
	v_add_f64_e32 v[18:19], v[18:19], v[36:37]
	s_wait_dscnt 0x0
	v_add_f64_e32 v[20:21], v[20:21], v[40:41]
	v_cndmask_b32_e32 v24, v44, v24, vcc_lo
	s_delay_alu instid0(VALU_DEP_1)
	v_lshlrev_b32_e32 v41, 2, v24
	ds_bpermute_b32 v38, v41, v10
	ds_bpermute_b32 v39, v41, v11
	;; [unrolled: 1-line block ×4, first 2 shown]
	s_wait_dscnt 0x0
	v_add_f64_e32 v[14:15], v[14:15], v[32:33]
	v_add_f64_e32 v[32:33], v[10:11], v[38:39]
	ds_bpermute_b32 v24, v41, v12
	ds_bpermute_b32 v25, v41, v13
	;; [unrolled: 1-line block ×12, first 2 shown]
	s_wait_dscnt 0xa
	v_add_f64_e32 v[12:13], v[12:13], v[24:25]
	s_wait_dscnt 0x8
	v_add_f64_e32 v[24:25], v[0:1], v[28:29]
	s_wait_dscnt 0x6
	v_dual_add_f64 v[16:17], v[16:17], v[30:31] :: v_dual_bitop2_b32 v0, 2, v44 bitop3:0x14
	s_wait_dscnt 0x4
	v_add_f64_e32 v[30:31], v[22:23], v[34:35]
	s_wait_dscnt 0x2
	v_add_f64_e32 v[18:19], v[18:19], v[36:37]
	v_cmp_gt_i32_e32 vcc_lo, 32, v0
	s_wait_dscnt 0x0
	v_add_f64_e32 v[20:21], v[20:21], v[40:41]
	v_cndmask_b32_e32 v0, v44, v0, vcc_lo
	s_delay_alu instid0(VALU_DEP_1)
	v_lshlrev_b32_e32 v28, 2, v0
	ds_bpermute_b32 v34, v28, v14
	ds_bpermute_b32 v35, v28, v15
	;; [unrolled: 1-line block ×16, first 2 shown]
	s_wait_dscnt 0xa
	v_add_f64_e32 v[0:1], v[12:13], v[0:1]
	s_wait_dscnt 0x8
	v_add_f64_e32 v[28:29], v[24:25], v[10:11]
	s_wait_dscnt 0x6
	v_add_f64_e32 v[10:11], v[16:17], v[22:23]
	v_add_f64_e32 v[22:23], v[14:15], v[34:35]
	s_wait_dscnt 0x4
	v_add_f64_e32 v[12:13], v[30:31], v[36:37]
	v_add_f64_e32 v[14:15], v[32:33], v[40:41]
	s_wait_dscnt 0x2
	v_add_f64_e32 v[18:19], v[18:19], v[38:39]
	s_wait_dscnt 0x0
	v_dual_add_f64 v[16:17], v[20:21], v[42:43] :: v_dual_bitop2_b32 v20, 1, v44 bitop3:0x14
	s_delay_alu instid0(VALU_DEP_1) | instskip(SKIP_2) | instid1(VALU_DEP_2)
	v_cmp_gt_i32_e32 vcc_lo, 32, v20
	v_cndmask_b32_e32 v20, v44, v20, vcc_lo
	v_cmp_eq_u32_e32 vcc_lo, 63, v27
	v_lshlrev_b32_e32 v35, 2, v20
	ds_bpermute_b32 v20, v35, v0
	ds_bpermute_b32 v21, v35, v1
	;; [unrolled: 1-line block ×16, first 2 shown]
	s_and_b32 exec_lo, exec_lo, vcc_lo
	s_cbranch_execz .LBB139_8
; %bb.36:
	s_wait_dscnt 0xc
	v_add_f64_e32 v[28:29], v[28:29], v[40:41]
	s_wait_dscnt 0x8
	v_add_f64_e32 v[38:39], v[22:23], v[38:39]
	s_wait_dscnt 0x4
	v_add_f64_e32 v[36:37], v[18:19], v[36:37]
	s_wait_dscnt 0x0
	v_add_f64_e32 v[34:35], v[16:17], v[34:35]
	v_add_f64_e32 v[0:1], v[0:1], v[20:21]
	v_add_f64_e32 v[40:41], v[10:11], v[24:25]
	;; [unrolled: 1-line block ×4, first 2 shown]
	v_cmp_eq_f64_e32 vcc_lo, 0, v[2:3]
	v_cmp_eq_f64_e64 s2, 0, v[4:5]
	s_load_b64 s[0:1], s[0:1], 0x60
	v_mul_f64_e64 v[22:23], v[28:29], -v[8:9]
	v_mul_f64_e32 v[24:25], v[6:7], v[28:29]
	v_mul_f64_e64 v[18:19], v[38:39], -v[8:9]
	v_mul_f64_e32 v[20:21], v[6:7], v[38:39]
	;; [unrolled: 2-line block ×4, first 2 shown]
	s_and_b32 s2, vcc_lo, s2
	v_fmac_f64_e32 v[22:23], v[6:7], v[0:1]
	v_fmac_f64_e32 v[24:25], v[8:9], v[0:1]
	;; [unrolled: 1-line block ×8, first 2 shown]
	v_lshlrev_b32_e32 v0, 2, v26
	s_and_saveexec_b32 s3, s2
	s_delay_alu instid0(SALU_CYCLE_1)
	s_xor_b32 s2, exec_lo, s3
	s_cbranch_execz .LBB139_38
; %bb.37:
	s_wait_kmcnt 0x0
	s_clause 0x3
	global_store_b128 v0, v[22:25], s[0:1] scale_offset
	global_store_b128 v0, v[18:21], s[0:1] offset:16 scale_offset
	global_store_b128 v0, v[14:17], s[0:1] offset:32 scale_offset
	;; [unrolled: 1-line block ×3, first 2 shown]
                                        ; implicit-def: $vgpr4_vgpr5
                                        ; implicit-def: $vgpr22_vgpr23
                                        ; implicit-def: $vgpr0
                                        ; implicit-def: $vgpr18_vgpr19
                                        ; implicit-def: $vgpr14_vgpr15
                                        ; implicit-def: $vgpr10_vgpr11
.LBB139_38:
	s_wait_xcnt 0x0
	s_and_not1_saveexec_b32 s2, s2
	s_cbranch_execz .LBB139_8
; %bb.39:
	s_wait_kmcnt 0x0
	s_clause 0x3
	global_load_b128 v[6:9], v0, s[0:1] scale_offset
	global_load_b128 v[26:29], v0, s[0:1] offset:16 scale_offset
	global_load_b128 v[30:33], v0, s[0:1] offset:32 scale_offset
	;; [unrolled: 1-line block ×3, first 2 shown]
	s_wait_loadcnt 0x3
	v_fmac_f64_e32 v[22:23], v[2:3], v[6:7]
	v_fmac_f64_e32 v[24:25], v[4:5], v[6:7]
	s_wait_loadcnt 0x2
	v_fmac_f64_e32 v[18:19], v[2:3], v[26:27]
	v_fmac_f64_e32 v[20:21], v[4:5], v[26:27]
	;; [unrolled: 3-line block ×4, first 2 shown]
	v_fma_f64 v[22:23], -v[4:5], v[8:9], v[22:23]
	v_fmac_f64_e32 v[24:25], v[2:3], v[8:9]
	v_fma_f64 v[18:19], -v[4:5], v[28:29], v[18:19]
	v_fmac_f64_e32 v[20:21], v[2:3], v[28:29]
	;; [unrolled: 2-line block ×4, first 2 shown]
	s_clause 0x3
	global_store_b128 v0, v[22:25], s[0:1] scale_offset
	global_store_b128 v0, v[18:21], s[0:1] offset:16 scale_offset
	global_store_b128 v0, v[14:17], s[0:1] offset:32 scale_offset
	;; [unrolled: 1-line block ×3, first 2 shown]
	s_sendmsg sendmsg(MSG_DEALLOC_VGPRS)
	s_endpgm
	.section	.rodata,"a",@progbits
	.p2align	6, 0x0
	.amdhsa_kernel _ZN9rocsparseL18bsrxmvn_4x4_kernelILj128ELj64E21rocsparse_complex_numIdEiidS2_S2_EEvT3_20rocsparse_direction_NS_24const_host_device_scalarIT1_EES3_PKS3_PKT2_SC_S9_PKT4_PKT5_S7_PT6_21rocsparse_index_base_b
		.amdhsa_group_segment_fixed_size 0
		.amdhsa_private_segment_fixed_size 0
		.amdhsa_kernarg_size 112
		.amdhsa_user_sgpr_count 2
		.amdhsa_user_sgpr_dispatch_ptr 0
		.amdhsa_user_sgpr_queue_ptr 0
		.amdhsa_user_sgpr_kernarg_segment_ptr 1
		.amdhsa_user_sgpr_dispatch_id 0
		.amdhsa_user_sgpr_kernarg_preload_length 0
		.amdhsa_user_sgpr_kernarg_preload_offset 0
		.amdhsa_user_sgpr_private_segment_size 0
		.amdhsa_wavefront_size32 1
		.amdhsa_uses_dynamic_stack 0
		.amdhsa_enable_private_segment 0
		.amdhsa_system_sgpr_workgroup_id_x 1
		.amdhsa_system_sgpr_workgroup_id_y 0
		.amdhsa_system_sgpr_workgroup_id_z 0
		.amdhsa_system_sgpr_workgroup_info 0
		.amdhsa_system_vgpr_workitem_id 0
		.amdhsa_next_free_vgpr 122
		.amdhsa_next_free_sgpr 14
		.amdhsa_named_barrier_count 0
		.amdhsa_reserve_vcc 1
		.amdhsa_float_round_mode_32 0
		.amdhsa_float_round_mode_16_64 0
		.amdhsa_float_denorm_mode_32 3
		.amdhsa_float_denorm_mode_16_64 3
		.amdhsa_fp16_overflow 0
		.amdhsa_memory_ordered 1
		.amdhsa_forward_progress 1
		.amdhsa_inst_pref_size 64
		.amdhsa_round_robin_scheduling 0
		.amdhsa_exception_fp_ieee_invalid_op 0
		.amdhsa_exception_fp_denorm_src 0
		.amdhsa_exception_fp_ieee_div_zero 0
		.amdhsa_exception_fp_ieee_overflow 0
		.amdhsa_exception_fp_ieee_underflow 0
		.amdhsa_exception_fp_ieee_inexact 0
		.amdhsa_exception_int_div_zero 0
	.end_amdhsa_kernel
	.section	.text._ZN9rocsparseL18bsrxmvn_4x4_kernelILj128ELj64E21rocsparse_complex_numIdEiidS2_S2_EEvT3_20rocsparse_direction_NS_24const_host_device_scalarIT1_EES3_PKS3_PKT2_SC_S9_PKT4_PKT5_S7_PT6_21rocsparse_index_base_b,"axG",@progbits,_ZN9rocsparseL18bsrxmvn_4x4_kernelILj128ELj64E21rocsparse_complex_numIdEiidS2_S2_EEvT3_20rocsparse_direction_NS_24const_host_device_scalarIT1_EES3_PKS3_PKT2_SC_S9_PKT4_PKT5_S7_PT6_21rocsparse_index_base_b,comdat
.Lfunc_end139:
	.size	_ZN9rocsparseL18bsrxmvn_4x4_kernelILj128ELj64E21rocsparse_complex_numIdEiidS2_S2_EEvT3_20rocsparse_direction_NS_24const_host_device_scalarIT1_EES3_PKS3_PKT2_SC_S9_PKT4_PKT5_S7_PT6_21rocsparse_index_base_b, .Lfunc_end139-_ZN9rocsparseL18bsrxmvn_4x4_kernelILj128ELj64E21rocsparse_complex_numIdEiidS2_S2_EEvT3_20rocsparse_direction_NS_24const_host_device_scalarIT1_EES3_PKS3_PKT2_SC_S9_PKT4_PKT5_S7_PT6_21rocsparse_index_base_b
                                        ; -- End function
	.set _ZN9rocsparseL18bsrxmvn_4x4_kernelILj128ELj64E21rocsparse_complex_numIdEiidS2_S2_EEvT3_20rocsparse_direction_NS_24const_host_device_scalarIT1_EES3_PKS3_PKT2_SC_S9_PKT4_PKT5_S7_PT6_21rocsparse_index_base_b.num_vgpr, 122
	.set _ZN9rocsparseL18bsrxmvn_4x4_kernelILj128ELj64E21rocsparse_complex_numIdEiidS2_S2_EEvT3_20rocsparse_direction_NS_24const_host_device_scalarIT1_EES3_PKS3_PKT2_SC_S9_PKT4_PKT5_S7_PT6_21rocsparse_index_base_b.num_agpr, 0
	.set _ZN9rocsparseL18bsrxmvn_4x4_kernelILj128ELj64E21rocsparse_complex_numIdEiidS2_S2_EEvT3_20rocsparse_direction_NS_24const_host_device_scalarIT1_EES3_PKS3_PKT2_SC_S9_PKT4_PKT5_S7_PT6_21rocsparse_index_base_b.numbered_sgpr, 14
	.set _ZN9rocsparseL18bsrxmvn_4x4_kernelILj128ELj64E21rocsparse_complex_numIdEiidS2_S2_EEvT3_20rocsparse_direction_NS_24const_host_device_scalarIT1_EES3_PKS3_PKT2_SC_S9_PKT4_PKT5_S7_PT6_21rocsparse_index_base_b.num_named_barrier, 0
	.set _ZN9rocsparseL18bsrxmvn_4x4_kernelILj128ELj64E21rocsparse_complex_numIdEiidS2_S2_EEvT3_20rocsparse_direction_NS_24const_host_device_scalarIT1_EES3_PKS3_PKT2_SC_S9_PKT4_PKT5_S7_PT6_21rocsparse_index_base_b.private_seg_size, 0
	.set _ZN9rocsparseL18bsrxmvn_4x4_kernelILj128ELj64E21rocsparse_complex_numIdEiidS2_S2_EEvT3_20rocsparse_direction_NS_24const_host_device_scalarIT1_EES3_PKS3_PKT2_SC_S9_PKT4_PKT5_S7_PT6_21rocsparse_index_base_b.uses_vcc, 1
	.set _ZN9rocsparseL18bsrxmvn_4x4_kernelILj128ELj64E21rocsparse_complex_numIdEiidS2_S2_EEvT3_20rocsparse_direction_NS_24const_host_device_scalarIT1_EES3_PKS3_PKT2_SC_S9_PKT4_PKT5_S7_PT6_21rocsparse_index_base_b.uses_flat_scratch, 0
	.set _ZN9rocsparseL18bsrxmvn_4x4_kernelILj128ELj64E21rocsparse_complex_numIdEiidS2_S2_EEvT3_20rocsparse_direction_NS_24const_host_device_scalarIT1_EES3_PKS3_PKT2_SC_S9_PKT4_PKT5_S7_PT6_21rocsparse_index_base_b.has_dyn_sized_stack, 0
	.set _ZN9rocsparseL18bsrxmvn_4x4_kernelILj128ELj64E21rocsparse_complex_numIdEiidS2_S2_EEvT3_20rocsparse_direction_NS_24const_host_device_scalarIT1_EES3_PKS3_PKT2_SC_S9_PKT4_PKT5_S7_PT6_21rocsparse_index_base_b.has_recursion, 0
	.set _ZN9rocsparseL18bsrxmvn_4x4_kernelILj128ELj64E21rocsparse_complex_numIdEiidS2_S2_EEvT3_20rocsparse_direction_NS_24const_host_device_scalarIT1_EES3_PKS3_PKT2_SC_S9_PKT4_PKT5_S7_PT6_21rocsparse_index_base_b.has_indirect_call, 0
	.section	.AMDGPU.csdata,"",@progbits
; Kernel info:
; codeLenInByte = 8132
; TotalNumSgprs: 16
; NumVgprs: 122
; ScratchSize: 0
; MemoryBound: 0
; FloatMode: 240
; IeeeMode: 1
; LDSByteSize: 0 bytes/workgroup (compile time only)
; SGPRBlocks: 0
; VGPRBlocks: 7
; NumSGPRsForWavesPerEU: 16
; NumVGPRsForWavesPerEU: 122
; NamedBarCnt: 0
; Occupancy: 8
; WaveLimiterHint : 1
; COMPUTE_PGM_RSRC2:SCRATCH_EN: 0
; COMPUTE_PGM_RSRC2:USER_SGPR: 2
; COMPUTE_PGM_RSRC2:TRAP_HANDLER: 0
; COMPUTE_PGM_RSRC2:TGID_X_EN: 1
; COMPUTE_PGM_RSRC2:TGID_Y_EN: 0
; COMPUTE_PGM_RSRC2:TGID_Z_EN: 0
; COMPUTE_PGM_RSRC2:TIDIG_COMP_CNT: 0
	.section	.text._ZN9rocsparseL18bsrxmvn_4x4_kernelILj128ELj4E21rocsparse_complex_numIdElidS2_S2_EEvT3_20rocsparse_direction_NS_24const_host_device_scalarIT1_EES3_PKS3_PKT2_SC_S9_PKT4_PKT5_S7_PT6_21rocsparse_index_base_b,"axG",@progbits,_ZN9rocsparseL18bsrxmvn_4x4_kernelILj128ELj4E21rocsparse_complex_numIdElidS2_S2_EEvT3_20rocsparse_direction_NS_24const_host_device_scalarIT1_EES3_PKS3_PKT2_SC_S9_PKT4_PKT5_S7_PT6_21rocsparse_index_base_b,comdat
	.globl	_ZN9rocsparseL18bsrxmvn_4x4_kernelILj128ELj4E21rocsparse_complex_numIdElidS2_S2_EEvT3_20rocsparse_direction_NS_24const_host_device_scalarIT1_EES3_PKS3_PKT2_SC_S9_PKT4_PKT5_S7_PT6_21rocsparse_index_base_b ; -- Begin function _ZN9rocsparseL18bsrxmvn_4x4_kernelILj128ELj4E21rocsparse_complex_numIdElidS2_S2_EEvT3_20rocsparse_direction_NS_24const_host_device_scalarIT1_EES3_PKS3_PKT2_SC_S9_PKT4_PKT5_S7_PT6_21rocsparse_index_base_b
	.p2align	8
	.type	_ZN9rocsparseL18bsrxmvn_4x4_kernelILj128ELj4E21rocsparse_complex_numIdElidS2_S2_EEvT3_20rocsparse_direction_NS_24const_host_device_scalarIT1_EES3_PKS3_PKT2_SC_S9_PKT4_PKT5_S7_PT6_21rocsparse_index_base_b,@function
_ZN9rocsparseL18bsrxmvn_4x4_kernelILj128ELj4E21rocsparse_complex_numIdElidS2_S2_EEvT3_20rocsparse_direction_NS_24const_host_device_scalarIT1_EES3_PKS3_PKT2_SC_S9_PKT4_PKT5_S7_PT6_21rocsparse_index_base_b: ; @_ZN9rocsparseL18bsrxmvn_4x4_kernelILj128ELj4E21rocsparse_complex_numIdElidS2_S2_EEvT3_20rocsparse_direction_NS_24const_host_device_scalarIT1_EES3_PKS3_PKT2_SC_S9_PKT4_PKT5_S7_PT6_21rocsparse_index_base_b
; %bb.0:
	s_clause 0x1
	s_load_b64 s[12:13], s[0:1], 0x68
	s_load_b64 s[2:3], s[0:1], 0x8
	v_mov_b32_e32 v1, 0
	s_add_nc_u64 s[4:5], s[0:1], 8
	s_load_b64 s[6:7], s[0:1], 0x50
	s_wait_kmcnt 0x0
	s_bitcmp1_b32 s13, 0
	s_cselect_b32 s3, s5, s3
	s_cselect_b32 s2, s4, s2
	flat_load_b128 v[6:9], v1, s[2:3]
	s_wait_xcnt 0x0
	s_add_nc_u64 s[2:3], s[0:1], 0x50
	s_delay_alu instid0(SALU_CYCLE_1)
	s_cselect_b32 s3, s3, s7
	s_cselect_b32 s2, s2, s6
	flat_load_b128 v[2:5], v1, s[2:3]
	s_wait_loadcnt_dscnt 0x101
	v_cmp_eq_f64_e32 vcc_lo, 0, v[6:7]
	s_wait_xcnt 0x0
	v_cmp_eq_f64_e64 s2, 0, v[8:9]
	s_and_b32 s4, vcc_lo, s2
	s_mov_b32 s2, -1
	s_and_saveexec_b32 s3, s4
	s_cbranch_execz .LBB140_2
; %bb.1:
	s_wait_loadcnt_dscnt 0x0
	v_cmp_neq_f64_e32 vcc_lo, 1.0, v[2:3]
	v_cmp_neq_f64_e64 s2, 0, v[4:5]
	s_or_b32 s2, vcc_lo, s2
	s_delay_alu instid0(SALU_CYCLE_1)
	s_or_not1_b32 s2, s2, exec_lo
.LBB140_2:
	s_or_b32 exec_lo, exec_lo, s3
	s_and_saveexec_b32 s3, s2
	s_cbranch_execz .LBB140_8
; %bb.3:
	s_clause 0x1
	s_load_b64 s[4:5], s[0:1], 0x20
	s_load_b64 s[2:3], s[0:1], 0x0
	s_bfe_u32 s6, ttmp6, 0x4000c
	s_and_b32 s7, ttmp6, 15
	s_add_co_i32 s6, s6, 1
	s_getreg_b32 s8, hwreg(HW_REG_IB_STS2, 6, 4)
	s_mul_i32 s6, ttmp9, s6
	v_lshrrev_b32_e32 v1, 2, v0
	s_add_co_i32 s7, s7, s6
	s_cmp_eq_u32 s8, 0
	s_cselect_b32 s6, ttmp9, s7
	s_delay_alu instid0(VALU_DEP_1) | instid1(SALU_CYCLE_1)
	v_lshl_or_b32 v26, s6, 5, v1
	s_mov_b32 s6, 0
	s_wait_kmcnt 0x0
	s_cmp_lg_u64 s[4:5], 0
	s_cbranch_scc0 .LBB140_9
; %bb.4:
	s_load_b32 s6, s[0:1], 0x18
	s_mov_b32 s7, 0
                                        ; implicit-def: $vgpr1
	s_wait_kmcnt 0x0
	v_cmp_gt_i32_e32 vcc_lo, s6, v26
	s_mov_b32 s6, 0
	s_and_saveexec_b32 s8, vcc_lo
	s_delay_alu instid0(SALU_CYCLE_1)
	s_xor_b32 s8, exec_lo, s8
	s_cbranch_execz .LBB140_6
; %bb.5:
	global_load_b32 v1, v26, s[4:5] scale_offset
	s_mov_b32 s6, exec_lo
	s_wait_loadcnt 0x0
	v_subrev_nc_u32_e32 v1, s12, v1
.LBB140_6:
	s_or_b32 exec_lo, exec_lo, s8
	s_delay_alu instid0(SALU_CYCLE_1)
	s_and_b32 vcc_lo, exec_lo, s7
	s_cbranch_vccz .LBB140_10
.LBB140_7:
	v_cmp_gt_i32_e32 vcc_lo, s2, v26
	s_and_not1_b32 s2, s6, exec_lo
	s_and_b32 s4, vcc_lo, exec_lo
	s_delay_alu instid0(SALU_CYCLE_1) | instskip(NEXT) | instid1(SALU_CYCLE_1)
	s_or_b32 s6, s2, s4
	s_and_b32 exec_lo, exec_lo, s6
	s_cbranch_execnz .LBB140_11
.LBB140_8:
	s_sendmsg sendmsg(MSG_DEALLOC_VGPRS)
	s_endpgm
.LBB140_9:
                                        ; implicit-def: $vgpr1
	s_cbranch_execnz .LBB140_7
.LBB140_10:
	s_delay_alu instid0(VALU_DEP_1)
	v_mov_b32_e32 v26, v1
	s_and_b32 exec_lo, exec_lo, s6
	s_cbranch_execz .LBB140_8
.LBB140_11:
	s_load_b256 s[4:11], s[0:1], 0x28
	s_mov_b32 s13, 0
	v_dual_mov_b32 v1, 0 :: v_dual_bitop2_b32 v0, 3, v0 bitop3:0x40
	s_wait_kmcnt 0x0
	s_cmp_eq_u64 s[6:7], 0
	global_load_b64 v[34:35], v26, s[4:5] scale_offset
	s_cselect_b32 vcc_lo, -1, 0
	v_ashrrev_i32_e32 v27, 31, v26
	s_cmp_eq_u32 s3, 1
	s_delay_alu instid0(VALU_DEP_1) | instskip(NEXT) | instid1(VALU_DEP_1)
	v_lshlrev_b64_e32 v[10:11], 3, v[26:27]
	v_add_nc_u64_e32 v[12:13], s[4:5], v[10:11]
	v_add_nc_u64_e32 v[10:11], s[6:7], v[10:11]
	s_wait_xcnt 0x0
	s_load_b64 s[4:5], s[0:1], 0x48
	s_delay_alu instid0(VALU_DEP_2) | instskip(NEXT) | instid1(VALU_DEP_1)
	v_add_nc_u64_e32 v[12:13], 8, v[12:13]
	v_dual_cndmask_b32 v11, v11, v13 :: v_dual_cndmask_b32 v10, v10, v12
	global_load_b64 v[10:11], v[10:11], off
	s_wait_loadcnt 0x1
	v_sub_nc_u64_e64 v[12:13], v[34:35], s[12:13]
	s_delay_alu instid0(VALU_DEP_1) | instskip(NEXT) | instid1(VALU_DEP_1)
	v_add_nc_u64_e32 v[12:13], v[12:13], v[0:1]
	v_lshlrev_b64_e32 v[14:15], 7, v[12:13]
	s_delay_alu instid0(VALU_DEP_1) | instskip(SKIP_2) | instid1(VALU_DEP_1)
	v_add_nc_u64_e32 v[18:19], s[10:11], v[14:15]
	s_wait_loadcnt 0x0
	v_sub_nc_u64_e64 v[16:17], v[10:11], s[12:13]
	v_cmp_lt_i64_e64 s2, v[12:13], v[16:17]
	s_cbranch_scc1 .LBB140_23
; %bb.12:
	v_mov_b64_e32 v[10:11], 0
	v_mov_b64_e32 v[20:21], 0
	;; [unrolled: 1-line block ×8, first 2 shown]
	s_and_saveexec_b32 s3, s2
	s_cbranch_execz .LBB140_22
; %bb.13:
	v_dual_mov_b32 v11, v1 :: v_dual_bitop2_b32 v10, 4, v0 bitop3:0x54
	v_sub_nc_u64_e32 v[14:15], s[12:13], v[0:1]
	v_not_b32_e32 v21, v35
	v_not_b32_e32 v20, v34
	v_mov_b64_e32 v[30:31], 0
	v_sub_nc_u64_e64 v[10:11], v[10:11], s[12:13]
	v_mov_b64_e32 v[32:33], 0
	v_mov_b64_e32 v[28:29], 0
	v_add_nc_u64_e32 v[14:15], v[14:15], v[20:21]
	v_mov_b64_e32 v[24:25], 0
	v_mov_b64_e32 v[22:23], 0
	;; [unrolled: 1-line block ×3, first 2 shown]
	v_add_nc_u64_e32 v[10:11], v[10:11], v[34:35]
	v_mov_b64_e32 v[36:37], v[18:19]
	v_mov_b64_e32 v[38:39], v[12:13]
	s_mov_b32 s6, exec_lo
	s_delay_alu instid0(VALU_DEP_3) | instskip(NEXT) | instid1(VALU_DEP_1)
	v_max_i64 v[10:11], v[10:11], v[16:17]
	v_add_nc_u64_e32 v[40:41], v[14:15], v[10:11]
	v_mov_b64_e32 v[14:15], 0
	v_mov_b64_e32 v[10:11], 0
	s_delay_alu instid0(VALU_DEP_3) | instskip(NEXT) | instid1(VALU_DEP_1)
	v_dual_mov_b32 v45, 0 :: v_dual_bitop2_b32 v44, 12, v40 bitop3:0x40
	v_cmpx_ne_u64_e32 12, v[44:45]
	s_cbranch_execz .LBB140_17
; %bb.14:
	v_lshrrev_b32_e32 v10, 2, v40
	v_mov_b64_e32 v[20:21], 0
	v_mov_b64_e32 v[22:23], 0
	;; [unrolled: 1-line block ×4, first 2 shown]
	v_add_nc_u32_e32 v14, 1, v10
	v_mov_b64_e32 v[10:11], 0
	v_mov_b64_e32 v[32:33], 0
	;; [unrolled: 1-line block ×4, first 2 shown]
	v_and_b32_e32 v44, 3, v14
	v_mov_b64_e32 v[14:15], 0
	v_mov_b64_e32 v[36:37], v[18:19]
	v_lshl_add_u64 v[42:43], v[12:13], 2, s[8:9]
	s_mov_b32 s7, 0
	v_sub_nc_u64_e32 v[44:45], 0, v[44:45]
.LBB140_15:                             ; =>This Inner Loop Header: Depth=1
	global_load_b32 v27, v[42:43], off
	s_clause 0x6
	global_load_b128 v[46:49], v[36:37], off offset:48
	global_load_b128 v[50:53], v[36:37], off offset:32
	;; [unrolled: 1-line block ×3, first 2 shown]
	global_load_b128 v[58:61], v[36:37], off
	global_load_b128 v[62:65], v[36:37], off offset:112
	global_load_b128 v[66:69], v[36:37], off offset:96
	;; [unrolled: 1-line block ×3, first 2 shown]
	v_add_nc_u64_e32 v[44:45], 1, v[44:45]
	v_add_nc_u64_e32 v[38:39], 4, v[38:39]
	s_wait_xcnt 0x7
	v_add_nc_u64_e32 v[42:43], 16, v[42:43]
	s_delay_alu instid0(VALU_DEP_3) | instskip(SKIP_3) | instid1(VALU_DEP_1)
	v_cmp_eq_u64_e32 vcc_lo, 0, v[44:45]
	s_or_b32 s7, vcc_lo, s7
	s_wait_loadcnt 0x7
	v_subrev_nc_u32_e32 v27, s12, v27
	v_lshlrev_b32_e32 v27, 2, v27
	s_wait_kmcnt 0x0
	s_clause 0x1
	global_load_b128 v[74:77], v27, s[4:5] scale_offset
	global_load_b128 v[78:81], v27, s[4:5] offset:16 scale_offset
	global_load_b128 v[82:85], v[36:37], off offset:80
	s_clause 0x1
	global_load_b128 v[86:89], v27, s[4:5] offset:32 scale_offset
	global_load_b128 v[90:93], v27, s[4:5] offset:48 scale_offset
	s_wait_xcnt 0x2
	v_add_nc_u64_e32 v[36:37], 0x200, v[36:37]
	s_wait_loadcnt 0x4
	v_fmac_f64_e32 v[20:21], v[58:59], v[74:75]
	v_fmac_f64_e32 v[10:11], 0, v[74:75]
	v_fmac_f64_e32 v[24:25], v[50:51], v[74:75]
	v_fmac_f64_e32 v[22:23], 0, v[74:75]
	v_fmac_f64_e32 v[32:33], v[70:71], v[74:75]
	v_fmac_f64_e32 v[28:29], 0, v[74:75]
	v_fmac_f64_e32 v[14:15], v[66:67], v[74:75]
	v_fmac_f64_e32 v[30:31], 0, v[74:75]
	v_fmac_f64_e32 v[20:21], 0x80000000, v[76:77]
	v_fmac_f64_e32 v[10:11], v[58:59], v[76:77]
	v_fmac_f64_e32 v[24:25], 0x80000000, v[76:77]
	v_fmac_f64_e32 v[22:23], v[50:51], v[76:77]
	v_fmac_f64_e32 v[32:33], 0x80000000, v[76:77]
	v_fmac_f64_e32 v[28:29], v[70:71], v[76:77]
	v_fmac_f64_e32 v[14:15], 0x80000000, v[76:77]
	v_fmac_f64_e32 v[30:31], v[66:67], v[76:77]
	s_wait_loadcnt 0x3
	v_fmac_f64_e32 v[20:21], v[60:61], v[78:79]
	v_fmac_f64_e32 v[10:11], 0, v[78:79]
	v_fmac_f64_e32 v[24:25], v[52:53], v[78:79]
	v_fmac_f64_e32 v[22:23], 0, v[78:79]
	v_fmac_f64_e32 v[32:33], v[72:73], v[78:79]
	v_fmac_f64_e32 v[28:29], 0, v[78:79]
	v_fmac_f64_e32 v[14:15], v[68:69], v[78:79]
	v_fmac_f64_e32 v[30:31], 0, v[78:79]
	v_fmac_f64_e32 v[20:21], 0x80000000, v[80:81]
	v_fmac_f64_e32 v[10:11], v[60:61], v[80:81]
	v_fmac_f64_e32 v[24:25], 0x80000000, v[80:81]
	v_fmac_f64_e32 v[22:23], v[52:53], v[80:81]
	v_fmac_f64_e32 v[32:33], 0x80000000, v[80:81]
	v_fmac_f64_e32 v[28:29], v[72:73], v[80:81]
	v_fmac_f64_e32 v[14:15], 0x80000000, v[80:81]
	v_fmac_f64_e32 v[30:31], v[68:69], v[80:81]
	;; [unrolled: 17-line block ×4, first 2 shown]
	s_and_not1_b32 exec_lo, exec_lo, s7
	s_cbranch_execnz .LBB140_15
; %bb.16:
	s_or_b32 exec_lo, exec_lo, s7
.LBB140_17:
	s_delay_alu instid0(SALU_CYCLE_1) | instskip(NEXT) | instid1(SALU_CYCLE_1)
	s_or_b32 exec_lo, exec_lo, s6
	s_mov_b32 s6, exec_lo
	v_cmpx_lt_u64_e32 11, v[40:41]
	s_cbranch_execz .LBB140_21
; %bb.18:
	v_lshl_add_u64 v[40:41], v[38:39], 2, s[8:9]
	s_mov_b32 s7, 0
	s_delay_alu instid0(VALU_DEP_1)
	v_add_nc_u64_e32 v[40:41], 32, v[40:41]
.LBB140_19:                             ; =>This Inner Loop Header: Depth=1
	s_clause 0x1
	global_load_b32 v27, v[40:41], off offset:-32
	global_load_b32 v122, v[40:41], off offset:-16
	s_clause 0x11
	global_load_b128 v[42:45], v[36:37], off offset:48
	global_load_b128 v[46:49], v[36:37], off offset:32
	;; [unrolled: 1-line block ×3, first 2 shown]
	global_load_b128 v[54:57], v[36:37], off
	global_load_b128 v[58:61], v[36:37], off offset:112
	global_load_b128 v[62:65], v[36:37], off offset:96
	global_load_b128 v[66:69], v[36:37], off offset:80
	global_load_b128 v[70:73], v[36:37], off offset:64
	global_load_b128 v[74:77], v[36:37], off offset:560
	global_load_b128 v[78:81], v[36:37], off offset:544
	global_load_b128 v[82:85], v[36:37], off offset:528
	global_load_b128 v[86:89], v[36:37], off offset:512
	global_load_b128 v[90:93], v[36:37], off offset:624
	global_load_b128 v[94:97], v[36:37], off offset:608
	global_load_b128 v[98:101], v[36:37], off offset:592
	global_load_b128 v[102:105], v[36:37], off offset:576
	global_load_b128 v[106:109], v[36:37], off offset:1072
	global_load_b128 v[110:113], v[36:37], off offset:1056
	s_clause 0x1
	global_load_b32 v138, v[40:41], off
	global_load_b32 v139, v[40:41], off offset:16
	s_clause 0x1
	global_load_b128 v[114:117], v[36:37], off offset:1040
	global_load_b128 v[118:121], v[36:37], off offset:1024
	v_add_nc_u64_e32 v[38:39], 16, v[38:39]
	s_wait_xcnt 0x2
	v_add_nc_u64_e32 v[40:41], 64, v[40:41]
	s_delay_alu instid0(VALU_DEP_2)
	v_cmp_ge_i64_e32 vcc_lo, v[38:39], v[16:17]
	s_or_b32 s7, vcc_lo, s7
	s_wait_loadcnt 0x17
	v_subrev_nc_u32_e32 v27, s12, v27
	s_wait_loadcnt 0x16
	v_subrev_nc_u32_e32 v122, s12, v122
	s_delay_alu instid0(VALU_DEP_1)
	v_dual_lshlrev_b32 v27, 2, v27 :: v_dual_lshlrev_b32 v140, 2, v122
	s_wait_kmcnt 0x0
	s_clause 0x3
	global_load_b128 v[122:125], v27, s[4:5] scale_offset
	global_load_b128 v[126:129], v27, s[4:5] offset:16 scale_offset
	global_load_b128 v[130:133], v27, s[4:5] offset:32 scale_offset
	;; [unrolled: 1-line block ×3, first 2 shown]
	s_wait_loadcnt 0x7
	s_wait_xcnt 0x0
	v_subrev_nc_u32_e32 v27, s12, v138
	s_delay_alu instid0(VALU_DEP_1)
	v_lshlrev_b32_e32 v27, 2, v27
	s_wait_loadcnt 0x3
	v_fmac_f64_e32 v[10:11], 0, v[122:123]
	v_fmac_f64_e32 v[20:21], v[54:55], v[122:123]
	;; [unrolled: 1-line block ×16, first 2 shown]
	global_load_b128 v[122:125], v140, s[4:5] scale_offset
	s_wait_loadcnt 0x3
	v_fmac_f64_e32 v[10:11], 0, v[126:127]
	v_fmac_f64_e32 v[20:21], v[56:57], v[126:127]
	;; [unrolled: 1-line block ×12, first 2 shown]
	global_load_b128 v[46:49], v140, s[4:5] offset:16 scale_offset
	v_fmac_f64_e32 v[28:29], v[72:73], v[128:129]
	v_fmac_f64_e32 v[32:33], 0x80000000, v[128:129]
	;; [unrolled: 1-line block ×4, first 2 shown]
	global_load_b128 v[126:129], v140, s[4:5] offset:32 scale_offset
	s_clause 0x2
	global_load_b128 v[54:57], v[36:37], off offset:1136
	global_load_b128 v[70:73], v[36:37], off offset:1120
	;; [unrolled: 1-line block ×3, first 2 shown]
	s_wait_loadcnt 0x7
	v_fmac_f64_e32 v[10:11], 0, v[130:131]
	v_fmac_f64_e32 v[20:21], v[50:51], v[130:131]
	;; [unrolled: 1-line block ×16, first 2 shown]
	global_load_b128 v[130:133], v140, s[4:5] offset:48 scale_offset
	s_wait_loadcnt 0x7
	v_fmac_f64_e32 v[10:11], 0, v[134:135]
	v_fmac_f64_e32 v[20:21], v[52:53], v[134:135]
	;; [unrolled: 1-line block ×9, first 2 shown]
	global_load_b128 v[50:53], v[36:37], off offset:1088
	v_fmac_f64_e32 v[20:21], 0x80000000, v[136:137]
	v_fmac_f64_e32 v[22:23], v[44:45], v[136:137]
	global_load_b128 v[42:45], v27, s[4:5] scale_offset
	v_fmac_f64_e32 v[24:25], 0x80000000, v[136:137]
	v_fmac_f64_e32 v[32:33], 0x80000000, v[136:137]
	;; [unrolled: 1-line block ×5, first 2 shown]
	s_clause 0x1
	global_load_b128 v[58:61], v27, s[4:5] offset:16 scale_offset
	global_load_b128 v[66:69], v27, s[4:5] offset:32 scale_offset
	s_wait_loadcnt 0xa
	v_fmac_f64_e32 v[20:21], v[86:87], v[122:123]
	v_fmac_f64_e32 v[10:11], 0, v[122:123]
	;; [unrolled: 1-line block ×16, first 2 shown]
	s_wait_loadcnt 0x9
	v_fmac_f64_e32 v[20:21], v[88:89], v[46:47]
	v_fmac_f64_e32 v[10:11], 0, v[46:47]
	v_fmac_f64_e32 v[24:25], v[80:81], v[46:47]
	v_fmac_f64_e32 v[22:23], 0, v[46:47]
	v_fmac_f64_e32 v[32:33], v[104:105], v[46:47]
	v_fmac_f64_e32 v[28:29], 0, v[46:47]
	v_fmac_f64_e32 v[14:15], v[96:97], v[46:47]
	v_fmac_f64_e32 v[30:31], 0, v[46:47]
	v_fmac_f64_e32 v[20:21], 0x80000000, v[48:49]
	v_fmac_f64_e32 v[10:11], v[88:89], v[48:49]
	v_fmac_f64_e32 v[24:25], 0x80000000, v[48:49]
	v_fmac_f64_e32 v[22:23], v[80:81], v[48:49]
	v_fmac_f64_e32 v[32:33], 0x80000000, v[48:49]
	v_fmac_f64_e32 v[28:29], v[104:105], v[48:49]
	v_fmac_f64_e32 v[14:15], 0x80000000, v[48:49]
	v_fmac_f64_e32 v[30:31], v[96:97], v[48:49]
	global_load_b128 v[46:49], v27, s[4:5] offset:48 scale_offset
	s_wait_xcnt 0x0
	v_subrev_nc_u32_e32 v27, s12, v139
	s_delay_alu instid0(VALU_DEP_1)
	v_lshlrev_b32_e32 v27, 2, v27
	s_wait_loadcnt 0x9
	v_fmac_f64_e32 v[20:21], v[82:83], v[126:127]
	v_fmac_f64_e32 v[10:11], 0, v[126:127]
	;; [unrolled: 1-line block ×16, first 2 shown]
	s_clause 0x5
	global_load_b128 v[78:81], v[36:37], off offset:1584
	global_load_b128 v[86:89], v[36:37], off offset:1568
	;; [unrolled: 1-line block ×6, first 2 shown]
	global_load_b128 v[134:137], v27, s[4:5] scale_offset
	s_wait_loadcnt 0xc
	v_fmac_f64_e32 v[20:21], v[84:85], v[130:131]
	v_fmac_f64_e32 v[10:11], 0, v[130:131]
	;; [unrolled: 1-line block ×16, first 2 shown]
	global_load_b128 v[74:77], v27, s[4:5] offset:16 scale_offset
	s_wait_loadcnt 0xb
	v_fmac_f64_e32 v[20:21], v[118:119], v[42:43]
	v_fmac_f64_e32 v[10:11], 0, v[42:43]
	;; [unrolled: 1-line block ×16, first 2 shown]
	s_clause 0x1
	global_load_b128 v[42:45], v[36:37], off offset:1648
	global_load_b128 v[82:85], v[36:37], off offset:1616
	global_load_b128 v[90:93], v27, s[4:5] offset:32 scale_offset
	s_wait_xcnt 0x1
	v_add_nc_u64_e32 v[36:37], 0x800, v[36:37]
	s_wait_loadcnt 0xd
	v_fmac_f64_e32 v[20:21], v[120:121], v[58:59]
	v_fmac_f64_e32 v[10:11], 0, v[58:59]
	v_fmac_f64_e32 v[24:25], v[112:113], v[58:59]
	v_fmac_f64_e32 v[22:23], 0, v[58:59]
	v_fmac_f64_e32 v[32:33], v[52:53], v[58:59]
	v_fmac_f64_e32 v[28:29], 0, v[58:59]
	v_fmac_f64_e32 v[14:15], v[72:73], v[58:59]
	v_fmac_f64_e32 v[30:31], 0, v[58:59]
	v_fmac_f64_e32 v[20:21], 0x80000000, v[60:61]
	v_fmac_f64_e32 v[10:11], v[120:121], v[60:61]
	v_fmac_f64_e32 v[24:25], 0x80000000, v[60:61]
	v_fmac_f64_e32 v[22:23], v[112:113], v[60:61]
	v_fmac_f64_e32 v[32:33], 0x80000000, v[60:61]
	v_fmac_f64_e32 v[28:29], v[52:53], v[60:61]
	v_fmac_f64_e32 v[14:15], 0x80000000, v[60:61]
	v_fmac_f64_e32 v[30:31], v[72:73], v[60:61]
	global_load_b128 v[50:53], v27, s[4:5] offset:48 scale_offset
	s_wait_loadcnt 0xd
	v_fmac_f64_e32 v[20:21], v[114:115], v[66:67]
	v_fmac_f64_e32 v[10:11], 0, v[66:67]
	v_fmac_f64_e32 v[24:25], v[106:107], v[66:67]
	v_fmac_f64_e32 v[22:23], 0, v[66:67]
	v_fmac_f64_e32 v[32:33], v[62:63], v[66:67]
	v_fmac_f64_e32 v[28:29], 0, v[66:67]
	v_fmac_f64_e32 v[14:15], v[54:55], v[66:67]
	v_fmac_f64_e32 v[30:31], 0, v[66:67]
	v_fmac_f64_e32 v[20:21], 0x80000000, v[68:69]
	v_fmac_f64_e32 v[10:11], v[114:115], v[68:69]
	v_fmac_f64_e32 v[24:25], 0x80000000, v[68:69]
	v_fmac_f64_e32 v[22:23], v[106:107], v[68:69]
	v_fmac_f64_e32 v[32:33], 0x80000000, v[68:69]
	v_fmac_f64_e32 v[28:29], v[62:63], v[68:69]
	v_fmac_f64_e32 v[14:15], 0x80000000, v[68:69]
	v_fmac_f64_e32 v[30:31], v[54:55], v[68:69]
	s_wait_loadcnt 0xc
	v_fmac_f64_e32 v[20:21], v[116:117], v[46:47]
	v_fmac_f64_e32 v[10:11], 0, v[46:47]
	v_fmac_f64_e32 v[24:25], v[108:109], v[46:47]
	v_fmac_f64_e32 v[22:23], 0, v[46:47]
	v_fmac_f64_e32 v[32:33], v[64:65], v[46:47]
	v_fmac_f64_e32 v[28:29], 0, v[46:47]
	v_fmac_f64_e32 v[14:15], v[56:57], v[46:47]
	v_fmac_f64_e32 v[30:31], 0, v[46:47]
	v_fmac_f64_e32 v[20:21], 0x80000000, v[48:49]
	v_fmac_f64_e32 v[10:11], v[116:117], v[48:49]
	v_fmac_f64_e32 v[24:25], 0x80000000, v[48:49]
	v_fmac_f64_e32 v[22:23], v[108:109], v[48:49]
	v_fmac_f64_e32 v[32:33], 0x80000000, v[48:49]
	v_fmac_f64_e32 v[28:29], v[64:65], v[48:49]
	v_fmac_f64_e32 v[14:15], 0x80000000, v[48:49]
	v_fmac_f64_e32 v[30:31], v[56:57], v[48:49]
	;; [unrolled: 17-line block ×6, first 2 shown]
	s_and_not1_b32 exec_lo, exec_lo, s7
	s_cbranch_execnz .LBB140_19
; %bb.20:
	s_or_b32 exec_lo, exec_lo, s7
.LBB140_21:
	s_delay_alu instid0(SALU_CYCLE_1)
	s_or_b32 exec_lo, exec_lo, s6
.LBB140_22:
	s_delay_alu instid0(SALU_CYCLE_1)
	s_or_b32 exec_lo, exec_lo, s3
	s_cbranch_execz .LBB140_24
	s_branch .LBB140_35
.LBB140_23:
                                        ; implicit-def: $vgpr10_vgpr11
                                        ; implicit-def: $vgpr20_vgpr21
                                        ; implicit-def: $vgpr22_vgpr23
                                        ; implicit-def: $vgpr24_vgpr25
                                        ; implicit-def: $vgpr28_vgpr29
                                        ; implicit-def: $vgpr32_vgpr33
                                        ; implicit-def: $vgpr30_vgpr31
                                        ; implicit-def: $vgpr14_vgpr15
.LBB140_24:
	v_mov_b64_e32 v[10:11], 0
	v_mov_b64_e32 v[20:21], 0
	;; [unrolled: 1-line block ×8, first 2 shown]
	s_and_saveexec_b32 s3, s2
	s_cbranch_execz .LBB140_34
; %bb.25:
	v_dual_mov_b32 v11, v1 :: v_dual_bitop2_b32 v10, 4, v0 bitop3:0x54
	v_sub_nc_u64_e32 v[14:15], s[12:13], v[0:1]
	v_not_b32_e32 v21, v35
	v_not_b32_e32 v20, v34
	v_mov_b64_e32 v[30:31], 0
	v_sub_nc_u64_e64 v[10:11], v[10:11], s[12:13]
	v_mov_b64_e32 v[32:33], 0
	v_mov_b64_e32 v[28:29], 0
	v_add_nc_u64_e32 v[14:15], v[14:15], v[20:21]
	v_mov_b64_e32 v[24:25], 0
	v_mov_b64_e32 v[22:23], 0
	;; [unrolled: 1-line block ×3, first 2 shown]
	v_add_nc_u64_e32 v[10:11], v[10:11], v[34:35]
	s_mov_b32 s2, exec_lo
	s_delay_alu instid0(VALU_DEP_1) | instskip(NEXT) | instid1(VALU_DEP_1)
	v_max_i64 v[10:11], v[10:11], v[16:17]
	v_add_nc_u64_e32 v[34:35], v[14:15], v[10:11]
	v_mov_b64_e32 v[14:15], 0
	v_mov_b64_e32 v[10:11], 0
	s_delay_alu instid0(VALU_DEP_3) | instskip(NEXT) | instid1(VALU_DEP_1)
	v_dual_mov_b32 v37, 0 :: v_dual_bitop2_b32 v36, 12, v34 bitop3:0x40
	v_cmpx_ne_u64_e32 12, v[36:37]
	s_cbranch_execz .LBB140_29
; %bb.26:
	v_lshrrev_b32_e32 v1, 2, v34
	v_mov_b64_e32 v[10:11], 0
	v_mov_b64_e32 v[20:21], 0
	;; [unrolled: 1-line block ×4, first 2 shown]
	v_add_nc_u32_e32 v1, 1, v1
	v_mov_b64_e32 v[28:29], 0
	v_mov_b64_e32 v[32:33], 0
	;; [unrolled: 1-line block ×4, first 2 shown]
	v_and_b32_e32 v36, 3, v1
	v_lshl_add_u64 v[38:39], v[12:13], 2, s[8:9]
	s_mov_b32 s6, 0
	s_delay_alu instid0(VALU_DEP_2)
	v_sub_nc_u64_e32 v[36:37], 0, v[36:37]
.LBB140_27:                             ; =>This Inner Loop Header: Depth=1
	global_load_b32 v1, v[38:39], off
	s_clause 0x1
	global_load_b128 v[40:43], v[18:19], off offset:16
	global_load_b128 v[44:47], v[18:19], off
	v_add_nc_u64_e32 v[36:37], 1, v[36:37]
	v_add_nc_u64_e32 v[12:13], 4, v[12:13]
	s_wait_xcnt 0x2
	v_add_nc_u64_e32 v[38:39], 16, v[38:39]
	s_delay_alu instid0(VALU_DEP_3) | instskip(SKIP_3) | instid1(VALU_DEP_1)
	v_cmp_eq_u64_e32 vcc_lo, 0, v[36:37]
	s_or_b32 s6, vcc_lo, s6
	s_wait_loadcnt 0x2
	v_subrev_nc_u32_e32 v1, s12, v1
	v_lshlrev_b32_e32 v1, 2, v1
	s_wait_kmcnt 0x0
	s_clause 0x1
	global_load_b128 v[48:51], v1, s[4:5] scale_offset
	global_load_b128 v[52:55], v1, s[4:5] offset:16 scale_offset
	s_clause 0x3
	global_load_b128 v[56:59], v[18:19], off offset:32
	global_load_b128 v[60:63], v[18:19], off offset:48
	;; [unrolled: 1-line block ×4, first 2 shown]
	s_clause 0x1
	global_load_b128 v[72:75], v1, s[4:5] offset:32 scale_offset
	global_load_b128 v[76:79], v1, s[4:5] offset:48 scale_offset
	s_clause 0x1
	global_load_b128 v[80:83], v[18:19], off offset:96
	global_load_b128 v[84:87], v[18:19], off offset:112
	s_wait_xcnt 0x0
	v_add_nc_u64_e32 v[18:19], 0x200, v[18:19]
	s_wait_loadcnt 0x9
	v_fmac_f64_e32 v[20:21], v[44:45], v[48:49]
	v_fmac_f64_e32 v[10:11], 0, v[48:49]
	;; [unrolled: 1-line block ×16, first 2 shown]
	s_wait_loadcnt 0x7
	v_fmac_f64_e32 v[20:21], v[56:57], v[52:53]
	v_fmac_f64_e32 v[10:11], 0, v[52:53]
	;; [unrolled: 1-line block ×4, first 2 shown]
	s_wait_loadcnt 0x6
	v_fmac_f64_e32 v[32:33], v[60:61], v[52:53]
	v_fmac_f64_e32 v[28:29], 0, v[52:53]
	;; [unrolled: 1-line block ×12, first 2 shown]
	s_wait_loadcnt 0x3
	v_fmac_f64_e32 v[20:21], v[68:69], v[72:73]
	v_fmac_f64_e32 v[10:11], 0, v[72:73]
	;; [unrolled: 1-line block ×16, first 2 shown]
	s_wait_loadcnt 0x1
	v_fmac_f64_e32 v[20:21], v[80:81], v[76:77]
	v_fmac_f64_e32 v[10:11], 0, v[76:77]
	;; [unrolled: 1-line block ×4, first 2 shown]
	s_wait_loadcnt 0x0
	v_fmac_f64_e32 v[32:33], v[84:85], v[76:77]
	v_fmac_f64_e32 v[28:29], 0, v[76:77]
	;; [unrolled: 1-line block ×12, first 2 shown]
	s_and_not1_b32 exec_lo, exec_lo, s6
	s_cbranch_execnz .LBB140_27
; %bb.28:
	s_or_b32 exec_lo, exec_lo, s6
.LBB140_29:
	s_delay_alu instid0(SALU_CYCLE_1) | instskip(NEXT) | instid1(SALU_CYCLE_1)
	s_or_b32 exec_lo, exec_lo, s2
	s_mov_b32 s2, exec_lo
	v_cmpx_lt_u64_e32 11, v[34:35]
	s_cbranch_execz .LBB140_33
; %bb.30:
	v_lshl_add_u64 v[34:35], v[12:13], 2, s[8:9]
	s_mov_b32 s6, 0
	s_delay_alu instid0(VALU_DEP_1)
	v_add_nc_u64_e32 v[34:35], 32, v[34:35]
.LBB140_31:                             ; =>This Inner Loop Header: Depth=1
	s_clause 0x1
	global_load_b32 v1, v[34:35], off offset:-32
	global_load_b32 v27, v[34:35], off offset:-16
	s_clause 0x1
	global_load_b128 v[36:39], v[18:19], off offset:16
	global_load_b128 v[40:43], v[18:19], off
	s_clause 0x1
	global_load_b32 v108, v[34:35], off
	global_load_b32 v109, v[34:35], off offset:16
	v_add_nc_u64_e32 v[12:13], 16, v[12:13]
	s_wait_xcnt 0x0
	v_add_nc_u64_e32 v[34:35], 64, v[34:35]
	s_delay_alu instid0(VALU_DEP_2) | instskip(SKIP_3) | instid1(VALU_DEP_1)
	v_cmp_ge_i64_e32 vcc_lo, v[12:13], v[16:17]
	s_or_b32 s6, vcc_lo, s6
	s_wait_loadcnt 0x5
	v_subrev_nc_u32_e32 v1, s12, v1
	v_lshlrev_b32_e32 v1, 2, v1
	s_wait_kmcnt 0x0
	global_load_b128 v[44:47], v1, s[4:5] scale_offset
	s_clause 0x1
	global_load_b128 v[48:51], v[18:19], off offset:48
	global_load_b128 v[52:55], v[18:19], off offset:32
	global_load_b128 v[56:59], v1, s[4:5] offset:16 scale_offset
	s_clause 0x1
	global_load_b128 v[60:63], v[18:19], off offset:80
	global_load_b128 v[64:67], v[18:19], off offset:64
	global_load_b128 v[68:71], v1, s[4:5] offset:32 scale_offset
	;; [unrolled: 4-line block ×3, first 2 shown]
	s_clause 0x1
	global_load_b128 v[84:87], v[18:19], off offset:528
	global_load_b128 v[88:91], v[18:19], off offset:512
	s_wait_loadcnt 0x10
	s_wait_xcnt 0x2
	v_subrev_nc_u32_e32 v1, s12, v27
	s_delay_alu instid0(VALU_DEP_1)
	v_lshlrev_b32_e32 v1, 2, v1
	global_load_b128 v[92:95], v1, s[4:5] scale_offset
	s_clause 0x1
	global_load_b128 v[96:99], v[18:19], off offset:560
	global_load_b128 v[100:103], v[18:19], off offset:544
	global_load_b128 v[104:107], v1, s[4:5] offset:16 scale_offset
	s_wait_loadcnt 0xf
	v_fmac_f64_e32 v[20:21], v[40:41], v[44:45]
	v_fmac_f64_e32 v[10:11], 0, v[44:45]
	;; [unrolled: 1-line block ×16, first 2 shown]
	s_clause 0x1
	global_load_b128 v[36:39], v[18:19], off offset:592
	global_load_b128 v[40:43], v[18:19], off offset:576
	global_load_b128 v[44:47], v1, s[4:5] offset:32 scale_offset
	s_wait_loadcnt 0xf
	v_fmac_f64_e32 v[20:21], v[52:53], v[56:57]
	v_fmac_f64_e32 v[10:11], 0, v[56:57]
	;; [unrolled: 1-line block ×16, first 2 shown]
	s_clause 0x1
	global_load_b128 v[48:51], v[18:19], off offset:624
	global_load_b128 v[52:55], v[18:19], off offset:608
	global_load_b128 v[56:59], v1, s[4:5] offset:48 scale_offset
	s_wait_xcnt 0x0
	v_subrev_nc_u32_e32 v1, s12, v108
	s_delay_alu instid0(VALU_DEP_1)
	v_lshlrev_b32_e32 v1, 2, v1
	s_wait_loadcnt 0xf
	v_fmac_f64_e32 v[20:21], v[64:65], v[68:69]
	v_fmac_f64_e32 v[10:11], 0, v[68:69]
	;; [unrolled: 1-line block ×16, first 2 shown]
	s_clause 0x1
	global_load_b128 v[60:63], v[18:19], off offset:1040
	global_load_b128 v[64:67], v[18:19], off offset:1024
	global_load_b128 v[68:71], v1, s[4:5] scale_offset
	s_wait_loadcnt 0xf
	v_fmac_f64_e32 v[20:21], v[76:77], v[80:81]
	v_fmac_f64_e32 v[10:11], 0, v[80:81]
	v_fmac_f64_e32 v[24:25], v[78:79], v[80:81]
	v_fmac_f64_e32 v[22:23], 0, v[80:81]
	v_fmac_f64_e32 v[32:33], v[72:73], v[80:81]
	v_fmac_f64_e32 v[28:29], 0, v[80:81]
	v_fmac_f64_e32 v[14:15], v[74:75], v[80:81]
	v_fmac_f64_e32 v[30:31], 0, v[80:81]
	v_fmac_f64_e32 v[20:21], 0x80000000, v[82:83]
	v_fmac_f64_e32 v[10:11], v[76:77], v[82:83]
	v_fmac_f64_e32 v[24:25], 0x80000000, v[82:83]
	v_fmac_f64_e32 v[22:23], v[78:79], v[82:83]
	v_fmac_f64_e32 v[32:33], 0x80000000, v[82:83]
	v_fmac_f64_e32 v[28:29], v[72:73], v[82:83]
	v_fmac_f64_e32 v[14:15], 0x80000000, v[82:83]
	v_fmac_f64_e32 v[30:31], v[74:75], v[82:83]
	s_clause 0x1
	global_load_b128 v[72:75], v[18:19], off offset:1072
	global_load_b128 v[76:79], v[18:19], off offset:1056
	global_load_b128 v[80:83], v1, s[4:5] offset:16 scale_offset
	s_wait_loadcnt 0xf
	v_fmac_f64_e32 v[20:21], v[88:89], v[92:93]
	v_fmac_f64_e32 v[10:11], 0, v[92:93]
	v_fmac_f64_e32 v[24:25], v[90:91], v[92:93]
	v_fmac_f64_e32 v[22:23], 0, v[92:93]
	v_fmac_f64_e32 v[32:33], v[84:85], v[92:93]
	v_fmac_f64_e32 v[28:29], 0, v[92:93]
	v_fmac_f64_e32 v[14:15], v[86:87], v[92:93]
	v_fmac_f64_e32 v[30:31], 0, v[92:93]
	v_fmac_f64_e32 v[20:21], 0x80000000, v[94:95]
	v_fmac_f64_e32 v[10:11], v[88:89], v[94:95]
	v_fmac_f64_e32 v[24:25], 0x80000000, v[94:95]
	v_fmac_f64_e32 v[22:23], v[90:91], v[94:95]
	v_fmac_f64_e32 v[32:33], 0x80000000, v[94:95]
	v_fmac_f64_e32 v[28:29], v[84:85], v[94:95]
	v_fmac_f64_e32 v[14:15], 0x80000000, v[94:95]
	v_fmac_f64_e32 v[30:31], v[86:87], v[94:95]
	s_clause 0x1
	global_load_b128 v[84:87], v[18:19], off offset:1104
	global_load_b128 v[88:91], v[18:19], off offset:1088
	global_load_b128 v[92:95], v1, s[4:5] offset:32 scale_offset
	;; [unrolled: 21-line block ×3, first 2 shown]
	s_wait_xcnt 0x0
	v_subrev_nc_u32_e32 v1, s12, v109
	s_delay_alu instid0(VALU_DEP_1)
	v_lshlrev_b32_e32 v1, 2, v1
	s_wait_loadcnt 0xf
	v_fmac_f64_e32 v[20:21], v[40:41], v[44:45]
	v_fmac_f64_e32 v[10:11], 0, v[44:45]
	;; [unrolled: 1-line block ×16, first 2 shown]
	s_clause 0x1
	global_load_b128 v[36:39], v[18:19], off offset:1552
	global_load_b128 v[40:43], v[18:19], off offset:1536
	s_clause 0x1
	global_load_b128 v[44:47], v1, s[4:5] offset:16 scale_offset
	global_load_b128 v[108:111], v1, s[4:5] scale_offset
	s_wait_loadcnt 0x10
	v_fmac_f64_e32 v[20:21], v[52:53], v[56:57]
	v_fmac_f64_e32 v[10:11], 0, v[56:57]
	;; [unrolled: 1-line block ×16, first 2 shown]
	s_clause 0x1
	global_load_b128 v[48:51], v[18:19], off offset:1584
	global_load_b128 v[52:55], v[18:19], off offset:1568
	s_wait_loadcnt 0xf
	v_fmac_f64_e32 v[20:21], v[64:65], v[68:69]
	v_fmac_f64_e32 v[10:11], 0, v[68:69]
	;; [unrolled: 1-line block ×16, first 2 shown]
	s_clause 0x1
	global_load_b128 v[56:59], v[18:19], off offset:1616
	global_load_b128 v[60:63], v[18:19], off offset:1600
	global_load_b128 v[64:67], v1, s[4:5] offset:32 scale_offset
	s_wait_loadcnt 0xf
	v_fmac_f64_e32 v[20:21], v[76:77], v[80:81]
	v_fmac_f64_e32 v[10:11], 0, v[80:81]
	;; [unrolled: 1-line block ×16, first 2 shown]
	s_clause 0x1
	global_load_b128 v[68:71], v[18:19], off offset:1632
	global_load_b128 v[72:75], v[18:19], off offset:1648
	global_load_b128 v[76:79], v1, s[4:5] offset:48 scale_offset
	s_wait_xcnt 0x1
	v_add_nc_u64_e32 v[18:19], 0x800, v[18:19]
	s_wait_loadcnt 0xf
	v_fmac_f64_e32 v[20:21], v[88:89], v[92:93]
	v_fmac_f64_e32 v[10:11], 0, v[92:93]
	v_fmac_f64_e32 v[24:25], v[90:91], v[92:93]
	v_fmac_f64_e32 v[22:23], 0, v[92:93]
	v_fmac_f64_e32 v[32:33], v[84:85], v[92:93]
	v_fmac_f64_e32 v[28:29], 0, v[92:93]
	v_fmac_f64_e32 v[14:15], v[86:87], v[92:93]
	v_fmac_f64_e32 v[30:31], 0, v[92:93]
	v_fmac_f64_e32 v[20:21], 0x80000000, v[94:95]
	v_fmac_f64_e32 v[10:11], v[88:89], v[94:95]
	v_fmac_f64_e32 v[24:25], 0x80000000, v[94:95]
	v_fmac_f64_e32 v[22:23], v[90:91], v[94:95]
	v_fmac_f64_e32 v[32:33], 0x80000000, v[94:95]
	v_fmac_f64_e32 v[28:29], v[84:85], v[94:95]
	v_fmac_f64_e32 v[14:15], 0x80000000, v[94:95]
	v_fmac_f64_e32 v[30:31], v[86:87], v[94:95]
	s_wait_loadcnt 0xc
	v_fmac_f64_e32 v[20:21], v[100:101], v[104:105]
	v_fmac_f64_e32 v[10:11], 0, v[104:105]
	v_fmac_f64_e32 v[24:25], v[102:103], v[104:105]
	v_fmac_f64_e32 v[22:23], 0, v[104:105]
	v_fmac_f64_e32 v[32:33], v[96:97], v[104:105]
	v_fmac_f64_e32 v[28:29], 0, v[104:105]
	v_fmac_f64_e32 v[14:15], v[98:99], v[104:105]
	v_fmac_f64_e32 v[30:31], 0, v[104:105]
	v_fmac_f64_e32 v[20:21], 0x80000000, v[106:107]
	v_fmac_f64_e32 v[10:11], v[100:101], v[106:107]
	v_fmac_f64_e32 v[24:25], 0x80000000, v[106:107]
	v_fmac_f64_e32 v[22:23], v[102:103], v[106:107]
	v_fmac_f64_e32 v[32:33], 0x80000000, v[106:107]
	v_fmac_f64_e32 v[28:29], v[96:97], v[106:107]
	v_fmac_f64_e32 v[14:15], 0x80000000, v[106:107]
	v_fmac_f64_e32 v[30:31], v[98:99], v[106:107]
	;; [unrolled: 17-line block ×6, first 2 shown]
	s_and_not1_b32 exec_lo, exec_lo, s6
	s_cbranch_execnz .LBB140_31
; %bb.32:
	s_or_b32 exec_lo, exec_lo, s6
.LBB140_33:
	s_delay_alu instid0(SALU_CYCLE_1)
	s_or_b32 exec_lo, exec_lo, s2
.LBB140_34:
	s_delay_alu instid0(SALU_CYCLE_1)
	s_or_b32 exec_lo, exec_lo, s3
.LBB140_35:
	v_mbcnt_lo_u32_b32 v1, -1, 0
	s_delay_alu instid0(VALU_DEP_1) | instskip(NEXT) | instid1(VALU_DEP_1)
	v_xor_b32_e32 v12, 2, v1
	v_cmp_gt_i32_e32 vcc_lo, 32, v12
	v_cndmask_b32_e32 v12, v1, v12, vcc_lo
	s_delay_alu instid0(VALU_DEP_1)
	v_lshlrev_b32_e32 v27, 2, v12
	ds_bpermute_b32 v16, v27, v10
	ds_bpermute_b32 v17, v27, v11
	;; [unrolled: 1-line block ×4, first 2 shown]
	s_wait_dscnt 0x2
	v_add_f64_e32 v[34:35], v[10:11], v[16:17]
	s_wait_dscnt 0x0
	v_add_f64_e32 v[16:17], v[32:33], v[38:39]
	ds_bpermute_b32 v12, v27, v20
	ds_bpermute_b32 v13, v27, v21
	;; [unrolled: 1-line block ×12, first 2 shown]
	s_wait_dscnt 0xa
	v_add_f64_e32 v[12:13], v[20:21], v[12:13]
	s_wait_dscnt 0x8
	v_add_f64_e32 v[10:11], v[24:25], v[18:19]
	s_wait_dscnt 0x6
	v_add_f64_e32 v[24:25], v[22:23], v[36:37]
	v_xor_b32_e32 v22, 1, v1
	s_wait_dscnt 0x4
	v_add_f64_e32 v[20:21], v[28:29], v[40:41]
	s_wait_dscnt 0x2
	v_add_f64_e32 v[14:15], v[14:15], v[42:43]
	;; [unrolled: 2-line block ×3, first 2 shown]
	v_cmp_gt_i32_e32 vcc_lo, 32, v22
	v_cndmask_b32_e32 v1, v1, v22, vcc_lo
	v_cmp_eq_u32_e32 vcc_lo, 3, v0
	s_delay_alu instid0(VALU_DEP_2)
	v_lshlrev_b32_e32 v1, 2, v1
	ds_bpermute_b32 v42, v1, v34
	ds_bpermute_b32 v43, v1, v35
	;; [unrolled: 1-line block ×16, first 2 shown]
	s_and_b32 exec_lo, exec_lo, vcc_lo
	s_cbranch_execz .LBB140_8
; %bb.36:
	s_wait_dscnt 0xe
	v_add_f64_e32 v[0:1], v[34:35], v[42:43]
	s_wait_dscnt 0x6
	v_add_f64_e32 v[34:35], v[24:25], v[40:41]
	;; [unrolled: 2-line block ×4, first 2 shown]
	v_add_f64_e32 v[40:41], v[12:13], v[22:23]
	v_add_f64_e32 v[28:29], v[10:11], v[28:29]
	;; [unrolled: 1-line block ×4, first 2 shown]
	v_cmp_eq_f64_e32 vcc_lo, 0, v[2:3]
	v_cmp_eq_f64_e64 s2, 0, v[4:5]
	s_load_b64 s[0:1], s[0:1], 0x60
	v_mul_f64_e64 v[22:23], v[0:1], -v[8:9]
	v_mul_f64_e32 v[24:25], v[6:7], v[0:1]
	v_mul_f64_e64 v[14:15], v[38:39], -v[8:9]
	v_mul_f64_e32 v[16:17], v[6:7], v[38:39]
	v_mul_f64_e64 v[10:11], v[36:37], -v[8:9]
	v_dual_mul_f64 v[12:13], v[6:7], v[36:37] :: v_dual_lshlrev_b32 v0, 2, v26
	v_mul_f64_e64 v[18:19], v[34:35], -v[8:9]
	v_mul_f64_e32 v[20:21], v[6:7], v[34:35]
	s_and_b32 s2, vcc_lo, s2
	v_fmac_f64_e32 v[22:23], v[6:7], v[40:41]
	v_fmac_f64_e32 v[24:25], v[8:9], v[40:41]
	;; [unrolled: 1-line block ×8, first 2 shown]
	s_and_saveexec_b32 s3, s2
	s_delay_alu instid0(SALU_CYCLE_1)
	s_xor_b32 s2, exec_lo, s3
	s_cbranch_execz .LBB140_38
; %bb.37:
	s_wait_kmcnt 0x0
	s_clause 0x3
	global_store_b128 v0, v[22:25], s[0:1] scale_offset
	global_store_b128 v0, v[18:21], s[0:1] offset:16 scale_offset
	global_store_b128 v0, v[14:17], s[0:1] offset:32 scale_offset
	;; [unrolled: 1-line block ×3, first 2 shown]
                                        ; implicit-def: $vgpr4_vgpr5
                                        ; implicit-def: $vgpr22_vgpr23
                                        ; implicit-def: $vgpr0
                                        ; implicit-def: $vgpr18_vgpr19
                                        ; implicit-def: $vgpr14_vgpr15
                                        ; implicit-def: $vgpr10_vgpr11
.LBB140_38:
	s_wait_xcnt 0x0
	s_and_not1_saveexec_b32 s2, s2
	s_cbranch_execz .LBB140_8
; %bb.39:
	s_wait_kmcnt 0x0
	s_clause 0x3
	global_load_b128 v[6:9], v0, s[0:1] scale_offset
	global_load_b128 v[26:29], v0, s[0:1] offset:16 scale_offset
	global_load_b128 v[30:33], v0, s[0:1] offset:32 scale_offset
	;; [unrolled: 1-line block ×3, first 2 shown]
	s_wait_loadcnt 0x3
	v_fmac_f64_e32 v[22:23], v[2:3], v[6:7]
	v_fmac_f64_e32 v[24:25], v[4:5], v[6:7]
	s_wait_loadcnt 0x2
	v_fmac_f64_e32 v[18:19], v[2:3], v[26:27]
	v_fmac_f64_e32 v[20:21], v[4:5], v[26:27]
	s_wait_loadcnt 0x1
	v_fmac_f64_e32 v[14:15], v[2:3], v[30:31]
	v_fmac_f64_e32 v[16:17], v[4:5], v[30:31]
	s_wait_loadcnt 0x0
	v_fmac_f64_e32 v[10:11], v[2:3], v[34:35]
	v_fmac_f64_e32 v[12:13], v[4:5], v[34:35]
	v_fma_f64 v[22:23], -v[4:5], v[8:9], v[22:23]
	v_fmac_f64_e32 v[24:25], v[2:3], v[8:9]
	v_fma_f64 v[18:19], -v[4:5], v[28:29], v[18:19]
	v_fmac_f64_e32 v[20:21], v[2:3], v[28:29]
	;; [unrolled: 2-line block ×4, first 2 shown]
	s_clause 0x3
	global_store_b128 v0, v[22:25], s[0:1] scale_offset
	global_store_b128 v0, v[18:21], s[0:1] offset:16 scale_offset
	global_store_b128 v0, v[14:17], s[0:1] offset:32 scale_offset
	;; [unrolled: 1-line block ×3, first 2 shown]
	s_sendmsg sendmsg(MSG_DEALLOC_VGPRS)
	s_endpgm
	.section	.rodata,"a",@progbits
	.p2align	6, 0x0
	.amdhsa_kernel _ZN9rocsparseL18bsrxmvn_4x4_kernelILj128ELj4E21rocsparse_complex_numIdElidS2_S2_EEvT3_20rocsparse_direction_NS_24const_host_device_scalarIT1_EES3_PKS3_PKT2_SC_S9_PKT4_PKT5_S7_PT6_21rocsparse_index_base_b
		.amdhsa_group_segment_fixed_size 0
		.amdhsa_private_segment_fixed_size 0
		.amdhsa_kernarg_size 112
		.amdhsa_user_sgpr_count 2
		.amdhsa_user_sgpr_dispatch_ptr 0
		.amdhsa_user_sgpr_queue_ptr 0
		.amdhsa_user_sgpr_kernarg_segment_ptr 1
		.amdhsa_user_sgpr_dispatch_id 0
		.amdhsa_user_sgpr_kernarg_preload_length 0
		.amdhsa_user_sgpr_kernarg_preload_offset 0
		.amdhsa_user_sgpr_private_segment_size 0
		.amdhsa_wavefront_size32 1
		.amdhsa_uses_dynamic_stack 0
		.amdhsa_enable_private_segment 0
		.amdhsa_system_sgpr_workgroup_id_x 1
		.amdhsa_system_sgpr_workgroup_id_y 0
		.amdhsa_system_sgpr_workgroup_id_z 0
		.amdhsa_system_sgpr_workgroup_info 0
		.amdhsa_system_vgpr_workitem_id 0
		.amdhsa_next_free_vgpr 141
		.amdhsa_next_free_sgpr 14
		.amdhsa_named_barrier_count 0
		.amdhsa_reserve_vcc 1
		.amdhsa_float_round_mode_32 0
		.amdhsa_float_round_mode_16_64 0
		.amdhsa_float_denorm_mode_32 3
		.amdhsa_float_denorm_mode_16_64 3
		.amdhsa_fp16_overflow 0
		.amdhsa_memory_ordered 1
		.amdhsa_forward_progress 1
		.amdhsa_inst_pref_size 58
		.amdhsa_round_robin_scheduling 0
		.amdhsa_exception_fp_ieee_invalid_op 0
		.amdhsa_exception_fp_denorm_src 0
		.amdhsa_exception_fp_ieee_div_zero 0
		.amdhsa_exception_fp_ieee_overflow 0
		.amdhsa_exception_fp_ieee_underflow 0
		.amdhsa_exception_fp_ieee_inexact 0
		.amdhsa_exception_int_div_zero 0
	.end_amdhsa_kernel
	.section	.text._ZN9rocsparseL18bsrxmvn_4x4_kernelILj128ELj4E21rocsparse_complex_numIdElidS2_S2_EEvT3_20rocsparse_direction_NS_24const_host_device_scalarIT1_EES3_PKS3_PKT2_SC_S9_PKT4_PKT5_S7_PT6_21rocsparse_index_base_b,"axG",@progbits,_ZN9rocsparseL18bsrxmvn_4x4_kernelILj128ELj4E21rocsparse_complex_numIdElidS2_S2_EEvT3_20rocsparse_direction_NS_24const_host_device_scalarIT1_EES3_PKS3_PKT2_SC_S9_PKT4_PKT5_S7_PT6_21rocsparse_index_base_b,comdat
.Lfunc_end140:
	.size	_ZN9rocsparseL18bsrxmvn_4x4_kernelILj128ELj4E21rocsparse_complex_numIdElidS2_S2_EEvT3_20rocsparse_direction_NS_24const_host_device_scalarIT1_EES3_PKS3_PKT2_SC_S9_PKT4_PKT5_S7_PT6_21rocsparse_index_base_b, .Lfunc_end140-_ZN9rocsparseL18bsrxmvn_4x4_kernelILj128ELj4E21rocsparse_complex_numIdElidS2_S2_EEvT3_20rocsparse_direction_NS_24const_host_device_scalarIT1_EES3_PKS3_PKT2_SC_S9_PKT4_PKT5_S7_PT6_21rocsparse_index_base_b
                                        ; -- End function
	.set _ZN9rocsparseL18bsrxmvn_4x4_kernelILj128ELj4E21rocsparse_complex_numIdElidS2_S2_EEvT3_20rocsparse_direction_NS_24const_host_device_scalarIT1_EES3_PKS3_PKT2_SC_S9_PKT4_PKT5_S7_PT6_21rocsparse_index_base_b.num_vgpr, 141
	.set _ZN9rocsparseL18bsrxmvn_4x4_kernelILj128ELj4E21rocsparse_complex_numIdElidS2_S2_EEvT3_20rocsparse_direction_NS_24const_host_device_scalarIT1_EES3_PKS3_PKT2_SC_S9_PKT4_PKT5_S7_PT6_21rocsparse_index_base_b.num_agpr, 0
	.set _ZN9rocsparseL18bsrxmvn_4x4_kernelILj128ELj4E21rocsparse_complex_numIdElidS2_S2_EEvT3_20rocsparse_direction_NS_24const_host_device_scalarIT1_EES3_PKS3_PKT2_SC_S9_PKT4_PKT5_S7_PT6_21rocsparse_index_base_b.numbered_sgpr, 14
	.set _ZN9rocsparseL18bsrxmvn_4x4_kernelILj128ELj4E21rocsparse_complex_numIdElidS2_S2_EEvT3_20rocsparse_direction_NS_24const_host_device_scalarIT1_EES3_PKS3_PKT2_SC_S9_PKT4_PKT5_S7_PT6_21rocsparse_index_base_b.num_named_barrier, 0
	.set _ZN9rocsparseL18bsrxmvn_4x4_kernelILj128ELj4E21rocsparse_complex_numIdElidS2_S2_EEvT3_20rocsparse_direction_NS_24const_host_device_scalarIT1_EES3_PKS3_PKT2_SC_S9_PKT4_PKT5_S7_PT6_21rocsparse_index_base_b.private_seg_size, 0
	.set _ZN9rocsparseL18bsrxmvn_4x4_kernelILj128ELj4E21rocsparse_complex_numIdElidS2_S2_EEvT3_20rocsparse_direction_NS_24const_host_device_scalarIT1_EES3_PKS3_PKT2_SC_S9_PKT4_PKT5_S7_PT6_21rocsparse_index_base_b.uses_vcc, 1
	.set _ZN9rocsparseL18bsrxmvn_4x4_kernelILj128ELj4E21rocsparse_complex_numIdElidS2_S2_EEvT3_20rocsparse_direction_NS_24const_host_device_scalarIT1_EES3_PKS3_PKT2_SC_S9_PKT4_PKT5_S7_PT6_21rocsparse_index_base_b.uses_flat_scratch, 0
	.set _ZN9rocsparseL18bsrxmvn_4x4_kernelILj128ELj4E21rocsparse_complex_numIdElidS2_S2_EEvT3_20rocsparse_direction_NS_24const_host_device_scalarIT1_EES3_PKS3_PKT2_SC_S9_PKT4_PKT5_S7_PT6_21rocsparse_index_base_b.has_dyn_sized_stack, 0
	.set _ZN9rocsparseL18bsrxmvn_4x4_kernelILj128ELj4E21rocsparse_complex_numIdElidS2_S2_EEvT3_20rocsparse_direction_NS_24const_host_device_scalarIT1_EES3_PKS3_PKT2_SC_S9_PKT4_PKT5_S7_PT6_21rocsparse_index_base_b.has_recursion, 0
	.set _ZN9rocsparseL18bsrxmvn_4x4_kernelILj128ELj4E21rocsparse_complex_numIdElidS2_S2_EEvT3_20rocsparse_direction_NS_24const_host_device_scalarIT1_EES3_PKS3_PKT2_SC_S9_PKT4_PKT5_S7_PT6_21rocsparse_index_base_b.has_indirect_call, 0
	.section	.AMDGPU.csdata,"",@progbits
; Kernel info:
; codeLenInByte = 7424
; TotalNumSgprs: 16
; NumVgprs: 141
; ScratchSize: 0
; MemoryBound: 0
; FloatMode: 240
; IeeeMode: 1
; LDSByteSize: 0 bytes/workgroup (compile time only)
; SGPRBlocks: 0
; VGPRBlocks: 8
; NumSGPRsForWavesPerEU: 16
; NumVGPRsForWavesPerEU: 141
; NamedBarCnt: 0
; Occupancy: 7
; WaveLimiterHint : 1
; COMPUTE_PGM_RSRC2:SCRATCH_EN: 0
; COMPUTE_PGM_RSRC2:USER_SGPR: 2
; COMPUTE_PGM_RSRC2:TRAP_HANDLER: 0
; COMPUTE_PGM_RSRC2:TGID_X_EN: 1
; COMPUTE_PGM_RSRC2:TGID_Y_EN: 0
; COMPUTE_PGM_RSRC2:TGID_Z_EN: 0
; COMPUTE_PGM_RSRC2:TIDIG_COMP_CNT: 0
	.section	.text._ZN9rocsparseL18bsrxmvn_4x4_kernelILj128ELj8E21rocsparse_complex_numIdElidS2_S2_EEvT3_20rocsparse_direction_NS_24const_host_device_scalarIT1_EES3_PKS3_PKT2_SC_S9_PKT4_PKT5_S7_PT6_21rocsparse_index_base_b,"axG",@progbits,_ZN9rocsparseL18bsrxmvn_4x4_kernelILj128ELj8E21rocsparse_complex_numIdElidS2_S2_EEvT3_20rocsparse_direction_NS_24const_host_device_scalarIT1_EES3_PKS3_PKT2_SC_S9_PKT4_PKT5_S7_PT6_21rocsparse_index_base_b,comdat
	.globl	_ZN9rocsparseL18bsrxmvn_4x4_kernelILj128ELj8E21rocsparse_complex_numIdElidS2_S2_EEvT3_20rocsparse_direction_NS_24const_host_device_scalarIT1_EES3_PKS3_PKT2_SC_S9_PKT4_PKT5_S7_PT6_21rocsparse_index_base_b ; -- Begin function _ZN9rocsparseL18bsrxmvn_4x4_kernelILj128ELj8E21rocsparse_complex_numIdElidS2_S2_EEvT3_20rocsparse_direction_NS_24const_host_device_scalarIT1_EES3_PKS3_PKT2_SC_S9_PKT4_PKT5_S7_PT6_21rocsparse_index_base_b
	.p2align	8
	.type	_ZN9rocsparseL18bsrxmvn_4x4_kernelILj128ELj8E21rocsparse_complex_numIdElidS2_S2_EEvT3_20rocsparse_direction_NS_24const_host_device_scalarIT1_EES3_PKS3_PKT2_SC_S9_PKT4_PKT5_S7_PT6_21rocsparse_index_base_b,@function
_ZN9rocsparseL18bsrxmvn_4x4_kernelILj128ELj8E21rocsparse_complex_numIdElidS2_S2_EEvT3_20rocsparse_direction_NS_24const_host_device_scalarIT1_EES3_PKS3_PKT2_SC_S9_PKT4_PKT5_S7_PT6_21rocsparse_index_base_b: ; @_ZN9rocsparseL18bsrxmvn_4x4_kernelILj128ELj8E21rocsparse_complex_numIdElidS2_S2_EEvT3_20rocsparse_direction_NS_24const_host_device_scalarIT1_EES3_PKS3_PKT2_SC_S9_PKT4_PKT5_S7_PT6_21rocsparse_index_base_b
; %bb.0:
	s_clause 0x1
	s_load_b64 s[12:13], s[0:1], 0x68
	s_load_b64 s[2:3], s[0:1], 0x8
	v_mov_b32_e32 v1, 0
	s_add_nc_u64 s[4:5], s[0:1], 8
	s_load_b64 s[6:7], s[0:1], 0x50
	s_wait_kmcnt 0x0
	s_bitcmp1_b32 s13, 0
	s_cselect_b32 s3, s5, s3
	s_cselect_b32 s2, s4, s2
	flat_load_b128 v[6:9], v1, s[2:3]
	s_wait_xcnt 0x0
	s_add_nc_u64 s[2:3], s[0:1], 0x50
	s_delay_alu instid0(SALU_CYCLE_1)
	s_cselect_b32 s3, s3, s7
	s_cselect_b32 s2, s2, s6
	flat_load_b128 v[2:5], v1, s[2:3]
	s_wait_loadcnt_dscnt 0x101
	v_cmp_eq_f64_e32 vcc_lo, 0, v[6:7]
	s_wait_xcnt 0x0
	v_cmp_eq_f64_e64 s2, 0, v[8:9]
	s_and_b32 s4, vcc_lo, s2
	s_mov_b32 s2, -1
	s_and_saveexec_b32 s3, s4
	s_cbranch_execz .LBB141_2
; %bb.1:
	s_wait_loadcnt_dscnt 0x0
	v_cmp_neq_f64_e32 vcc_lo, 1.0, v[2:3]
	v_cmp_neq_f64_e64 s2, 0, v[4:5]
	s_or_b32 s2, vcc_lo, s2
	s_delay_alu instid0(SALU_CYCLE_1)
	s_or_not1_b32 s2, s2, exec_lo
.LBB141_2:
	s_or_b32 exec_lo, exec_lo, s3
	s_and_saveexec_b32 s3, s2
	s_cbranch_execz .LBB141_8
; %bb.3:
	s_clause 0x1
	s_load_b64 s[4:5], s[0:1], 0x20
	s_load_b64 s[2:3], s[0:1], 0x0
	s_bfe_u32 s6, ttmp6, 0x4000c
	s_and_b32 s7, ttmp6, 15
	s_add_co_i32 s6, s6, 1
	s_getreg_b32 s8, hwreg(HW_REG_IB_STS2, 6, 4)
	s_mul_i32 s6, ttmp9, s6
	v_lshrrev_b32_e32 v1, 3, v0
	s_add_co_i32 s7, s7, s6
	s_cmp_eq_u32 s8, 0
	s_cselect_b32 s6, ttmp9, s7
	s_delay_alu instid0(VALU_DEP_1) | instid1(SALU_CYCLE_1)
	v_lshl_or_b32 v26, s6, 4, v1
	s_mov_b32 s6, 0
	s_wait_kmcnt 0x0
	s_cmp_lg_u64 s[4:5], 0
	s_cbranch_scc0 .LBB141_9
; %bb.4:
	s_load_b32 s6, s[0:1], 0x18
	s_mov_b32 s7, 0
                                        ; implicit-def: $vgpr1
	s_wait_kmcnt 0x0
	v_cmp_gt_i32_e32 vcc_lo, s6, v26
	s_mov_b32 s6, 0
	s_and_saveexec_b32 s8, vcc_lo
	s_delay_alu instid0(SALU_CYCLE_1)
	s_xor_b32 s8, exec_lo, s8
	s_cbranch_execz .LBB141_6
; %bb.5:
	global_load_b32 v1, v26, s[4:5] scale_offset
	s_mov_b32 s6, exec_lo
	s_wait_loadcnt 0x0
	v_subrev_nc_u32_e32 v1, s12, v1
.LBB141_6:
	s_or_b32 exec_lo, exec_lo, s8
	s_delay_alu instid0(SALU_CYCLE_1)
	s_and_b32 vcc_lo, exec_lo, s7
	s_cbranch_vccz .LBB141_10
.LBB141_7:
	v_cmp_gt_i32_e32 vcc_lo, s2, v26
	s_and_not1_b32 s2, s6, exec_lo
	s_and_b32 s4, vcc_lo, exec_lo
	s_delay_alu instid0(SALU_CYCLE_1) | instskip(NEXT) | instid1(SALU_CYCLE_1)
	s_or_b32 s6, s2, s4
	s_and_b32 exec_lo, exec_lo, s6
	s_cbranch_execnz .LBB141_11
.LBB141_8:
	s_sendmsg sendmsg(MSG_DEALLOC_VGPRS)
	s_endpgm
.LBB141_9:
                                        ; implicit-def: $vgpr1
	s_cbranch_execnz .LBB141_7
.LBB141_10:
	s_delay_alu instid0(VALU_DEP_1)
	v_mov_b32_e32 v26, v1
	s_and_b32 exec_lo, exec_lo, s6
	s_cbranch_execz .LBB141_8
.LBB141_11:
	s_load_b256 s[4:11], s[0:1], 0x28
	s_mov_b32 s13, 0
	v_dual_mov_b32 v1, 0 :: v_dual_bitop2_b32 v0, 7, v0 bitop3:0x40
	s_wait_kmcnt 0x0
	s_cmp_eq_u64 s[6:7], 0
	global_load_b64 v[34:35], v26, s[4:5] scale_offset
	s_cselect_b32 vcc_lo, -1, 0
	v_ashrrev_i32_e32 v27, 31, v26
	s_cmp_eq_u32 s3, 1
	s_delay_alu instid0(VALU_DEP_1) | instskip(NEXT) | instid1(VALU_DEP_1)
	v_lshlrev_b64_e32 v[10:11], 3, v[26:27]
	v_add_nc_u64_e32 v[12:13], s[4:5], v[10:11]
	v_add_nc_u64_e32 v[10:11], s[6:7], v[10:11]
	s_wait_xcnt 0x0
	s_load_b64 s[4:5], s[0:1], 0x48
	s_delay_alu instid0(VALU_DEP_2) | instskip(NEXT) | instid1(VALU_DEP_1)
	v_add_nc_u64_e32 v[12:13], 8, v[12:13]
	v_dual_cndmask_b32 v11, v11, v13 :: v_dual_cndmask_b32 v10, v10, v12
	global_load_b64 v[10:11], v[10:11], off
	s_wait_loadcnt 0x1
	v_sub_nc_u64_e64 v[12:13], v[34:35], s[12:13]
	s_delay_alu instid0(VALU_DEP_1) | instskip(NEXT) | instid1(VALU_DEP_1)
	v_add_nc_u64_e32 v[28:29], v[12:13], v[0:1]
	v_lshlrev_b64_e32 v[12:13], 7, v[28:29]
	s_delay_alu instid0(VALU_DEP_1) | instskip(SKIP_2) | instid1(VALU_DEP_1)
	v_add_nc_u64_e32 v[32:33], s[10:11], v[12:13]
	s_wait_loadcnt 0x0
	v_sub_nc_u64_e64 v[30:31], v[10:11], s[12:13]
	v_cmp_lt_i64_e64 s2, v[28:29], v[30:31]
	s_cbranch_scc1 .LBB141_23
; %bb.12:
	v_mov_b64_e32 v[10:11], 0
	v_mov_b64_e32 v[14:15], 0
	;; [unrolled: 1-line block ×8, first 2 shown]
	s_and_saveexec_b32 s3, s2
	s_cbranch_execz .LBB141_22
; %bb.13:
	v_dual_mov_b32 v11, v1 :: v_dual_bitop2_b32 v10, 8, v0 bitop3:0x54
	v_sub_nc_u64_e32 v[12:13], s[12:13], v[0:1]
	v_not_b32_e32 v15, v35
	v_not_b32_e32 v14, v34
	v_mov_b64_e32 v[22:23], 0
	v_sub_nc_u64_e64 v[10:11], v[10:11], s[12:13]
	v_mov_b64_e32 v[24:25], 0
	v_mov_b64_e32 v[20:21], 0
	v_add_nc_u64_e32 v[12:13], v[12:13], v[14:15]
	v_mov_b64_e32 v[18:19], 0
	v_mov_b64_e32 v[16:17], 0
	;; [unrolled: 1-line block ×3, first 2 shown]
	v_add_nc_u64_e32 v[10:11], v[10:11], v[34:35]
	v_mov_b64_e32 v[36:37], v[32:33]
	v_mov_b64_e32 v[38:39], v[28:29]
	s_mov_b32 s6, exec_lo
	s_delay_alu instid0(VALU_DEP_3) | instskip(NEXT) | instid1(VALU_DEP_1)
	v_max_i64 v[10:11], v[10:11], v[30:31]
	v_add_nc_u64_e32 v[40:41], v[12:13], v[10:11]
	v_mov_b64_e32 v[12:13], 0
	v_mov_b64_e32 v[10:11], 0
	s_delay_alu instid0(VALU_DEP_3) | instskip(NEXT) | instid1(VALU_DEP_1)
	v_dual_mov_b32 v45, 0 :: v_dual_bitop2_b32 v44, 24, v40 bitop3:0x40
	v_cmpx_ne_u64_e32 24, v[44:45]
	s_cbranch_execz .LBB141_17
; %bb.14:
	v_lshrrev_b32_e32 v10, 3, v40
	v_mov_b64_e32 v[14:15], 0
	v_mov_b64_e32 v[16:17], 0
	;; [unrolled: 1-line block ×4, first 2 shown]
	v_add_nc_u32_e32 v12, 1, v10
	v_mov_b64_e32 v[10:11], 0
	v_mov_b64_e32 v[24:25], 0
	;; [unrolled: 1-line block ×4, first 2 shown]
	v_and_b32_e32 v44, 3, v12
	v_mov_b64_e32 v[12:13], 0
	v_mov_b64_e32 v[36:37], v[32:33]
	v_lshl_add_u64 v[42:43], v[28:29], 2, s[8:9]
	s_mov_b32 s7, 0
	v_sub_nc_u64_e32 v[44:45], 0, v[44:45]
.LBB141_15:                             ; =>This Inner Loop Header: Depth=1
	global_load_b32 v27, v[42:43], off
	s_clause 0x6
	global_load_b128 v[46:49], v[36:37], off offset:48
	global_load_b128 v[50:53], v[36:37], off offset:32
	global_load_b128 v[54:57], v[36:37], off offset:16
	global_load_b128 v[58:61], v[36:37], off
	global_load_b128 v[62:65], v[36:37], off offset:112
	global_load_b128 v[66:69], v[36:37], off offset:96
	;; [unrolled: 1-line block ×3, first 2 shown]
	v_add_nc_u64_e32 v[44:45], 1, v[44:45]
	v_add_nc_u64_e32 v[38:39], 8, v[38:39]
	s_wait_xcnt 0x7
	v_add_nc_u64_e32 v[42:43], 32, v[42:43]
	s_delay_alu instid0(VALU_DEP_3) | instskip(SKIP_3) | instid1(VALU_DEP_1)
	v_cmp_eq_u64_e32 vcc_lo, 0, v[44:45]
	s_or_b32 s7, vcc_lo, s7
	s_wait_loadcnt 0x7
	v_subrev_nc_u32_e32 v27, s12, v27
	v_lshlrev_b32_e32 v27, 2, v27
	s_wait_kmcnt 0x0
	s_clause 0x1
	global_load_b128 v[74:77], v27, s[4:5] scale_offset
	global_load_b128 v[78:81], v27, s[4:5] offset:16 scale_offset
	global_load_b128 v[82:85], v[36:37], off offset:80
	s_clause 0x1
	global_load_b128 v[86:89], v27, s[4:5] offset:32 scale_offset
	global_load_b128 v[90:93], v27, s[4:5] offset:48 scale_offset
	s_wait_xcnt 0x2
	v_add_nc_u64_e32 v[36:37], 0x400, v[36:37]
	s_wait_loadcnt 0x4
	v_fmac_f64_e32 v[14:15], v[58:59], v[74:75]
	v_fmac_f64_e32 v[10:11], 0, v[74:75]
	v_fmac_f64_e32 v[18:19], v[50:51], v[74:75]
	v_fmac_f64_e32 v[16:17], 0, v[74:75]
	v_fmac_f64_e32 v[24:25], v[70:71], v[74:75]
	v_fmac_f64_e32 v[20:21], 0, v[74:75]
	v_fmac_f64_e32 v[12:13], v[66:67], v[74:75]
	v_fmac_f64_e32 v[22:23], 0, v[74:75]
	v_fmac_f64_e32 v[14:15], 0x80000000, v[76:77]
	v_fmac_f64_e32 v[10:11], v[58:59], v[76:77]
	v_fmac_f64_e32 v[18:19], 0x80000000, v[76:77]
	v_fmac_f64_e32 v[16:17], v[50:51], v[76:77]
	v_fmac_f64_e32 v[24:25], 0x80000000, v[76:77]
	v_fmac_f64_e32 v[20:21], v[70:71], v[76:77]
	v_fmac_f64_e32 v[12:13], 0x80000000, v[76:77]
	v_fmac_f64_e32 v[22:23], v[66:67], v[76:77]
	s_wait_loadcnt 0x3
	v_fmac_f64_e32 v[14:15], v[60:61], v[78:79]
	v_fmac_f64_e32 v[10:11], 0, v[78:79]
	v_fmac_f64_e32 v[18:19], v[52:53], v[78:79]
	v_fmac_f64_e32 v[16:17], 0, v[78:79]
	v_fmac_f64_e32 v[24:25], v[72:73], v[78:79]
	v_fmac_f64_e32 v[20:21], 0, v[78:79]
	v_fmac_f64_e32 v[12:13], v[68:69], v[78:79]
	v_fmac_f64_e32 v[22:23], 0, v[78:79]
	v_fmac_f64_e32 v[14:15], 0x80000000, v[80:81]
	v_fmac_f64_e32 v[10:11], v[60:61], v[80:81]
	v_fmac_f64_e32 v[18:19], 0x80000000, v[80:81]
	v_fmac_f64_e32 v[16:17], v[52:53], v[80:81]
	v_fmac_f64_e32 v[24:25], 0x80000000, v[80:81]
	v_fmac_f64_e32 v[20:21], v[72:73], v[80:81]
	v_fmac_f64_e32 v[12:13], 0x80000000, v[80:81]
	v_fmac_f64_e32 v[22:23], v[68:69], v[80:81]
	;; [unrolled: 17-line block ×4, first 2 shown]
	s_and_not1_b32 exec_lo, exec_lo, s7
	s_cbranch_execnz .LBB141_15
; %bb.16:
	s_or_b32 exec_lo, exec_lo, s7
.LBB141_17:
	s_delay_alu instid0(SALU_CYCLE_1) | instskip(NEXT) | instid1(SALU_CYCLE_1)
	s_or_b32 exec_lo, exec_lo, s6
	s_mov_b32 s6, exec_lo
	v_cmpx_lt_u64_e32 23, v[40:41]
	s_cbranch_execz .LBB141_21
; %bb.18:
	v_lshl_add_u64 v[40:41], v[38:39], 2, s[8:9]
	s_mov_b32 s7, 0
	s_delay_alu instid0(VALU_DEP_1)
	v_add_nc_u64_e32 v[40:41], 64, v[40:41]
.LBB141_19:                             ; =>This Inner Loop Header: Depth=1
	s_clause 0x1
	global_load_b32 v27, v[40:41], off offset:-64
	global_load_b32 v122, v[40:41], off offset:-32
	s_clause 0x11
	global_load_b128 v[42:45], v[36:37], off offset:48
	global_load_b128 v[46:49], v[36:37], off offset:32
	;; [unrolled: 1-line block ×3, first 2 shown]
	global_load_b128 v[54:57], v[36:37], off
	global_load_b128 v[58:61], v[36:37], off offset:112
	global_load_b128 v[62:65], v[36:37], off offset:96
	;; [unrolled: 1-line block ×14, first 2 shown]
	s_clause 0x1
	global_load_b32 v138, v[40:41], off
	global_load_b32 v139, v[40:41], off offset:32
	s_clause 0x1
	global_load_b128 v[114:117], v[36:37], off offset:2064
	global_load_b128 v[118:121], v[36:37], off offset:2048
	v_add_nc_u64_e32 v[38:39], 32, v[38:39]
	s_wait_xcnt 0x2
	v_add_nc_u64_e32 v[40:41], 0x80, v[40:41]
	s_delay_alu instid0(VALU_DEP_2)
	v_cmp_ge_i64_e32 vcc_lo, v[38:39], v[30:31]
	s_or_b32 s7, vcc_lo, s7
	s_wait_loadcnt 0x17
	v_subrev_nc_u32_e32 v27, s12, v27
	s_wait_loadcnt 0x16
	v_subrev_nc_u32_e32 v122, s12, v122
	s_delay_alu instid0(VALU_DEP_1)
	v_dual_lshlrev_b32 v27, 2, v27 :: v_dual_lshlrev_b32 v140, 2, v122
	s_wait_kmcnt 0x0
	s_clause 0x3
	global_load_b128 v[122:125], v27, s[4:5] scale_offset
	global_load_b128 v[126:129], v27, s[4:5] offset:16 scale_offset
	global_load_b128 v[130:133], v27, s[4:5] offset:32 scale_offset
	;; [unrolled: 1-line block ×3, first 2 shown]
	s_wait_loadcnt 0x7
	s_wait_xcnt 0x0
	v_subrev_nc_u32_e32 v27, s12, v138
	s_delay_alu instid0(VALU_DEP_1)
	v_lshlrev_b32_e32 v27, 2, v27
	s_wait_loadcnt 0x3
	v_fmac_f64_e32 v[10:11], 0, v[122:123]
	v_fmac_f64_e32 v[14:15], v[54:55], v[122:123]
	v_fmac_f64_e32 v[18:19], v[46:47], v[122:123]
	v_fmac_f64_e32 v[16:17], 0, v[122:123]
	v_fmac_f64_e32 v[24:25], v[70:71], v[122:123]
	v_fmac_f64_e32 v[20:21], 0, v[122:123]
	v_fmac_f64_e32 v[12:13], v[62:63], v[122:123]
	v_fmac_f64_e32 v[22:23], 0, v[122:123]
	v_fmac_f64_e32 v[10:11], v[54:55], v[124:125]
	v_fmac_f64_e32 v[14:15], 0x80000000, v[124:125]
	v_fmac_f64_e32 v[18:19], 0x80000000, v[124:125]
	v_fmac_f64_e32 v[16:17], v[46:47], v[124:125]
	v_fmac_f64_e32 v[24:25], 0x80000000, v[124:125]
	v_fmac_f64_e32 v[20:21], v[70:71], v[124:125]
	v_fmac_f64_e32 v[12:13], 0x80000000, v[124:125]
	v_fmac_f64_e32 v[22:23], v[62:63], v[124:125]
	global_load_b128 v[122:125], v140, s[4:5] scale_offset
	s_wait_loadcnt 0x3
	v_fmac_f64_e32 v[10:11], 0, v[126:127]
	v_fmac_f64_e32 v[14:15], v[56:57], v[126:127]
	v_fmac_f64_e32 v[18:19], v[48:49], v[126:127]
	v_fmac_f64_e32 v[16:17], 0, v[126:127]
	v_fmac_f64_e32 v[24:25], v[72:73], v[126:127]
	v_fmac_f64_e32 v[20:21], 0, v[126:127]
	v_fmac_f64_e32 v[12:13], v[64:65], v[126:127]
	v_fmac_f64_e32 v[22:23], 0, v[126:127]
	v_fmac_f64_e32 v[10:11], v[56:57], v[128:129]
	v_fmac_f64_e32 v[14:15], 0x80000000, v[128:129]
	v_fmac_f64_e32 v[18:19], 0x80000000, v[128:129]
	v_fmac_f64_e32 v[16:17], v[48:49], v[128:129]
	global_load_b128 v[46:49], v140, s[4:5] offset:16 scale_offset
	v_fmac_f64_e32 v[20:21], v[72:73], v[128:129]
	v_fmac_f64_e32 v[24:25], 0x80000000, v[128:129]
	;; [unrolled: 1-line block ×4, first 2 shown]
	global_load_b128 v[126:129], v140, s[4:5] offset:32 scale_offset
	s_clause 0x2
	global_load_b128 v[54:57], v[36:37], off offset:2160
	global_load_b128 v[70:73], v[36:37], off offset:2144
	;; [unrolled: 1-line block ×3, first 2 shown]
	s_wait_loadcnt 0x7
	v_fmac_f64_e32 v[10:11], 0, v[130:131]
	v_fmac_f64_e32 v[14:15], v[50:51], v[130:131]
	;; [unrolled: 1-line block ×16, first 2 shown]
	global_load_b128 v[130:133], v140, s[4:5] offset:48 scale_offset
	s_wait_loadcnt 0x7
	v_fmac_f64_e32 v[10:11], 0, v[134:135]
	v_fmac_f64_e32 v[14:15], v[52:53], v[134:135]
	;; [unrolled: 1-line block ×9, first 2 shown]
	global_load_b128 v[50:53], v[36:37], off offset:2112
	v_fmac_f64_e32 v[14:15], 0x80000000, v[136:137]
	v_fmac_f64_e32 v[16:17], v[44:45], v[136:137]
	global_load_b128 v[42:45], v27, s[4:5] scale_offset
	v_fmac_f64_e32 v[18:19], 0x80000000, v[136:137]
	v_fmac_f64_e32 v[24:25], 0x80000000, v[136:137]
	;; [unrolled: 1-line block ×5, first 2 shown]
	s_clause 0x1
	global_load_b128 v[58:61], v27, s[4:5] offset:16 scale_offset
	global_load_b128 v[66:69], v27, s[4:5] offset:32 scale_offset
	s_wait_loadcnt 0xa
	v_fmac_f64_e32 v[14:15], v[86:87], v[122:123]
	v_fmac_f64_e32 v[10:11], 0, v[122:123]
	;; [unrolled: 1-line block ×16, first 2 shown]
	s_wait_loadcnt 0x9
	v_fmac_f64_e32 v[14:15], v[88:89], v[46:47]
	v_fmac_f64_e32 v[10:11], 0, v[46:47]
	;; [unrolled: 1-line block ×16, first 2 shown]
	global_load_b128 v[46:49], v27, s[4:5] offset:48 scale_offset
	s_wait_xcnt 0x0
	v_subrev_nc_u32_e32 v27, s12, v139
	s_delay_alu instid0(VALU_DEP_1)
	v_lshlrev_b32_e32 v27, 2, v27
	s_wait_loadcnt 0x9
	v_fmac_f64_e32 v[14:15], v[82:83], v[126:127]
	v_fmac_f64_e32 v[10:11], 0, v[126:127]
	;; [unrolled: 1-line block ×16, first 2 shown]
	s_clause 0x5
	global_load_b128 v[78:81], v[36:37], off offset:3120
	global_load_b128 v[86:89], v[36:37], off offset:3104
	;; [unrolled: 1-line block ×6, first 2 shown]
	global_load_b128 v[134:137], v27, s[4:5] scale_offset
	s_wait_loadcnt 0xc
	v_fmac_f64_e32 v[14:15], v[84:85], v[130:131]
	v_fmac_f64_e32 v[10:11], 0, v[130:131]
	;; [unrolled: 1-line block ×16, first 2 shown]
	global_load_b128 v[74:77], v27, s[4:5] offset:16 scale_offset
	s_wait_loadcnt 0xb
	v_fmac_f64_e32 v[14:15], v[118:119], v[42:43]
	v_fmac_f64_e32 v[10:11], 0, v[42:43]
	;; [unrolled: 1-line block ×16, first 2 shown]
	s_clause 0x1
	global_load_b128 v[42:45], v[36:37], off offset:3184
	global_load_b128 v[82:85], v[36:37], off offset:3152
	global_load_b128 v[90:93], v27, s[4:5] offset:32 scale_offset
	s_wait_xcnt 0x1
	v_add_nc_u64_e32 v[36:37], 0x1000, v[36:37]
	s_wait_loadcnt 0xd
	v_fmac_f64_e32 v[14:15], v[120:121], v[58:59]
	v_fmac_f64_e32 v[10:11], 0, v[58:59]
	v_fmac_f64_e32 v[18:19], v[112:113], v[58:59]
	v_fmac_f64_e32 v[16:17], 0, v[58:59]
	v_fmac_f64_e32 v[24:25], v[52:53], v[58:59]
	v_fmac_f64_e32 v[20:21], 0, v[58:59]
	v_fmac_f64_e32 v[12:13], v[72:73], v[58:59]
	v_fmac_f64_e32 v[22:23], 0, v[58:59]
	v_fmac_f64_e32 v[14:15], 0x80000000, v[60:61]
	v_fmac_f64_e32 v[10:11], v[120:121], v[60:61]
	v_fmac_f64_e32 v[18:19], 0x80000000, v[60:61]
	v_fmac_f64_e32 v[16:17], v[112:113], v[60:61]
	v_fmac_f64_e32 v[24:25], 0x80000000, v[60:61]
	v_fmac_f64_e32 v[20:21], v[52:53], v[60:61]
	v_fmac_f64_e32 v[12:13], 0x80000000, v[60:61]
	v_fmac_f64_e32 v[22:23], v[72:73], v[60:61]
	global_load_b128 v[50:53], v27, s[4:5] offset:48 scale_offset
	s_wait_loadcnt 0xd
	v_fmac_f64_e32 v[14:15], v[114:115], v[66:67]
	v_fmac_f64_e32 v[10:11], 0, v[66:67]
	v_fmac_f64_e32 v[18:19], v[106:107], v[66:67]
	v_fmac_f64_e32 v[16:17], 0, v[66:67]
	v_fmac_f64_e32 v[24:25], v[62:63], v[66:67]
	v_fmac_f64_e32 v[20:21], 0, v[66:67]
	v_fmac_f64_e32 v[12:13], v[54:55], v[66:67]
	v_fmac_f64_e32 v[22:23], 0, v[66:67]
	v_fmac_f64_e32 v[14:15], 0x80000000, v[68:69]
	v_fmac_f64_e32 v[10:11], v[114:115], v[68:69]
	v_fmac_f64_e32 v[18:19], 0x80000000, v[68:69]
	v_fmac_f64_e32 v[16:17], v[106:107], v[68:69]
	v_fmac_f64_e32 v[24:25], 0x80000000, v[68:69]
	v_fmac_f64_e32 v[20:21], v[62:63], v[68:69]
	v_fmac_f64_e32 v[12:13], 0x80000000, v[68:69]
	v_fmac_f64_e32 v[22:23], v[54:55], v[68:69]
	s_wait_loadcnt 0xc
	v_fmac_f64_e32 v[14:15], v[116:117], v[46:47]
	v_fmac_f64_e32 v[10:11], 0, v[46:47]
	v_fmac_f64_e32 v[18:19], v[108:109], v[46:47]
	v_fmac_f64_e32 v[16:17], 0, v[46:47]
	v_fmac_f64_e32 v[24:25], v[64:65], v[46:47]
	v_fmac_f64_e32 v[20:21], 0, v[46:47]
	v_fmac_f64_e32 v[12:13], v[56:57], v[46:47]
	v_fmac_f64_e32 v[22:23], 0, v[46:47]
	v_fmac_f64_e32 v[14:15], 0x80000000, v[48:49]
	v_fmac_f64_e32 v[10:11], v[116:117], v[48:49]
	v_fmac_f64_e32 v[18:19], 0x80000000, v[48:49]
	v_fmac_f64_e32 v[16:17], v[108:109], v[48:49]
	v_fmac_f64_e32 v[24:25], 0x80000000, v[48:49]
	v_fmac_f64_e32 v[20:21], v[64:65], v[48:49]
	v_fmac_f64_e32 v[12:13], 0x80000000, v[48:49]
	v_fmac_f64_e32 v[22:23], v[56:57], v[48:49]
	;; [unrolled: 17-line block ×6, first 2 shown]
	s_and_not1_b32 exec_lo, exec_lo, s7
	s_cbranch_execnz .LBB141_19
; %bb.20:
	s_or_b32 exec_lo, exec_lo, s7
.LBB141_21:
	s_delay_alu instid0(SALU_CYCLE_1)
	s_or_b32 exec_lo, exec_lo, s6
.LBB141_22:
	s_delay_alu instid0(SALU_CYCLE_1)
	s_or_b32 exec_lo, exec_lo, s3
	s_cbranch_execz .LBB141_24
	s_branch .LBB141_35
.LBB141_23:
                                        ; implicit-def: $vgpr10_vgpr11
                                        ; implicit-def: $vgpr14_vgpr15
                                        ; implicit-def: $vgpr16_vgpr17
                                        ; implicit-def: $vgpr18_vgpr19
                                        ; implicit-def: $vgpr20_vgpr21
                                        ; implicit-def: $vgpr24_vgpr25
                                        ; implicit-def: $vgpr22_vgpr23
                                        ; implicit-def: $vgpr12_vgpr13
.LBB141_24:
	v_mov_b64_e32 v[10:11], 0
	v_mov_b64_e32 v[14:15], 0
	v_mov_b64_e32 v[16:17], 0
	v_mov_b64_e32 v[18:19], 0
	v_mov_b64_e32 v[20:21], 0
	v_mov_b64_e32 v[24:25], 0
	v_mov_b64_e32 v[22:23], 0
	v_mov_b64_e32 v[12:13], 0
	s_and_saveexec_b32 s3, s2
	s_cbranch_execz .LBB141_34
; %bb.25:
	v_dual_mov_b32 v11, v1 :: v_dual_bitop2_b32 v10, 8, v0 bitop3:0x54
	v_sub_nc_u64_e32 v[12:13], s[12:13], v[0:1]
	v_not_b32_e32 v15, v35
	v_not_b32_e32 v14, v34
	v_mov_b64_e32 v[22:23], 0
	v_sub_nc_u64_e64 v[10:11], v[10:11], s[12:13]
	v_mov_b64_e32 v[24:25], 0
	v_mov_b64_e32 v[20:21], 0
	v_add_nc_u64_e32 v[12:13], v[12:13], v[14:15]
	v_mov_b64_e32 v[18:19], 0
	v_mov_b64_e32 v[16:17], 0
	;; [unrolled: 1-line block ×3, first 2 shown]
	v_add_nc_u64_e32 v[10:11], v[10:11], v[34:35]
	s_mov_b32 s2, exec_lo
	s_delay_alu instid0(VALU_DEP_1) | instskip(NEXT) | instid1(VALU_DEP_1)
	v_max_i64 v[10:11], v[10:11], v[30:31]
	v_add_nc_u64_e32 v[34:35], v[12:13], v[10:11]
	v_mov_b64_e32 v[12:13], 0
	v_mov_b64_e32 v[10:11], 0
	s_delay_alu instid0(VALU_DEP_3) | instskip(NEXT) | instid1(VALU_DEP_1)
	v_dual_mov_b32 v37, 0 :: v_dual_bitop2_b32 v36, 24, v34 bitop3:0x40
	v_cmpx_ne_u64_e32 24, v[36:37]
	s_cbranch_execz .LBB141_29
; %bb.26:
	v_lshrrev_b32_e32 v1, 3, v34
	v_mov_b64_e32 v[10:11], 0
	v_mov_b64_e32 v[14:15], 0
	;; [unrolled: 1-line block ×4, first 2 shown]
	v_add_nc_u32_e32 v1, 1, v1
	v_mov_b64_e32 v[20:21], 0
	v_mov_b64_e32 v[24:25], 0
	;; [unrolled: 1-line block ×4, first 2 shown]
	v_and_b32_e32 v36, 3, v1
	v_lshl_add_u64 v[38:39], v[28:29], 2, s[8:9]
	s_mov_b32 s6, 0
	s_delay_alu instid0(VALU_DEP_2)
	v_sub_nc_u64_e32 v[36:37], 0, v[36:37]
.LBB141_27:                             ; =>This Inner Loop Header: Depth=1
	global_load_b32 v1, v[38:39], off
	s_clause 0x1
	global_load_b128 v[40:43], v[32:33], off offset:16
	global_load_b128 v[44:47], v[32:33], off
	v_add_nc_u64_e32 v[36:37], 1, v[36:37]
	v_add_nc_u64_e32 v[28:29], 8, v[28:29]
	s_wait_xcnt 0x2
	v_add_nc_u64_e32 v[38:39], 32, v[38:39]
	s_delay_alu instid0(VALU_DEP_3) | instskip(SKIP_3) | instid1(VALU_DEP_1)
	v_cmp_eq_u64_e32 vcc_lo, 0, v[36:37]
	s_or_b32 s6, vcc_lo, s6
	s_wait_loadcnt 0x2
	v_subrev_nc_u32_e32 v1, s12, v1
	v_lshlrev_b32_e32 v1, 2, v1
	s_wait_kmcnt 0x0
	s_clause 0x1
	global_load_b128 v[48:51], v1, s[4:5] scale_offset
	global_load_b128 v[52:55], v1, s[4:5] offset:16 scale_offset
	s_clause 0x3
	global_load_b128 v[56:59], v[32:33], off offset:32
	global_load_b128 v[60:63], v[32:33], off offset:48
	;; [unrolled: 1-line block ×4, first 2 shown]
	s_clause 0x1
	global_load_b128 v[72:75], v1, s[4:5] offset:32 scale_offset
	global_load_b128 v[76:79], v1, s[4:5] offset:48 scale_offset
	s_clause 0x1
	global_load_b128 v[80:83], v[32:33], off offset:96
	global_load_b128 v[84:87], v[32:33], off offset:112
	s_wait_xcnt 0x0
	v_add_nc_u64_e32 v[32:33], 0x400, v[32:33]
	s_wait_loadcnt 0x9
	v_fmac_f64_e32 v[14:15], v[44:45], v[48:49]
	v_fmac_f64_e32 v[10:11], 0, v[48:49]
	;; [unrolled: 1-line block ×16, first 2 shown]
	s_wait_loadcnt 0x7
	v_fmac_f64_e32 v[14:15], v[56:57], v[52:53]
	v_fmac_f64_e32 v[10:11], 0, v[52:53]
	;; [unrolled: 1-line block ×4, first 2 shown]
	s_wait_loadcnt 0x6
	v_fmac_f64_e32 v[24:25], v[60:61], v[52:53]
	v_fmac_f64_e32 v[20:21], 0, v[52:53]
	;; [unrolled: 1-line block ×12, first 2 shown]
	s_wait_loadcnt 0x3
	v_fmac_f64_e32 v[14:15], v[68:69], v[72:73]
	v_fmac_f64_e32 v[10:11], 0, v[72:73]
	;; [unrolled: 1-line block ×16, first 2 shown]
	s_wait_loadcnt 0x1
	v_fmac_f64_e32 v[14:15], v[80:81], v[76:77]
	v_fmac_f64_e32 v[10:11], 0, v[76:77]
	;; [unrolled: 1-line block ×4, first 2 shown]
	s_wait_loadcnt 0x0
	v_fmac_f64_e32 v[24:25], v[84:85], v[76:77]
	v_fmac_f64_e32 v[20:21], 0, v[76:77]
	;; [unrolled: 1-line block ×12, first 2 shown]
	s_and_not1_b32 exec_lo, exec_lo, s6
	s_cbranch_execnz .LBB141_27
; %bb.28:
	s_or_b32 exec_lo, exec_lo, s6
.LBB141_29:
	s_delay_alu instid0(SALU_CYCLE_1) | instskip(NEXT) | instid1(SALU_CYCLE_1)
	s_or_b32 exec_lo, exec_lo, s2
	s_mov_b32 s2, exec_lo
	v_cmpx_lt_u64_e32 23, v[34:35]
	s_cbranch_execz .LBB141_33
; %bb.30:
	v_lshl_add_u64 v[34:35], v[28:29], 2, s[8:9]
	s_mov_b32 s6, 0
	s_delay_alu instid0(VALU_DEP_1)
	v_add_nc_u64_e32 v[34:35], 64, v[34:35]
.LBB141_31:                             ; =>This Inner Loop Header: Depth=1
	s_clause 0x1
	global_load_b32 v1, v[34:35], off offset:-64
	global_load_b32 v27, v[34:35], off offset:-32
	s_clause 0x1
	global_load_b128 v[36:39], v[32:33], off offset:16
	global_load_b128 v[40:43], v[32:33], off
	s_clause 0x1
	global_load_b32 v108, v[34:35], off
	global_load_b32 v109, v[34:35], off offset:32
	v_add_nc_u64_e32 v[28:29], 32, v[28:29]
	s_wait_xcnt 0x0
	v_add_nc_u64_e32 v[34:35], 0x80, v[34:35]
	s_delay_alu instid0(VALU_DEP_2) | instskip(SKIP_3) | instid1(VALU_DEP_1)
	v_cmp_ge_i64_e32 vcc_lo, v[28:29], v[30:31]
	s_or_b32 s6, vcc_lo, s6
	s_wait_loadcnt 0x5
	v_subrev_nc_u32_e32 v1, s12, v1
	v_lshlrev_b32_e32 v1, 2, v1
	s_wait_kmcnt 0x0
	global_load_b128 v[44:47], v1, s[4:5] scale_offset
	s_clause 0x1
	global_load_b128 v[48:51], v[32:33], off offset:48
	global_load_b128 v[52:55], v[32:33], off offset:32
	global_load_b128 v[56:59], v1, s[4:5] offset:16 scale_offset
	s_clause 0x1
	global_load_b128 v[60:63], v[32:33], off offset:80
	global_load_b128 v[64:67], v[32:33], off offset:64
	global_load_b128 v[68:71], v1, s[4:5] offset:32 scale_offset
	;; [unrolled: 4-line block ×3, first 2 shown]
	s_clause 0x1
	global_load_b128 v[84:87], v[32:33], off offset:1040
	global_load_b128 v[88:91], v[32:33], off offset:1024
	s_wait_loadcnt 0x10
	s_wait_xcnt 0x2
	v_subrev_nc_u32_e32 v1, s12, v27
	s_delay_alu instid0(VALU_DEP_1)
	v_lshlrev_b32_e32 v1, 2, v1
	global_load_b128 v[92:95], v1, s[4:5] scale_offset
	s_clause 0x1
	global_load_b128 v[96:99], v[32:33], off offset:1072
	global_load_b128 v[100:103], v[32:33], off offset:1056
	global_load_b128 v[104:107], v1, s[4:5] offset:16 scale_offset
	s_wait_loadcnt 0xf
	v_fmac_f64_e32 v[14:15], v[40:41], v[44:45]
	v_fmac_f64_e32 v[10:11], 0, v[44:45]
	v_fmac_f64_e32 v[18:19], v[42:43], v[44:45]
	v_fmac_f64_e32 v[16:17], 0, v[44:45]
	v_fmac_f64_e32 v[24:25], v[36:37], v[44:45]
	v_fmac_f64_e32 v[20:21], 0, v[44:45]
	v_fmac_f64_e32 v[12:13], v[38:39], v[44:45]
	v_fmac_f64_e32 v[22:23], 0, v[44:45]
	v_fmac_f64_e32 v[14:15], 0x80000000, v[46:47]
	v_fmac_f64_e32 v[10:11], v[40:41], v[46:47]
	v_fmac_f64_e32 v[18:19], 0x80000000, v[46:47]
	v_fmac_f64_e32 v[16:17], v[42:43], v[46:47]
	v_fmac_f64_e32 v[24:25], 0x80000000, v[46:47]
	v_fmac_f64_e32 v[20:21], v[36:37], v[46:47]
	v_fmac_f64_e32 v[12:13], 0x80000000, v[46:47]
	v_fmac_f64_e32 v[22:23], v[38:39], v[46:47]
	s_clause 0x1
	global_load_b128 v[36:39], v[32:33], off offset:1104
	global_load_b128 v[40:43], v[32:33], off offset:1088
	global_load_b128 v[44:47], v1, s[4:5] offset:32 scale_offset
	s_wait_loadcnt 0xf
	v_fmac_f64_e32 v[14:15], v[52:53], v[56:57]
	v_fmac_f64_e32 v[10:11], 0, v[56:57]
	v_fmac_f64_e32 v[18:19], v[54:55], v[56:57]
	v_fmac_f64_e32 v[16:17], 0, v[56:57]
	v_fmac_f64_e32 v[24:25], v[48:49], v[56:57]
	v_fmac_f64_e32 v[20:21], 0, v[56:57]
	v_fmac_f64_e32 v[12:13], v[50:51], v[56:57]
	v_fmac_f64_e32 v[22:23], 0, v[56:57]
	v_fmac_f64_e32 v[14:15], 0x80000000, v[58:59]
	v_fmac_f64_e32 v[10:11], v[52:53], v[58:59]
	v_fmac_f64_e32 v[18:19], 0x80000000, v[58:59]
	v_fmac_f64_e32 v[16:17], v[54:55], v[58:59]
	v_fmac_f64_e32 v[24:25], 0x80000000, v[58:59]
	v_fmac_f64_e32 v[20:21], v[48:49], v[58:59]
	v_fmac_f64_e32 v[12:13], 0x80000000, v[58:59]
	v_fmac_f64_e32 v[22:23], v[50:51], v[58:59]
	s_clause 0x1
	global_load_b128 v[48:51], v[32:33], off offset:1136
	global_load_b128 v[52:55], v[32:33], off offset:1120
	global_load_b128 v[56:59], v1, s[4:5] offset:48 scale_offset
	s_wait_xcnt 0x0
	v_subrev_nc_u32_e32 v1, s12, v108
	s_delay_alu instid0(VALU_DEP_1)
	v_lshlrev_b32_e32 v1, 2, v1
	s_wait_loadcnt 0xf
	v_fmac_f64_e32 v[14:15], v[64:65], v[68:69]
	v_fmac_f64_e32 v[10:11], 0, v[68:69]
	;; [unrolled: 1-line block ×16, first 2 shown]
	s_clause 0x1
	global_load_b128 v[60:63], v[32:33], off offset:2064
	global_load_b128 v[64:67], v[32:33], off offset:2048
	global_load_b128 v[68:71], v1, s[4:5] scale_offset
	s_wait_loadcnt 0xf
	v_fmac_f64_e32 v[14:15], v[76:77], v[80:81]
	v_fmac_f64_e32 v[10:11], 0, v[80:81]
	v_fmac_f64_e32 v[18:19], v[78:79], v[80:81]
	v_fmac_f64_e32 v[16:17], 0, v[80:81]
	v_fmac_f64_e32 v[24:25], v[72:73], v[80:81]
	v_fmac_f64_e32 v[20:21], 0, v[80:81]
	v_fmac_f64_e32 v[12:13], v[74:75], v[80:81]
	v_fmac_f64_e32 v[22:23], 0, v[80:81]
	v_fmac_f64_e32 v[14:15], 0x80000000, v[82:83]
	v_fmac_f64_e32 v[10:11], v[76:77], v[82:83]
	v_fmac_f64_e32 v[18:19], 0x80000000, v[82:83]
	v_fmac_f64_e32 v[16:17], v[78:79], v[82:83]
	v_fmac_f64_e32 v[24:25], 0x80000000, v[82:83]
	v_fmac_f64_e32 v[20:21], v[72:73], v[82:83]
	v_fmac_f64_e32 v[12:13], 0x80000000, v[82:83]
	v_fmac_f64_e32 v[22:23], v[74:75], v[82:83]
	s_clause 0x1
	global_load_b128 v[72:75], v[32:33], off offset:2096
	global_load_b128 v[76:79], v[32:33], off offset:2080
	global_load_b128 v[80:83], v1, s[4:5] offset:16 scale_offset
	s_wait_loadcnt 0xf
	v_fmac_f64_e32 v[14:15], v[88:89], v[92:93]
	v_fmac_f64_e32 v[10:11], 0, v[92:93]
	v_fmac_f64_e32 v[18:19], v[90:91], v[92:93]
	v_fmac_f64_e32 v[16:17], 0, v[92:93]
	v_fmac_f64_e32 v[24:25], v[84:85], v[92:93]
	v_fmac_f64_e32 v[20:21], 0, v[92:93]
	v_fmac_f64_e32 v[12:13], v[86:87], v[92:93]
	v_fmac_f64_e32 v[22:23], 0, v[92:93]
	v_fmac_f64_e32 v[14:15], 0x80000000, v[94:95]
	v_fmac_f64_e32 v[10:11], v[88:89], v[94:95]
	v_fmac_f64_e32 v[18:19], 0x80000000, v[94:95]
	v_fmac_f64_e32 v[16:17], v[90:91], v[94:95]
	v_fmac_f64_e32 v[24:25], 0x80000000, v[94:95]
	v_fmac_f64_e32 v[20:21], v[84:85], v[94:95]
	v_fmac_f64_e32 v[12:13], 0x80000000, v[94:95]
	v_fmac_f64_e32 v[22:23], v[86:87], v[94:95]
	s_clause 0x1
	global_load_b128 v[84:87], v[32:33], off offset:2128
	global_load_b128 v[88:91], v[32:33], off offset:2112
	global_load_b128 v[92:95], v1, s[4:5] offset:32 scale_offset
	;; [unrolled: 21-line block ×3, first 2 shown]
	s_wait_xcnt 0x0
	v_subrev_nc_u32_e32 v1, s12, v109
	s_delay_alu instid0(VALU_DEP_1)
	v_lshlrev_b32_e32 v1, 2, v1
	s_wait_loadcnt 0xf
	v_fmac_f64_e32 v[14:15], v[40:41], v[44:45]
	v_fmac_f64_e32 v[10:11], 0, v[44:45]
	;; [unrolled: 1-line block ×16, first 2 shown]
	s_clause 0x1
	global_load_b128 v[36:39], v[32:33], off offset:3088
	global_load_b128 v[40:43], v[32:33], off offset:3072
	s_clause 0x1
	global_load_b128 v[44:47], v1, s[4:5] offset:16 scale_offset
	global_load_b128 v[108:111], v1, s[4:5] scale_offset
	s_wait_loadcnt 0x10
	v_fmac_f64_e32 v[14:15], v[52:53], v[56:57]
	v_fmac_f64_e32 v[10:11], 0, v[56:57]
	;; [unrolled: 1-line block ×16, first 2 shown]
	s_clause 0x1
	global_load_b128 v[48:51], v[32:33], off offset:3120
	global_load_b128 v[52:55], v[32:33], off offset:3104
	s_wait_loadcnt 0xf
	v_fmac_f64_e32 v[14:15], v[64:65], v[68:69]
	v_fmac_f64_e32 v[10:11], 0, v[68:69]
	;; [unrolled: 1-line block ×16, first 2 shown]
	s_clause 0x1
	global_load_b128 v[56:59], v[32:33], off offset:3152
	global_load_b128 v[60:63], v[32:33], off offset:3136
	global_load_b128 v[64:67], v1, s[4:5] offset:32 scale_offset
	s_wait_loadcnt 0xf
	v_fmac_f64_e32 v[14:15], v[76:77], v[80:81]
	v_fmac_f64_e32 v[10:11], 0, v[80:81]
	v_fmac_f64_e32 v[18:19], v[78:79], v[80:81]
	v_fmac_f64_e32 v[16:17], 0, v[80:81]
	v_fmac_f64_e32 v[24:25], v[72:73], v[80:81]
	v_fmac_f64_e32 v[20:21], 0, v[80:81]
	v_fmac_f64_e32 v[12:13], v[74:75], v[80:81]
	v_fmac_f64_e32 v[22:23], 0, v[80:81]
	v_fmac_f64_e32 v[14:15], 0x80000000, v[82:83]
	v_fmac_f64_e32 v[10:11], v[76:77], v[82:83]
	v_fmac_f64_e32 v[18:19], 0x80000000, v[82:83]
	v_fmac_f64_e32 v[16:17], v[78:79], v[82:83]
	v_fmac_f64_e32 v[24:25], 0x80000000, v[82:83]
	v_fmac_f64_e32 v[20:21], v[72:73], v[82:83]
	v_fmac_f64_e32 v[12:13], 0x80000000, v[82:83]
	v_fmac_f64_e32 v[22:23], v[74:75], v[82:83]
	s_clause 0x1
	global_load_b128 v[68:71], v[32:33], off offset:3168
	global_load_b128 v[72:75], v[32:33], off offset:3184
	global_load_b128 v[76:79], v1, s[4:5] offset:48 scale_offset
	s_wait_xcnt 0x1
	v_add_nc_u64_e32 v[32:33], 0x1000, v[32:33]
	s_wait_loadcnt 0xf
	v_fmac_f64_e32 v[14:15], v[88:89], v[92:93]
	v_fmac_f64_e32 v[10:11], 0, v[92:93]
	v_fmac_f64_e32 v[18:19], v[90:91], v[92:93]
	v_fmac_f64_e32 v[16:17], 0, v[92:93]
	v_fmac_f64_e32 v[24:25], v[84:85], v[92:93]
	v_fmac_f64_e32 v[20:21], 0, v[92:93]
	v_fmac_f64_e32 v[12:13], v[86:87], v[92:93]
	v_fmac_f64_e32 v[22:23], 0, v[92:93]
	v_fmac_f64_e32 v[14:15], 0x80000000, v[94:95]
	v_fmac_f64_e32 v[10:11], v[88:89], v[94:95]
	v_fmac_f64_e32 v[18:19], 0x80000000, v[94:95]
	v_fmac_f64_e32 v[16:17], v[90:91], v[94:95]
	v_fmac_f64_e32 v[24:25], 0x80000000, v[94:95]
	v_fmac_f64_e32 v[20:21], v[84:85], v[94:95]
	v_fmac_f64_e32 v[12:13], 0x80000000, v[94:95]
	v_fmac_f64_e32 v[22:23], v[86:87], v[94:95]
	s_wait_loadcnt 0xc
	v_fmac_f64_e32 v[14:15], v[100:101], v[104:105]
	v_fmac_f64_e32 v[10:11], 0, v[104:105]
	v_fmac_f64_e32 v[18:19], v[102:103], v[104:105]
	v_fmac_f64_e32 v[16:17], 0, v[104:105]
	v_fmac_f64_e32 v[24:25], v[96:97], v[104:105]
	v_fmac_f64_e32 v[20:21], 0, v[104:105]
	v_fmac_f64_e32 v[12:13], v[98:99], v[104:105]
	v_fmac_f64_e32 v[22:23], 0, v[104:105]
	v_fmac_f64_e32 v[14:15], 0x80000000, v[106:107]
	v_fmac_f64_e32 v[10:11], v[100:101], v[106:107]
	v_fmac_f64_e32 v[18:19], 0x80000000, v[106:107]
	v_fmac_f64_e32 v[16:17], v[102:103], v[106:107]
	v_fmac_f64_e32 v[24:25], 0x80000000, v[106:107]
	v_fmac_f64_e32 v[20:21], v[96:97], v[106:107]
	v_fmac_f64_e32 v[12:13], 0x80000000, v[106:107]
	v_fmac_f64_e32 v[22:23], v[98:99], v[106:107]
	;; [unrolled: 17-line block ×6, first 2 shown]
	s_and_not1_b32 exec_lo, exec_lo, s6
	s_cbranch_execnz .LBB141_31
; %bb.32:
	s_or_b32 exec_lo, exec_lo, s6
.LBB141_33:
	s_delay_alu instid0(SALU_CYCLE_1)
	s_or_b32 exec_lo, exec_lo, s2
.LBB141_34:
	s_delay_alu instid0(SALU_CYCLE_1)
	s_or_b32 exec_lo, exec_lo, s3
.LBB141_35:
	v_mbcnt_lo_u32_b32 v1, -1, 0
	s_delay_alu instid0(VALU_DEP_1) | instskip(NEXT) | instid1(VALU_DEP_1)
	v_xor_b32_e32 v27, 4, v1
	v_cmp_gt_i32_e32 vcc_lo, 32, v27
	v_cndmask_b32_e32 v27, v1, v27, vcc_lo
	s_delay_alu instid0(VALU_DEP_1)
	v_lshlrev_b32_e32 v27, 2, v27
	ds_bpermute_b32 v32, v27, v18
	ds_bpermute_b32 v33, v27, v19
	s_wait_dscnt 0x0
	v_add_f64_e32 v[18:19], v[18:19], v[32:33]
	ds_bpermute_b32 v28, v27, v14
	ds_bpermute_b32 v29, v27, v15
	;; [unrolled: 1-line block ×14, first 2 shown]
	s_wait_dscnt 0xc
	v_add_f64_e32 v[14:15], v[14:15], v[28:29]
	s_wait_dscnt 0xa
	v_dual_add_f64 v[28:29], v[10:11], v[30:31] :: v_dual_bitop2_b32 v10, 2, v1 bitop3:0x14
	s_wait_dscnt 0x8
	v_add_f64_e32 v[22:23], v[22:23], v[42:43]
	s_wait_dscnt 0x6
	v_add_f64_e32 v[16:17], v[16:17], v[34:35]
	v_cmp_gt_i32_e32 vcc_lo, 32, v10
	s_wait_dscnt 0x2
	v_add_f64_e32 v[20:21], v[20:21], v[38:39]
	s_wait_dscnt 0x0
	v_add_f64_e32 v[34:35], v[12:13], v[40:41]
	v_cndmask_b32_e32 v10, v1, v10, vcc_lo
	s_delay_alu instid0(VALU_DEP_1)
	v_dual_add_f64 v[32:33], v[24:25], v[36:37] :: v_dual_lshlrev_b32 v27, 2, v10
	ds_bpermute_b32 v24, v27, v18
	ds_bpermute_b32 v25, v27, v19
	;; [unrolled: 1-line block ×14, first 2 shown]
	s_wait_dscnt 0xa
	v_add_f64_e32 v[10:11], v[14:15], v[10:11]
	s_wait_dscnt 0x8
	v_add_f64_e32 v[30:31], v[28:29], v[12:13]
	v_add_f64_e32 v[12:13], v[18:19], v[24:25]
	s_wait_dscnt 0x6
	v_add_f64_e32 v[18:19], v[22:23], v[44:45]
	v_xor_b32_e32 v22, 1, v1
	ds_bpermute_b32 v40, v27, v20
	ds_bpermute_b32 v41, v27, v21
	s_wait_dscnt 0x6
	v_add_f64_e32 v[24:25], v[16:17], v[36:37]
	v_cmp_gt_i32_e32 vcc_lo, 32, v22
	s_wait_dscnt 0x4
	v_add_f64_e32 v[16:17], v[34:35], v[42:43]
	s_wait_dscnt 0x2
	v_add_f64_e32 v[14:15], v[32:33], v[38:39]
	v_cndmask_b32_e32 v1, v1, v22, vcc_lo
	v_cmp_eq_u32_e32 vcc_lo, 7, v0
	s_delay_alu instid0(VALU_DEP_2)
	v_lshlrev_b32_e32 v1, 2, v1
	s_wait_dscnt 0x0
	v_add_f64_e32 v[20:21], v[20:21], v[40:41]
	ds_bpermute_b32 v22, v1, v10
	ds_bpermute_b32 v23, v1, v11
	;; [unrolled: 1-line block ×16, first 2 shown]
	s_and_b32 exec_lo, exec_lo, vcc_lo
	s_cbranch_execz .LBB141_8
; %bb.36:
	s_wait_dscnt 0xc
	v_add_f64_e32 v[0:1], v[30:31], v[42:43]
	s_wait_dscnt 0x6
	v_add_f64_e32 v[30:31], v[24:25], v[40:41]
	;; [unrolled: 2-line block ×3, first 2 shown]
	v_add_f64_e32 v[36:37], v[18:19], v[36:37]
	v_add_f64_e32 v[40:41], v[10:11], v[22:23]
	;; [unrolled: 1-line block ×5, first 2 shown]
	v_cmp_eq_f64_e32 vcc_lo, 0, v[2:3]
	v_cmp_eq_f64_e64 s2, 0, v[4:5]
	s_load_b64 s[0:1], s[0:1], 0x60
	v_mul_f64_e64 v[22:23], v[0:1], -v[8:9]
	v_mul_f64_e32 v[24:25], v[6:7], v[0:1]
	v_mul_f64_e64 v[14:15], v[38:39], -v[8:9]
	v_mul_f64_e32 v[16:17], v[6:7], v[38:39]
	v_mul_f64_e64 v[10:11], v[36:37], -v[8:9]
	v_dual_mul_f64 v[12:13], v[6:7], v[36:37] :: v_dual_lshlrev_b32 v0, 2, v26
	v_mul_f64_e64 v[18:19], v[30:31], -v[8:9]
	v_mul_f64_e32 v[20:21], v[6:7], v[30:31]
	s_and_b32 s2, vcc_lo, s2
	v_fmac_f64_e32 v[22:23], v[6:7], v[40:41]
	v_fmac_f64_e32 v[24:25], v[8:9], v[40:41]
	;; [unrolled: 1-line block ×8, first 2 shown]
	s_and_saveexec_b32 s3, s2
	s_delay_alu instid0(SALU_CYCLE_1)
	s_xor_b32 s2, exec_lo, s3
	s_cbranch_execz .LBB141_38
; %bb.37:
	s_wait_kmcnt 0x0
	s_clause 0x3
	global_store_b128 v0, v[22:25], s[0:1] scale_offset
	global_store_b128 v0, v[18:21], s[0:1] offset:16 scale_offset
	global_store_b128 v0, v[14:17], s[0:1] offset:32 scale_offset
	global_store_b128 v0, v[10:13], s[0:1] offset:48 scale_offset
                                        ; implicit-def: $vgpr4_vgpr5
                                        ; implicit-def: $vgpr22_vgpr23
                                        ; implicit-def: $vgpr0
                                        ; implicit-def: $vgpr18_vgpr19
                                        ; implicit-def: $vgpr14_vgpr15
                                        ; implicit-def: $vgpr10_vgpr11
.LBB141_38:
	s_wait_xcnt 0x0
	s_and_not1_saveexec_b32 s2, s2
	s_cbranch_execz .LBB141_8
; %bb.39:
	s_wait_kmcnt 0x0
	s_clause 0x3
	global_load_b128 v[6:9], v0, s[0:1] scale_offset
	global_load_b128 v[26:29], v0, s[0:1] offset:16 scale_offset
	global_load_b128 v[30:33], v0, s[0:1] offset:32 scale_offset
	;; [unrolled: 1-line block ×3, first 2 shown]
	s_wait_loadcnt 0x3
	v_fmac_f64_e32 v[22:23], v[2:3], v[6:7]
	v_fmac_f64_e32 v[24:25], v[4:5], v[6:7]
	s_wait_loadcnt 0x2
	v_fmac_f64_e32 v[18:19], v[2:3], v[26:27]
	v_fmac_f64_e32 v[20:21], v[4:5], v[26:27]
	;; [unrolled: 3-line block ×4, first 2 shown]
	v_fma_f64 v[22:23], -v[4:5], v[8:9], v[22:23]
	v_fmac_f64_e32 v[24:25], v[2:3], v[8:9]
	v_fma_f64 v[18:19], -v[4:5], v[28:29], v[18:19]
	v_fmac_f64_e32 v[20:21], v[2:3], v[28:29]
	;; [unrolled: 2-line block ×4, first 2 shown]
	s_clause 0x3
	global_store_b128 v0, v[22:25], s[0:1] scale_offset
	global_store_b128 v0, v[18:21], s[0:1] offset:16 scale_offset
	global_store_b128 v0, v[14:17], s[0:1] offset:32 scale_offset
	;; [unrolled: 1-line block ×3, first 2 shown]
	s_sendmsg sendmsg(MSG_DEALLOC_VGPRS)
	s_endpgm
	.section	.rodata,"a",@progbits
	.p2align	6, 0x0
	.amdhsa_kernel _ZN9rocsparseL18bsrxmvn_4x4_kernelILj128ELj8E21rocsparse_complex_numIdElidS2_S2_EEvT3_20rocsparse_direction_NS_24const_host_device_scalarIT1_EES3_PKS3_PKT2_SC_S9_PKT4_PKT5_S7_PT6_21rocsparse_index_base_b
		.amdhsa_group_segment_fixed_size 0
		.amdhsa_private_segment_fixed_size 0
		.amdhsa_kernarg_size 112
		.amdhsa_user_sgpr_count 2
		.amdhsa_user_sgpr_dispatch_ptr 0
		.amdhsa_user_sgpr_queue_ptr 0
		.amdhsa_user_sgpr_kernarg_segment_ptr 1
		.amdhsa_user_sgpr_dispatch_id 0
		.amdhsa_user_sgpr_kernarg_preload_length 0
		.amdhsa_user_sgpr_kernarg_preload_offset 0
		.amdhsa_user_sgpr_private_segment_size 0
		.amdhsa_wavefront_size32 1
		.amdhsa_uses_dynamic_stack 0
		.amdhsa_enable_private_segment 0
		.amdhsa_system_sgpr_workgroup_id_x 1
		.amdhsa_system_sgpr_workgroup_id_y 0
		.amdhsa_system_sgpr_workgroup_id_z 0
		.amdhsa_system_sgpr_workgroup_info 0
		.amdhsa_system_vgpr_workitem_id 0
		.amdhsa_next_free_vgpr 141
		.amdhsa_next_free_sgpr 14
		.amdhsa_named_barrier_count 0
		.amdhsa_reserve_vcc 1
		.amdhsa_float_round_mode_32 0
		.amdhsa_float_round_mode_16_64 0
		.amdhsa_float_denorm_mode_32 3
		.amdhsa_float_denorm_mode_16_64 3
		.amdhsa_fp16_overflow 0
		.amdhsa_memory_ordered 1
		.amdhsa_forward_progress 1
		.amdhsa_inst_pref_size 60
		.amdhsa_round_robin_scheduling 0
		.amdhsa_exception_fp_ieee_invalid_op 0
		.amdhsa_exception_fp_denorm_src 0
		.amdhsa_exception_fp_ieee_div_zero 0
		.amdhsa_exception_fp_ieee_overflow 0
		.amdhsa_exception_fp_ieee_underflow 0
		.amdhsa_exception_fp_ieee_inexact 0
		.amdhsa_exception_int_div_zero 0
	.end_amdhsa_kernel
	.section	.text._ZN9rocsparseL18bsrxmvn_4x4_kernelILj128ELj8E21rocsparse_complex_numIdElidS2_S2_EEvT3_20rocsparse_direction_NS_24const_host_device_scalarIT1_EES3_PKS3_PKT2_SC_S9_PKT4_PKT5_S7_PT6_21rocsparse_index_base_b,"axG",@progbits,_ZN9rocsparseL18bsrxmvn_4x4_kernelILj128ELj8E21rocsparse_complex_numIdElidS2_S2_EEvT3_20rocsparse_direction_NS_24const_host_device_scalarIT1_EES3_PKS3_PKT2_SC_S9_PKT4_PKT5_S7_PT6_21rocsparse_index_base_b,comdat
.Lfunc_end141:
	.size	_ZN9rocsparseL18bsrxmvn_4x4_kernelILj128ELj8E21rocsparse_complex_numIdElidS2_S2_EEvT3_20rocsparse_direction_NS_24const_host_device_scalarIT1_EES3_PKS3_PKT2_SC_S9_PKT4_PKT5_S7_PT6_21rocsparse_index_base_b, .Lfunc_end141-_ZN9rocsparseL18bsrxmvn_4x4_kernelILj128ELj8E21rocsparse_complex_numIdElidS2_S2_EEvT3_20rocsparse_direction_NS_24const_host_device_scalarIT1_EES3_PKS3_PKT2_SC_S9_PKT4_PKT5_S7_PT6_21rocsparse_index_base_b
                                        ; -- End function
	.set _ZN9rocsparseL18bsrxmvn_4x4_kernelILj128ELj8E21rocsparse_complex_numIdElidS2_S2_EEvT3_20rocsparse_direction_NS_24const_host_device_scalarIT1_EES3_PKS3_PKT2_SC_S9_PKT4_PKT5_S7_PT6_21rocsparse_index_base_b.num_vgpr, 141
	.set _ZN9rocsparseL18bsrxmvn_4x4_kernelILj128ELj8E21rocsparse_complex_numIdElidS2_S2_EEvT3_20rocsparse_direction_NS_24const_host_device_scalarIT1_EES3_PKS3_PKT2_SC_S9_PKT4_PKT5_S7_PT6_21rocsparse_index_base_b.num_agpr, 0
	.set _ZN9rocsparseL18bsrxmvn_4x4_kernelILj128ELj8E21rocsparse_complex_numIdElidS2_S2_EEvT3_20rocsparse_direction_NS_24const_host_device_scalarIT1_EES3_PKS3_PKT2_SC_S9_PKT4_PKT5_S7_PT6_21rocsparse_index_base_b.numbered_sgpr, 14
	.set _ZN9rocsparseL18bsrxmvn_4x4_kernelILj128ELj8E21rocsparse_complex_numIdElidS2_S2_EEvT3_20rocsparse_direction_NS_24const_host_device_scalarIT1_EES3_PKS3_PKT2_SC_S9_PKT4_PKT5_S7_PT6_21rocsparse_index_base_b.num_named_barrier, 0
	.set _ZN9rocsparseL18bsrxmvn_4x4_kernelILj128ELj8E21rocsparse_complex_numIdElidS2_S2_EEvT3_20rocsparse_direction_NS_24const_host_device_scalarIT1_EES3_PKS3_PKT2_SC_S9_PKT4_PKT5_S7_PT6_21rocsparse_index_base_b.private_seg_size, 0
	.set _ZN9rocsparseL18bsrxmvn_4x4_kernelILj128ELj8E21rocsparse_complex_numIdElidS2_S2_EEvT3_20rocsparse_direction_NS_24const_host_device_scalarIT1_EES3_PKS3_PKT2_SC_S9_PKT4_PKT5_S7_PT6_21rocsparse_index_base_b.uses_vcc, 1
	.set _ZN9rocsparseL18bsrxmvn_4x4_kernelILj128ELj8E21rocsparse_complex_numIdElidS2_S2_EEvT3_20rocsparse_direction_NS_24const_host_device_scalarIT1_EES3_PKS3_PKT2_SC_S9_PKT4_PKT5_S7_PT6_21rocsparse_index_base_b.uses_flat_scratch, 0
	.set _ZN9rocsparseL18bsrxmvn_4x4_kernelILj128ELj8E21rocsparse_complex_numIdElidS2_S2_EEvT3_20rocsparse_direction_NS_24const_host_device_scalarIT1_EES3_PKS3_PKT2_SC_S9_PKT4_PKT5_S7_PT6_21rocsparse_index_base_b.has_dyn_sized_stack, 0
	.set _ZN9rocsparseL18bsrxmvn_4x4_kernelILj128ELj8E21rocsparse_complex_numIdElidS2_S2_EEvT3_20rocsparse_direction_NS_24const_host_device_scalarIT1_EES3_PKS3_PKT2_SC_S9_PKT4_PKT5_S7_PT6_21rocsparse_index_base_b.has_recursion, 0
	.set _ZN9rocsparseL18bsrxmvn_4x4_kernelILj128ELj8E21rocsparse_complex_numIdElidS2_S2_EEvT3_20rocsparse_direction_NS_24const_host_device_scalarIT1_EES3_PKS3_PKT2_SC_S9_PKT4_PKT5_S7_PT6_21rocsparse_index_base_b.has_indirect_call, 0
	.section	.AMDGPU.csdata,"",@progbits
; Kernel info:
; codeLenInByte = 7640
; TotalNumSgprs: 16
; NumVgprs: 141
; ScratchSize: 0
; MemoryBound: 0
; FloatMode: 240
; IeeeMode: 1
; LDSByteSize: 0 bytes/workgroup (compile time only)
; SGPRBlocks: 0
; VGPRBlocks: 8
; NumSGPRsForWavesPerEU: 16
; NumVGPRsForWavesPerEU: 141
; NamedBarCnt: 0
; Occupancy: 7
; WaveLimiterHint : 1
; COMPUTE_PGM_RSRC2:SCRATCH_EN: 0
; COMPUTE_PGM_RSRC2:USER_SGPR: 2
; COMPUTE_PGM_RSRC2:TRAP_HANDLER: 0
; COMPUTE_PGM_RSRC2:TGID_X_EN: 1
; COMPUTE_PGM_RSRC2:TGID_Y_EN: 0
; COMPUTE_PGM_RSRC2:TGID_Z_EN: 0
; COMPUTE_PGM_RSRC2:TIDIG_COMP_CNT: 0
	.section	.text._ZN9rocsparseL18bsrxmvn_4x4_kernelILj128ELj16E21rocsparse_complex_numIdElidS2_S2_EEvT3_20rocsparse_direction_NS_24const_host_device_scalarIT1_EES3_PKS3_PKT2_SC_S9_PKT4_PKT5_S7_PT6_21rocsparse_index_base_b,"axG",@progbits,_ZN9rocsparseL18bsrxmvn_4x4_kernelILj128ELj16E21rocsparse_complex_numIdElidS2_S2_EEvT3_20rocsparse_direction_NS_24const_host_device_scalarIT1_EES3_PKS3_PKT2_SC_S9_PKT4_PKT5_S7_PT6_21rocsparse_index_base_b,comdat
	.globl	_ZN9rocsparseL18bsrxmvn_4x4_kernelILj128ELj16E21rocsparse_complex_numIdElidS2_S2_EEvT3_20rocsparse_direction_NS_24const_host_device_scalarIT1_EES3_PKS3_PKT2_SC_S9_PKT4_PKT5_S7_PT6_21rocsparse_index_base_b ; -- Begin function _ZN9rocsparseL18bsrxmvn_4x4_kernelILj128ELj16E21rocsparse_complex_numIdElidS2_S2_EEvT3_20rocsparse_direction_NS_24const_host_device_scalarIT1_EES3_PKS3_PKT2_SC_S9_PKT4_PKT5_S7_PT6_21rocsparse_index_base_b
	.p2align	8
	.type	_ZN9rocsparseL18bsrxmvn_4x4_kernelILj128ELj16E21rocsparse_complex_numIdElidS2_S2_EEvT3_20rocsparse_direction_NS_24const_host_device_scalarIT1_EES3_PKS3_PKT2_SC_S9_PKT4_PKT5_S7_PT6_21rocsparse_index_base_b,@function
_ZN9rocsparseL18bsrxmvn_4x4_kernelILj128ELj16E21rocsparse_complex_numIdElidS2_S2_EEvT3_20rocsparse_direction_NS_24const_host_device_scalarIT1_EES3_PKS3_PKT2_SC_S9_PKT4_PKT5_S7_PT6_21rocsparse_index_base_b: ; @_ZN9rocsparseL18bsrxmvn_4x4_kernelILj128ELj16E21rocsparse_complex_numIdElidS2_S2_EEvT3_20rocsparse_direction_NS_24const_host_device_scalarIT1_EES3_PKS3_PKT2_SC_S9_PKT4_PKT5_S7_PT6_21rocsparse_index_base_b
; %bb.0:
	s_clause 0x1
	s_load_b64 s[12:13], s[0:1], 0x68
	s_load_b64 s[2:3], s[0:1], 0x8
	v_mov_b32_e32 v1, 0
	s_add_nc_u64 s[4:5], s[0:1], 8
	s_load_b64 s[6:7], s[0:1], 0x50
	s_wait_kmcnt 0x0
	s_bitcmp1_b32 s13, 0
	s_cselect_b32 s3, s5, s3
	s_cselect_b32 s2, s4, s2
	flat_load_b128 v[6:9], v1, s[2:3]
	s_wait_xcnt 0x0
	s_add_nc_u64 s[2:3], s[0:1], 0x50
	s_delay_alu instid0(SALU_CYCLE_1)
	s_cselect_b32 s3, s3, s7
	s_cselect_b32 s2, s2, s6
	flat_load_b128 v[2:5], v1, s[2:3]
	s_wait_loadcnt_dscnt 0x101
	v_cmp_eq_f64_e32 vcc_lo, 0, v[6:7]
	s_wait_xcnt 0x0
	v_cmp_eq_f64_e64 s2, 0, v[8:9]
	s_and_b32 s4, vcc_lo, s2
	s_mov_b32 s2, -1
	s_and_saveexec_b32 s3, s4
	s_cbranch_execz .LBB142_2
; %bb.1:
	s_wait_loadcnt_dscnt 0x0
	v_cmp_neq_f64_e32 vcc_lo, 1.0, v[2:3]
	v_cmp_neq_f64_e64 s2, 0, v[4:5]
	s_or_b32 s2, vcc_lo, s2
	s_delay_alu instid0(SALU_CYCLE_1)
	s_or_not1_b32 s2, s2, exec_lo
.LBB142_2:
	s_or_b32 exec_lo, exec_lo, s3
	s_and_saveexec_b32 s3, s2
	s_cbranch_execz .LBB142_8
; %bb.3:
	s_clause 0x1
	s_load_b64 s[4:5], s[0:1], 0x20
	s_load_b64 s[2:3], s[0:1], 0x0
	s_bfe_u32 s6, ttmp6, 0x4000c
	s_and_b32 s7, ttmp6, 15
	s_add_co_i32 s6, s6, 1
	s_getreg_b32 s8, hwreg(HW_REG_IB_STS2, 6, 4)
	s_mul_i32 s6, ttmp9, s6
	v_lshrrev_b32_e32 v1, 4, v0
	s_add_co_i32 s7, s7, s6
	s_cmp_eq_u32 s8, 0
	s_cselect_b32 s6, ttmp9, s7
	s_delay_alu instid0(VALU_DEP_1) | instid1(SALU_CYCLE_1)
	v_lshl_or_b32 v26, s6, 3, v1
	s_mov_b32 s6, 0
	s_wait_kmcnt 0x0
	s_cmp_lg_u64 s[4:5], 0
	s_cbranch_scc0 .LBB142_9
; %bb.4:
	s_load_b32 s6, s[0:1], 0x18
	s_mov_b32 s7, 0
                                        ; implicit-def: $vgpr1
	s_wait_kmcnt 0x0
	v_cmp_gt_i32_e32 vcc_lo, s6, v26
	s_mov_b32 s6, 0
	s_and_saveexec_b32 s8, vcc_lo
	s_delay_alu instid0(SALU_CYCLE_1)
	s_xor_b32 s8, exec_lo, s8
	s_cbranch_execz .LBB142_6
; %bb.5:
	global_load_b32 v1, v26, s[4:5] scale_offset
	s_mov_b32 s6, exec_lo
	s_wait_loadcnt 0x0
	v_subrev_nc_u32_e32 v1, s12, v1
.LBB142_6:
	s_or_b32 exec_lo, exec_lo, s8
	s_delay_alu instid0(SALU_CYCLE_1)
	s_and_b32 vcc_lo, exec_lo, s7
	s_cbranch_vccz .LBB142_10
.LBB142_7:
	v_cmp_gt_i32_e32 vcc_lo, s2, v26
	s_and_not1_b32 s2, s6, exec_lo
	s_and_b32 s4, vcc_lo, exec_lo
	s_delay_alu instid0(SALU_CYCLE_1) | instskip(NEXT) | instid1(SALU_CYCLE_1)
	s_or_b32 s6, s2, s4
	s_and_b32 exec_lo, exec_lo, s6
	s_cbranch_execnz .LBB142_11
.LBB142_8:
	s_sendmsg sendmsg(MSG_DEALLOC_VGPRS)
	s_endpgm
.LBB142_9:
                                        ; implicit-def: $vgpr1
	s_cbranch_execnz .LBB142_7
.LBB142_10:
	s_delay_alu instid0(VALU_DEP_1)
	v_mov_b32_e32 v26, v1
	s_and_b32 exec_lo, exec_lo, s6
	s_cbranch_execz .LBB142_8
.LBB142_11:
	s_load_b256 s[4:11], s[0:1], 0x28
	s_mov_b32 s13, 0
	v_dual_mov_b32 v1, 0 :: v_dual_bitop2_b32 v0, 15, v0 bitop3:0x40
	s_wait_kmcnt 0x0
	s_cmp_eq_u64 s[6:7], 0
	global_load_b64 v[34:35], v26, s[4:5] scale_offset
	s_cselect_b32 vcc_lo, -1, 0
	v_ashrrev_i32_e32 v27, 31, v26
	s_cmp_eq_u32 s3, 1
	s_delay_alu instid0(VALU_DEP_1) | instskip(NEXT) | instid1(VALU_DEP_1)
	v_lshlrev_b64_e32 v[10:11], 3, v[26:27]
	v_add_nc_u64_e32 v[12:13], s[4:5], v[10:11]
	v_add_nc_u64_e32 v[10:11], s[6:7], v[10:11]
	s_wait_xcnt 0x0
	s_load_b64 s[4:5], s[0:1], 0x48
	s_delay_alu instid0(VALU_DEP_2) | instskip(NEXT) | instid1(VALU_DEP_1)
	v_add_nc_u64_e32 v[12:13], 8, v[12:13]
	v_dual_cndmask_b32 v11, v11, v13 :: v_dual_cndmask_b32 v10, v10, v12
	global_load_b64 v[10:11], v[10:11], off
	s_wait_loadcnt 0x1
	v_sub_nc_u64_e64 v[12:13], v[34:35], s[12:13]
	s_delay_alu instid0(VALU_DEP_1) | instskip(NEXT) | instid1(VALU_DEP_1)
	v_add_nc_u64_e32 v[28:29], v[12:13], v[0:1]
	v_lshlrev_b64_e32 v[12:13], 7, v[28:29]
	s_delay_alu instid0(VALU_DEP_1) | instskip(SKIP_2) | instid1(VALU_DEP_1)
	v_add_nc_u64_e32 v[32:33], s[10:11], v[12:13]
	s_wait_loadcnt 0x0
	v_sub_nc_u64_e64 v[30:31], v[10:11], s[12:13]
	v_cmp_lt_i64_e64 s2, v[28:29], v[30:31]
	s_cbranch_scc1 .LBB142_23
; %bb.12:
	v_mov_b64_e32 v[10:11], 0
	v_mov_b64_e32 v[14:15], 0
	;; [unrolled: 1-line block ×8, first 2 shown]
	s_and_saveexec_b32 s3, s2
	s_cbranch_execz .LBB142_22
; %bb.13:
	v_dual_mov_b32 v11, v1 :: v_dual_bitop2_b32 v10, 16, v0 bitop3:0x54
	v_sub_nc_u64_e32 v[12:13], s[12:13], v[0:1]
	v_not_b32_e32 v15, v35
	v_not_b32_e32 v14, v34
	v_mov_b64_e32 v[22:23], 0
	v_sub_nc_u64_e64 v[10:11], v[10:11], s[12:13]
	v_mov_b64_e32 v[24:25], 0
	v_mov_b64_e32 v[20:21], 0
	v_add_nc_u64_e32 v[12:13], v[12:13], v[14:15]
	v_mov_b64_e32 v[18:19], 0
	v_mov_b64_e32 v[16:17], 0
	v_mov_b64_e32 v[14:15], 0
	v_add_nc_u64_e32 v[10:11], v[10:11], v[34:35]
	v_mov_b64_e32 v[36:37], v[32:33]
	v_mov_b64_e32 v[38:39], v[28:29]
	s_mov_b32 s6, exec_lo
	s_delay_alu instid0(VALU_DEP_3) | instskip(NEXT) | instid1(VALU_DEP_1)
	v_max_i64 v[10:11], v[10:11], v[30:31]
	v_add_nc_u64_e32 v[40:41], v[12:13], v[10:11]
	v_mov_b64_e32 v[12:13], 0
	v_mov_b64_e32 v[10:11], 0
	s_delay_alu instid0(VALU_DEP_3) | instskip(NEXT) | instid1(VALU_DEP_1)
	v_dual_mov_b32 v45, 0 :: v_dual_bitop2_b32 v44, 48, v40 bitop3:0x40
	v_cmpx_ne_u64_e32 48, v[44:45]
	s_cbranch_execz .LBB142_17
; %bb.14:
	v_lshrrev_b32_e32 v10, 4, v40
	v_mov_b64_e32 v[14:15], 0
	v_mov_b64_e32 v[16:17], 0
	v_mov_b64_e32 v[18:19], 0
	v_mov_b64_e32 v[20:21], 0
	v_add_nc_u32_e32 v12, 1, v10
	v_mov_b64_e32 v[10:11], 0
	v_mov_b64_e32 v[24:25], 0
	;; [unrolled: 1-line block ×4, first 2 shown]
	v_and_b32_e32 v44, 3, v12
	v_mov_b64_e32 v[12:13], 0
	v_mov_b64_e32 v[36:37], v[32:33]
	v_lshl_add_u64 v[42:43], v[28:29], 2, s[8:9]
	s_mov_b32 s7, 0
	v_sub_nc_u64_e32 v[44:45], 0, v[44:45]
.LBB142_15:                             ; =>This Inner Loop Header: Depth=1
	global_load_b32 v27, v[42:43], off
	s_clause 0x6
	global_load_b128 v[46:49], v[36:37], off offset:48
	global_load_b128 v[50:53], v[36:37], off offset:32
	;; [unrolled: 1-line block ×3, first 2 shown]
	global_load_b128 v[58:61], v[36:37], off
	global_load_b128 v[62:65], v[36:37], off offset:112
	global_load_b128 v[66:69], v[36:37], off offset:96
	;; [unrolled: 1-line block ×3, first 2 shown]
	v_add_nc_u64_e32 v[44:45], 1, v[44:45]
	v_add_nc_u64_e32 v[38:39], 16, v[38:39]
	s_wait_xcnt 0x7
	v_add_nc_u64_e32 v[42:43], 64, v[42:43]
	s_delay_alu instid0(VALU_DEP_3) | instskip(SKIP_3) | instid1(VALU_DEP_1)
	v_cmp_eq_u64_e32 vcc_lo, 0, v[44:45]
	s_or_b32 s7, vcc_lo, s7
	s_wait_loadcnt 0x7
	v_subrev_nc_u32_e32 v27, s12, v27
	v_lshlrev_b32_e32 v27, 2, v27
	s_wait_kmcnt 0x0
	s_clause 0x1
	global_load_b128 v[74:77], v27, s[4:5] scale_offset
	global_load_b128 v[78:81], v27, s[4:5] offset:16 scale_offset
	global_load_b128 v[82:85], v[36:37], off offset:80
	s_clause 0x1
	global_load_b128 v[86:89], v27, s[4:5] offset:32 scale_offset
	global_load_b128 v[90:93], v27, s[4:5] offset:48 scale_offset
	s_wait_xcnt 0x2
	v_add_nc_u64_e32 v[36:37], 0x800, v[36:37]
	s_wait_loadcnt 0x4
	v_fmac_f64_e32 v[14:15], v[58:59], v[74:75]
	v_fmac_f64_e32 v[10:11], 0, v[74:75]
	v_fmac_f64_e32 v[18:19], v[50:51], v[74:75]
	v_fmac_f64_e32 v[16:17], 0, v[74:75]
	v_fmac_f64_e32 v[24:25], v[70:71], v[74:75]
	v_fmac_f64_e32 v[20:21], 0, v[74:75]
	v_fmac_f64_e32 v[12:13], v[66:67], v[74:75]
	v_fmac_f64_e32 v[22:23], 0, v[74:75]
	v_fmac_f64_e32 v[14:15], 0x80000000, v[76:77]
	v_fmac_f64_e32 v[10:11], v[58:59], v[76:77]
	v_fmac_f64_e32 v[18:19], 0x80000000, v[76:77]
	v_fmac_f64_e32 v[16:17], v[50:51], v[76:77]
	v_fmac_f64_e32 v[24:25], 0x80000000, v[76:77]
	v_fmac_f64_e32 v[20:21], v[70:71], v[76:77]
	v_fmac_f64_e32 v[12:13], 0x80000000, v[76:77]
	v_fmac_f64_e32 v[22:23], v[66:67], v[76:77]
	s_wait_loadcnt 0x3
	v_fmac_f64_e32 v[14:15], v[60:61], v[78:79]
	v_fmac_f64_e32 v[10:11], 0, v[78:79]
	v_fmac_f64_e32 v[18:19], v[52:53], v[78:79]
	v_fmac_f64_e32 v[16:17], 0, v[78:79]
	v_fmac_f64_e32 v[24:25], v[72:73], v[78:79]
	v_fmac_f64_e32 v[20:21], 0, v[78:79]
	v_fmac_f64_e32 v[12:13], v[68:69], v[78:79]
	v_fmac_f64_e32 v[22:23], 0, v[78:79]
	v_fmac_f64_e32 v[14:15], 0x80000000, v[80:81]
	v_fmac_f64_e32 v[10:11], v[60:61], v[80:81]
	v_fmac_f64_e32 v[18:19], 0x80000000, v[80:81]
	v_fmac_f64_e32 v[16:17], v[52:53], v[80:81]
	v_fmac_f64_e32 v[24:25], 0x80000000, v[80:81]
	v_fmac_f64_e32 v[20:21], v[72:73], v[80:81]
	v_fmac_f64_e32 v[12:13], 0x80000000, v[80:81]
	v_fmac_f64_e32 v[22:23], v[68:69], v[80:81]
	;; [unrolled: 17-line block ×4, first 2 shown]
	s_and_not1_b32 exec_lo, exec_lo, s7
	s_cbranch_execnz .LBB142_15
; %bb.16:
	s_or_b32 exec_lo, exec_lo, s7
.LBB142_17:
	s_delay_alu instid0(SALU_CYCLE_1) | instskip(NEXT) | instid1(SALU_CYCLE_1)
	s_or_b32 exec_lo, exec_lo, s6
	s_mov_b32 s6, exec_lo
	v_cmpx_lt_u64_e32 47, v[40:41]
	s_cbranch_execz .LBB142_21
; %bb.18:
	v_lshl_add_u64 v[40:41], v[38:39], 2, s[8:9]
	s_mov_b32 s7, 0
	s_delay_alu instid0(VALU_DEP_1)
	v_add_nc_u64_e32 v[40:41], 0x80, v[40:41]
.LBB142_19:                             ; =>This Inner Loop Header: Depth=1
	s_clause 0x1
	global_load_b32 v27, v[40:41], off offset:-128
	global_load_b32 v122, v[40:41], off offset:-64
	s_clause 0x11
	global_load_b128 v[42:45], v[36:37], off offset:48
	global_load_b128 v[46:49], v[36:37], off offset:32
	;; [unrolled: 1-line block ×3, first 2 shown]
	global_load_b128 v[54:57], v[36:37], off
	global_load_b128 v[58:61], v[36:37], off offset:112
	global_load_b128 v[62:65], v[36:37], off offset:96
	;; [unrolled: 1-line block ×14, first 2 shown]
	s_clause 0x1
	global_load_b32 v138, v[40:41], off
	global_load_b32 v139, v[40:41], off offset:64
	s_clause 0x1
	global_load_b128 v[114:117], v[36:37], off offset:4112
	global_load_b128 v[118:121], v[36:37], off offset:4096
	v_add_nc_u64_e32 v[38:39], 64, v[38:39]
	s_wait_xcnt 0x2
	v_add_nc_u64_e32 v[40:41], 0x100, v[40:41]
	s_delay_alu instid0(VALU_DEP_2)
	v_cmp_ge_i64_e32 vcc_lo, v[38:39], v[30:31]
	s_or_b32 s7, vcc_lo, s7
	s_wait_loadcnt 0x17
	v_subrev_nc_u32_e32 v27, s12, v27
	s_wait_loadcnt 0x16
	v_subrev_nc_u32_e32 v122, s12, v122
	s_delay_alu instid0(VALU_DEP_1)
	v_dual_lshlrev_b32 v27, 2, v27 :: v_dual_lshlrev_b32 v140, 2, v122
	s_wait_kmcnt 0x0
	s_clause 0x3
	global_load_b128 v[122:125], v27, s[4:5] scale_offset
	global_load_b128 v[126:129], v27, s[4:5] offset:16 scale_offset
	global_load_b128 v[130:133], v27, s[4:5] offset:32 scale_offset
	;; [unrolled: 1-line block ×3, first 2 shown]
	s_wait_loadcnt 0x7
	s_wait_xcnt 0x0
	v_subrev_nc_u32_e32 v27, s12, v138
	s_delay_alu instid0(VALU_DEP_1)
	v_lshlrev_b32_e32 v27, 2, v27
	s_wait_loadcnt 0x3
	v_fmac_f64_e32 v[10:11], 0, v[122:123]
	v_fmac_f64_e32 v[14:15], v[54:55], v[122:123]
	;; [unrolled: 1-line block ×16, first 2 shown]
	global_load_b128 v[122:125], v140, s[4:5] scale_offset
	s_wait_loadcnt 0x3
	v_fmac_f64_e32 v[10:11], 0, v[126:127]
	v_fmac_f64_e32 v[14:15], v[56:57], v[126:127]
	;; [unrolled: 1-line block ×12, first 2 shown]
	global_load_b128 v[46:49], v140, s[4:5] offset:16 scale_offset
	v_fmac_f64_e32 v[20:21], v[72:73], v[128:129]
	v_fmac_f64_e32 v[24:25], 0x80000000, v[128:129]
	;; [unrolled: 1-line block ×4, first 2 shown]
	global_load_b128 v[126:129], v140, s[4:5] offset:32 scale_offset
	s_clause 0x2
	global_load_b128 v[54:57], v[36:37], off offset:4208
	global_load_b128 v[70:73], v[36:37], off offset:4192
	;; [unrolled: 1-line block ×3, first 2 shown]
	s_wait_loadcnt 0x7
	v_fmac_f64_e32 v[10:11], 0, v[130:131]
	v_fmac_f64_e32 v[14:15], v[50:51], v[130:131]
	v_fmac_f64_e32 v[18:19], v[42:43], v[130:131]
	v_fmac_f64_e32 v[16:17], 0, v[130:131]
	v_fmac_f64_e32 v[20:21], 0, v[130:131]
	v_fmac_f64_e32 v[24:25], v[66:67], v[130:131]
	v_fmac_f64_e32 v[22:23], 0, v[130:131]
	v_fmac_f64_e32 v[12:13], v[58:59], v[130:131]
	v_fmac_f64_e32 v[10:11], v[50:51], v[132:133]
	v_fmac_f64_e32 v[14:15], 0x80000000, v[132:133]
	v_fmac_f64_e32 v[18:19], 0x80000000, v[132:133]
	v_fmac_f64_e32 v[16:17], v[42:43], v[132:133]
	v_fmac_f64_e32 v[20:21], v[66:67], v[132:133]
	v_fmac_f64_e32 v[24:25], 0x80000000, v[132:133]
	v_fmac_f64_e32 v[22:23], v[58:59], v[132:133]
	v_fmac_f64_e32 v[12:13], 0x80000000, v[132:133]
	global_load_b128 v[130:133], v140, s[4:5] offset:48 scale_offset
	s_wait_loadcnt 0x7
	v_fmac_f64_e32 v[10:11], 0, v[134:135]
	v_fmac_f64_e32 v[14:15], v[52:53], v[134:135]
	;; [unrolled: 1-line block ×9, first 2 shown]
	global_load_b128 v[50:53], v[36:37], off offset:4160
	v_fmac_f64_e32 v[14:15], 0x80000000, v[136:137]
	v_fmac_f64_e32 v[16:17], v[44:45], v[136:137]
	global_load_b128 v[42:45], v27, s[4:5] scale_offset
	v_fmac_f64_e32 v[18:19], 0x80000000, v[136:137]
	v_fmac_f64_e32 v[24:25], 0x80000000, v[136:137]
	;; [unrolled: 1-line block ×5, first 2 shown]
	s_clause 0x1
	global_load_b128 v[58:61], v27, s[4:5] offset:16 scale_offset
	global_load_b128 v[66:69], v27, s[4:5] offset:32 scale_offset
	s_wait_loadcnt 0xa
	v_fmac_f64_e32 v[14:15], v[86:87], v[122:123]
	v_fmac_f64_e32 v[10:11], 0, v[122:123]
	;; [unrolled: 1-line block ×16, first 2 shown]
	s_wait_loadcnt 0x9
	v_fmac_f64_e32 v[14:15], v[88:89], v[46:47]
	v_fmac_f64_e32 v[10:11], 0, v[46:47]
	;; [unrolled: 1-line block ×16, first 2 shown]
	global_load_b128 v[46:49], v27, s[4:5] offset:48 scale_offset
	s_wait_xcnt 0x0
	v_subrev_nc_u32_e32 v27, s12, v139
	s_delay_alu instid0(VALU_DEP_1)
	v_lshlrev_b32_e32 v27, 2, v27
	s_wait_loadcnt 0x9
	v_fmac_f64_e32 v[14:15], v[82:83], v[126:127]
	v_fmac_f64_e32 v[10:11], 0, v[126:127]
	;; [unrolled: 1-line block ×16, first 2 shown]
	s_clause 0x5
	global_load_b128 v[78:81], v[36:37], off offset:6192
	global_load_b128 v[86:89], v[36:37], off offset:6176
	;; [unrolled: 1-line block ×6, first 2 shown]
	global_load_b128 v[134:137], v27, s[4:5] scale_offset
	s_wait_loadcnt 0xc
	v_fmac_f64_e32 v[14:15], v[84:85], v[130:131]
	v_fmac_f64_e32 v[10:11], 0, v[130:131]
	;; [unrolled: 1-line block ×16, first 2 shown]
	global_load_b128 v[74:77], v27, s[4:5] offset:16 scale_offset
	s_wait_loadcnt 0xb
	v_fmac_f64_e32 v[14:15], v[118:119], v[42:43]
	v_fmac_f64_e32 v[10:11], 0, v[42:43]
	v_fmac_f64_e32 v[18:19], v[110:111], v[42:43]
	v_fmac_f64_e32 v[16:17], 0, v[42:43]
	v_fmac_f64_e32 v[24:25], v[50:51], v[42:43]
	v_fmac_f64_e32 v[20:21], 0, v[42:43]
	v_fmac_f64_e32 v[12:13], v[70:71], v[42:43]
	v_fmac_f64_e32 v[22:23], 0, v[42:43]
	v_fmac_f64_e32 v[14:15], 0x80000000, v[44:45]
	v_fmac_f64_e32 v[10:11], v[118:119], v[44:45]
	v_fmac_f64_e32 v[18:19], 0x80000000, v[44:45]
	v_fmac_f64_e32 v[16:17], v[110:111], v[44:45]
	v_fmac_f64_e32 v[24:25], 0x80000000, v[44:45]
	v_fmac_f64_e32 v[20:21], v[50:51], v[44:45]
	v_fmac_f64_e32 v[12:13], 0x80000000, v[44:45]
	v_fmac_f64_e32 v[22:23], v[70:71], v[44:45]
	s_clause 0x1
	global_load_b128 v[42:45], v[36:37], off offset:6256
	global_load_b128 v[82:85], v[36:37], off offset:6224
	global_load_b128 v[90:93], v27, s[4:5] offset:32 scale_offset
	s_wait_xcnt 0x1
	v_add_nc_u64_e32 v[36:37], 0x2000, v[36:37]
	s_wait_loadcnt 0xd
	v_fmac_f64_e32 v[14:15], v[120:121], v[58:59]
	v_fmac_f64_e32 v[10:11], 0, v[58:59]
	;; [unrolled: 1-line block ×16, first 2 shown]
	global_load_b128 v[50:53], v27, s[4:5] offset:48 scale_offset
	s_wait_loadcnt 0xd
	v_fmac_f64_e32 v[14:15], v[114:115], v[66:67]
	v_fmac_f64_e32 v[10:11], 0, v[66:67]
	v_fmac_f64_e32 v[18:19], v[106:107], v[66:67]
	v_fmac_f64_e32 v[16:17], 0, v[66:67]
	v_fmac_f64_e32 v[24:25], v[62:63], v[66:67]
	v_fmac_f64_e32 v[20:21], 0, v[66:67]
	v_fmac_f64_e32 v[12:13], v[54:55], v[66:67]
	v_fmac_f64_e32 v[22:23], 0, v[66:67]
	v_fmac_f64_e32 v[14:15], 0x80000000, v[68:69]
	v_fmac_f64_e32 v[10:11], v[114:115], v[68:69]
	v_fmac_f64_e32 v[18:19], 0x80000000, v[68:69]
	v_fmac_f64_e32 v[16:17], v[106:107], v[68:69]
	v_fmac_f64_e32 v[24:25], 0x80000000, v[68:69]
	v_fmac_f64_e32 v[20:21], v[62:63], v[68:69]
	v_fmac_f64_e32 v[12:13], 0x80000000, v[68:69]
	v_fmac_f64_e32 v[22:23], v[54:55], v[68:69]
	s_wait_loadcnt 0xc
	v_fmac_f64_e32 v[14:15], v[116:117], v[46:47]
	v_fmac_f64_e32 v[10:11], 0, v[46:47]
	v_fmac_f64_e32 v[18:19], v[108:109], v[46:47]
	v_fmac_f64_e32 v[16:17], 0, v[46:47]
	v_fmac_f64_e32 v[24:25], v[64:65], v[46:47]
	v_fmac_f64_e32 v[20:21], 0, v[46:47]
	v_fmac_f64_e32 v[12:13], v[56:57], v[46:47]
	v_fmac_f64_e32 v[22:23], 0, v[46:47]
	v_fmac_f64_e32 v[14:15], 0x80000000, v[48:49]
	v_fmac_f64_e32 v[10:11], v[116:117], v[48:49]
	v_fmac_f64_e32 v[18:19], 0x80000000, v[48:49]
	v_fmac_f64_e32 v[16:17], v[108:109], v[48:49]
	v_fmac_f64_e32 v[24:25], 0x80000000, v[48:49]
	v_fmac_f64_e32 v[20:21], v[64:65], v[48:49]
	v_fmac_f64_e32 v[12:13], 0x80000000, v[48:49]
	v_fmac_f64_e32 v[22:23], v[56:57], v[48:49]
	;; [unrolled: 17-line block ×6, first 2 shown]
	s_and_not1_b32 exec_lo, exec_lo, s7
	s_cbranch_execnz .LBB142_19
; %bb.20:
	s_or_b32 exec_lo, exec_lo, s7
.LBB142_21:
	s_delay_alu instid0(SALU_CYCLE_1)
	s_or_b32 exec_lo, exec_lo, s6
.LBB142_22:
	s_delay_alu instid0(SALU_CYCLE_1)
	s_or_b32 exec_lo, exec_lo, s3
	s_cbranch_execz .LBB142_24
	s_branch .LBB142_35
.LBB142_23:
                                        ; implicit-def: $vgpr10_vgpr11
                                        ; implicit-def: $vgpr14_vgpr15
                                        ; implicit-def: $vgpr16_vgpr17
                                        ; implicit-def: $vgpr18_vgpr19
                                        ; implicit-def: $vgpr20_vgpr21
                                        ; implicit-def: $vgpr24_vgpr25
                                        ; implicit-def: $vgpr22_vgpr23
                                        ; implicit-def: $vgpr12_vgpr13
.LBB142_24:
	v_mov_b64_e32 v[10:11], 0
	v_mov_b64_e32 v[14:15], 0
	;; [unrolled: 1-line block ×8, first 2 shown]
	s_and_saveexec_b32 s3, s2
	s_cbranch_execz .LBB142_34
; %bb.25:
	v_dual_mov_b32 v11, v1 :: v_dual_bitop2_b32 v10, 16, v0 bitop3:0x54
	v_sub_nc_u64_e32 v[12:13], s[12:13], v[0:1]
	v_not_b32_e32 v15, v35
	v_not_b32_e32 v14, v34
	v_mov_b64_e32 v[22:23], 0
	v_sub_nc_u64_e64 v[10:11], v[10:11], s[12:13]
	v_mov_b64_e32 v[24:25], 0
	v_mov_b64_e32 v[20:21], 0
	v_add_nc_u64_e32 v[12:13], v[12:13], v[14:15]
	v_mov_b64_e32 v[18:19], 0
	v_mov_b64_e32 v[16:17], 0
	;; [unrolled: 1-line block ×3, first 2 shown]
	v_add_nc_u64_e32 v[10:11], v[10:11], v[34:35]
	s_mov_b32 s2, exec_lo
	s_delay_alu instid0(VALU_DEP_1) | instskip(NEXT) | instid1(VALU_DEP_1)
	v_max_i64 v[10:11], v[10:11], v[30:31]
	v_add_nc_u64_e32 v[34:35], v[12:13], v[10:11]
	v_mov_b64_e32 v[12:13], 0
	v_mov_b64_e32 v[10:11], 0
	s_delay_alu instid0(VALU_DEP_3) | instskip(NEXT) | instid1(VALU_DEP_1)
	v_dual_mov_b32 v37, 0 :: v_dual_bitop2_b32 v36, 48, v34 bitop3:0x40
	v_cmpx_ne_u64_e32 48, v[36:37]
	s_cbranch_execz .LBB142_29
; %bb.26:
	v_lshrrev_b32_e32 v1, 4, v34
	v_mov_b64_e32 v[10:11], 0
	v_mov_b64_e32 v[14:15], 0
	;; [unrolled: 1-line block ×4, first 2 shown]
	v_add_nc_u32_e32 v1, 1, v1
	v_mov_b64_e32 v[20:21], 0
	v_mov_b64_e32 v[24:25], 0
	;; [unrolled: 1-line block ×4, first 2 shown]
	v_and_b32_e32 v36, 3, v1
	v_lshl_add_u64 v[38:39], v[28:29], 2, s[8:9]
	s_mov_b32 s6, 0
	s_delay_alu instid0(VALU_DEP_2)
	v_sub_nc_u64_e32 v[36:37], 0, v[36:37]
.LBB142_27:                             ; =>This Inner Loop Header: Depth=1
	global_load_b32 v1, v[38:39], off
	s_clause 0x1
	global_load_b128 v[40:43], v[32:33], off offset:16
	global_load_b128 v[44:47], v[32:33], off
	v_add_nc_u64_e32 v[36:37], 1, v[36:37]
	v_add_nc_u64_e32 v[28:29], 16, v[28:29]
	s_wait_xcnt 0x2
	v_add_nc_u64_e32 v[38:39], 64, v[38:39]
	s_delay_alu instid0(VALU_DEP_3) | instskip(SKIP_3) | instid1(VALU_DEP_1)
	v_cmp_eq_u64_e32 vcc_lo, 0, v[36:37]
	s_or_b32 s6, vcc_lo, s6
	s_wait_loadcnt 0x2
	v_subrev_nc_u32_e32 v1, s12, v1
	v_lshlrev_b32_e32 v1, 2, v1
	s_wait_kmcnt 0x0
	s_clause 0x1
	global_load_b128 v[48:51], v1, s[4:5] scale_offset
	global_load_b128 v[52:55], v1, s[4:5] offset:16 scale_offset
	s_clause 0x3
	global_load_b128 v[56:59], v[32:33], off offset:32
	global_load_b128 v[60:63], v[32:33], off offset:48
	;; [unrolled: 1-line block ×4, first 2 shown]
	s_clause 0x1
	global_load_b128 v[72:75], v1, s[4:5] offset:32 scale_offset
	global_load_b128 v[76:79], v1, s[4:5] offset:48 scale_offset
	s_clause 0x1
	global_load_b128 v[80:83], v[32:33], off offset:96
	global_load_b128 v[84:87], v[32:33], off offset:112
	s_wait_xcnt 0x0
	v_add_nc_u64_e32 v[32:33], 0x800, v[32:33]
	s_wait_loadcnt 0x9
	v_fmac_f64_e32 v[14:15], v[44:45], v[48:49]
	v_fmac_f64_e32 v[10:11], 0, v[48:49]
	;; [unrolled: 1-line block ×16, first 2 shown]
	s_wait_loadcnt 0x7
	v_fmac_f64_e32 v[14:15], v[56:57], v[52:53]
	v_fmac_f64_e32 v[10:11], 0, v[52:53]
	;; [unrolled: 1-line block ×4, first 2 shown]
	s_wait_loadcnt 0x6
	v_fmac_f64_e32 v[24:25], v[60:61], v[52:53]
	v_fmac_f64_e32 v[20:21], 0, v[52:53]
	;; [unrolled: 1-line block ×12, first 2 shown]
	s_wait_loadcnt 0x3
	v_fmac_f64_e32 v[14:15], v[68:69], v[72:73]
	v_fmac_f64_e32 v[10:11], 0, v[72:73]
	;; [unrolled: 1-line block ×16, first 2 shown]
	s_wait_loadcnt 0x1
	v_fmac_f64_e32 v[14:15], v[80:81], v[76:77]
	v_fmac_f64_e32 v[10:11], 0, v[76:77]
	;; [unrolled: 1-line block ×4, first 2 shown]
	s_wait_loadcnt 0x0
	v_fmac_f64_e32 v[24:25], v[84:85], v[76:77]
	v_fmac_f64_e32 v[20:21], 0, v[76:77]
	;; [unrolled: 1-line block ×12, first 2 shown]
	s_and_not1_b32 exec_lo, exec_lo, s6
	s_cbranch_execnz .LBB142_27
; %bb.28:
	s_or_b32 exec_lo, exec_lo, s6
.LBB142_29:
	s_delay_alu instid0(SALU_CYCLE_1) | instskip(NEXT) | instid1(SALU_CYCLE_1)
	s_or_b32 exec_lo, exec_lo, s2
	s_mov_b32 s2, exec_lo
	v_cmpx_lt_u64_e32 47, v[34:35]
	s_cbranch_execz .LBB142_33
; %bb.30:
	v_lshl_add_u64 v[34:35], v[28:29], 2, s[8:9]
	s_mov_b32 s6, 0
	s_delay_alu instid0(VALU_DEP_1)
	v_add_nc_u64_e32 v[34:35], 0x80, v[34:35]
.LBB142_31:                             ; =>This Inner Loop Header: Depth=1
	s_clause 0x1
	global_load_b32 v1, v[34:35], off offset:-128
	global_load_b32 v27, v[34:35], off offset:-64
	s_clause 0x1
	global_load_b128 v[36:39], v[32:33], off offset:16
	global_load_b128 v[40:43], v[32:33], off
	s_clause 0x1
	global_load_b32 v108, v[34:35], off
	global_load_b32 v109, v[34:35], off offset:64
	v_add_nc_u64_e32 v[28:29], 64, v[28:29]
	s_wait_xcnt 0x0
	v_add_nc_u64_e32 v[34:35], 0x100, v[34:35]
	s_delay_alu instid0(VALU_DEP_2) | instskip(SKIP_3) | instid1(VALU_DEP_1)
	v_cmp_ge_i64_e32 vcc_lo, v[28:29], v[30:31]
	s_or_b32 s6, vcc_lo, s6
	s_wait_loadcnt 0x5
	v_subrev_nc_u32_e32 v1, s12, v1
	v_lshlrev_b32_e32 v1, 2, v1
	s_wait_kmcnt 0x0
	global_load_b128 v[44:47], v1, s[4:5] scale_offset
	s_clause 0x1
	global_load_b128 v[48:51], v[32:33], off offset:48
	global_load_b128 v[52:55], v[32:33], off offset:32
	global_load_b128 v[56:59], v1, s[4:5] offset:16 scale_offset
	s_clause 0x1
	global_load_b128 v[60:63], v[32:33], off offset:80
	global_load_b128 v[64:67], v[32:33], off offset:64
	global_load_b128 v[68:71], v1, s[4:5] offset:32 scale_offset
	;; [unrolled: 4-line block ×3, first 2 shown]
	s_clause 0x1
	global_load_b128 v[84:87], v[32:33], off offset:2064
	global_load_b128 v[88:91], v[32:33], off offset:2048
	s_wait_loadcnt 0x10
	s_wait_xcnt 0x2
	v_subrev_nc_u32_e32 v1, s12, v27
	s_delay_alu instid0(VALU_DEP_1)
	v_lshlrev_b32_e32 v1, 2, v1
	global_load_b128 v[92:95], v1, s[4:5] scale_offset
	s_clause 0x1
	global_load_b128 v[96:99], v[32:33], off offset:2096
	global_load_b128 v[100:103], v[32:33], off offset:2080
	global_load_b128 v[104:107], v1, s[4:5] offset:16 scale_offset
	s_wait_loadcnt 0xf
	v_fmac_f64_e32 v[14:15], v[40:41], v[44:45]
	v_fmac_f64_e32 v[10:11], 0, v[44:45]
	v_fmac_f64_e32 v[18:19], v[42:43], v[44:45]
	v_fmac_f64_e32 v[16:17], 0, v[44:45]
	v_fmac_f64_e32 v[24:25], v[36:37], v[44:45]
	v_fmac_f64_e32 v[20:21], 0, v[44:45]
	v_fmac_f64_e32 v[12:13], v[38:39], v[44:45]
	v_fmac_f64_e32 v[22:23], 0, v[44:45]
	v_fmac_f64_e32 v[14:15], 0x80000000, v[46:47]
	v_fmac_f64_e32 v[10:11], v[40:41], v[46:47]
	v_fmac_f64_e32 v[18:19], 0x80000000, v[46:47]
	v_fmac_f64_e32 v[16:17], v[42:43], v[46:47]
	v_fmac_f64_e32 v[24:25], 0x80000000, v[46:47]
	v_fmac_f64_e32 v[20:21], v[36:37], v[46:47]
	v_fmac_f64_e32 v[12:13], 0x80000000, v[46:47]
	v_fmac_f64_e32 v[22:23], v[38:39], v[46:47]
	s_clause 0x1
	global_load_b128 v[36:39], v[32:33], off offset:2128
	global_load_b128 v[40:43], v[32:33], off offset:2112
	global_load_b128 v[44:47], v1, s[4:5] offset:32 scale_offset
	s_wait_loadcnt 0xf
	v_fmac_f64_e32 v[14:15], v[52:53], v[56:57]
	v_fmac_f64_e32 v[10:11], 0, v[56:57]
	;; [unrolled: 1-line block ×16, first 2 shown]
	s_clause 0x1
	global_load_b128 v[48:51], v[32:33], off offset:2160
	global_load_b128 v[52:55], v[32:33], off offset:2144
	global_load_b128 v[56:59], v1, s[4:5] offset:48 scale_offset
	s_wait_xcnt 0x0
	v_subrev_nc_u32_e32 v1, s12, v108
	s_delay_alu instid0(VALU_DEP_1)
	v_lshlrev_b32_e32 v1, 2, v1
	s_wait_loadcnt 0xf
	v_fmac_f64_e32 v[14:15], v[64:65], v[68:69]
	v_fmac_f64_e32 v[10:11], 0, v[68:69]
	v_fmac_f64_e32 v[18:19], v[66:67], v[68:69]
	v_fmac_f64_e32 v[16:17], 0, v[68:69]
	v_fmac_f64_e32 v[24:25], v[60:61], v[68:69]
	v_fmac_f64_e32 v[20:21], 0, v[68:69]
	v_fmac_f64_e32 v[12:13], v[62:63], v[68:69]
	v_fmac_f64_e32 v[22:23], 0, v[68:69]
	v_fmac_f64_e32 v[14:15], 0x80000000, v[70:71]
	v_fmac_f64_e32 v[10:11], v[64:65], v[70:71]
	v_fmac_f64_e32 v[18:19], 0x80000000, v[70:71]
	v_fmac_f64_e32 v[16:17], v[66:67], v[70:71]
	v_fmac_f64_e32 v[24:25], 0x80000000, v[70:71]
	v_fmac_f64_e32 v[20:21], v[60:61], v[70:71]
	v_fmac_f64_e32 v[12:13], 0x80000000, v[70:71]
	v_fmac_f64_e32 v[22:23], v[62:63], v[70:71]
	s_clause 0x1
	global_load_b128 v[60:63], v[32:33], off offset:4112
	global_load_b128 v[64:67], v[32:33], off offset:4096
	global_load_b128 v[68:71], v1, s[4:5] scale_offset
	s_wait_loadcnt 0xf
	v_fmac_f64_e32 v[14:15], v[76:77], v[80:81]
	v_fmac_f64_e32 v[10:11], 0, v[80:81]
	v_fmac_f64_e32 v[18:19], v[78:79], v[80:81]
	v_fmac_f64_e32 v[16:17], 0, v[80:81]
	v_fmac_f64_e32 v[24:25], v[72:73], v[80:81]
	v_fmac_f64_e32 v[20:21], 0, v[80:81]
	v_fmac_f64_e32 v[12:13], v[74:75], v[80:81]
	v_fmac_f64_e32 v[22:23], 0, v[80:81]
	v_fmac_f64_e32 v[14:15], 0x80000000, v[82:83]
	v_fmac_f64_e32 v[10:11], v[76:77], v[82:83]
	v_fmac_f64_e32 v[18:19], 0x80000000, v[82:83]
	v_fmac_f64_e32 v[16:17], v[78:79], v[82:83]
	v_fmac_f64_e32 v[24:25], 0x80000000, v[82:83]
	v_fmac_f64_e32 v[20:21], v[72:73], v[82:83]
	v_fmac_f64_e32 v[12:13], 0x80000000, v[82:83]
	v_fmac_f64_e32 v[22:23], v[74:75], v[82:83]
	s_clause 0x1
	global_load_b128 v[72:75], v[32:33], off offset:4144
	global_load_b128 v[76:79], v[32:33], off offset:4128
	global_load_b128 v[80:83], v1, s[4:5] offset:16 scale_offset
	s_wait_loadcnt 0xf
	v_fmac_f64_e32 v[14:15], v[88:89], v[92:93]
	v_fmac_f64_e32 v[10:11], 0, v[92:93]
	v_fmac_f64_e32 v[18:19], v[90:91], v[92:93]
	v_fmac_f64_e32 v[16:17], 0, v[92:93]
	v_fmac_f64_e32 v[24:25], v[84:85], v[92:93]
	v_fmac_f64_e32 v[20:21], 0, v[92:93]
	v_fmac_f64_e32 v[12:13], v[86:87], v[92:93]
	v_fmac_f64_e32 v[22:23], 0, v[92:93]
	v_fmac_f64_e32 v[14:15], 0x80000000, v[94:95]
	v_fmac_f64_e32 v[10:11], v[88:89], v[94:95]
	v_fmac_f64_e32 v[18:19], 0x80000000, v[94:95]
	v_fmac_f64_e32 v[16:17], v[90:91], v[94:95]
	v_fmac_f64_e32 v[24:25], 0x80000000, v[94:95]
	v_fmac_f64_e32 v[20:21], v[84:85], v[94:95]
	v_fmac_f64_e32 v[12:13], 0x80000000, v[94:95]
	v_fmac_f64_e32 v[22:23], v[86:87], v[94:95]
	s_clause 0x1
	global_load_b128 v[84:87], v[32:33], off offset:4176
	global_load_b128 v[88:91], v[32:33], off offset:4160
	global_load_b128 v[92:95], v1, s[4:5] offset:32 scale_offset
	;; [unrolled: 21-line block ×3, first 2 shown]
	s_wait_xcnt 0x0
	v_subrev_nc_u32_e32 v1, s12, v109
	s_delay_alu instid0(VALU_DEP_1)
	v_lshlrev_b32_e32 v1, 2, v1
	s_wait_loadcnt 0xf
	v_fmac_f64_e32 v[14:15], v[40:41], v[44:45]
	v_fmac_f64_e32 v[10:11], 0, v[44:45]
	;; [unrolled: 1-line block ×16, first 2 shown]
	s_clause 0x1
	global_load_b128 v[36:39], v[32:33], off offset:6160
	global_load_b128 v[40:43], v[32:33], off offset:6144
	s_clause 0x1
	global_load_b128 v[44:47], v1, s[4:5] offset:16 scale_offset
	global_load_b128 v[108:111], v1, s[4:5] scale_offset
	s_wait_loadcnt 0x10
	v_fmac_f64_e32 v[14:15], v[52:53], v[56:57]
	v_fmac_f64_e32 v[10:11], 0, v[56:57]
	;; [unrolled: 1-line block ×16, first 2 shown]
	s_clause 0x1
	global_load_b128 v[48:51], v[32:33], off offset:6192
	global_load_b128 v[52:55], v[32:33], off offset:6176
	s_wait_loadcnt 0xf
	v_fmac_f64_e32 v[14:15], v[64:65], v[68:69]
	v_fmac_f64_e32 v[10:11], 0, v[68:69]
	;; [unrolled: 1-line block ×16, first 2 shown]
	s_clause 0x1
	global_load_b128 v[56:59], v[32:33], off offset:6224
	global_load_b128 v[60:63], v[32:33], off offset:6208
	global_load_b128 v[64:67], v1, s[4:5] offset:32 scale_offset
	s_wait_loadcnt 0xf
	v_fmac_f64_e32 v[14:15], v[76:77], v[80:81]
	v_fmac_f64_e32 v[10:11], 0, v[80:81]
	;; [unrolled: 1-line block ×16, first 2 shown]
	s_clause 0x1
	global_load_b128 v[68:71], v[32:33], off offset:6240
	global_load_b128 v[72:75], v[32:33], off offset:6256
	global_load_b128 v[76:79], v1, s[4:5] offset:48 scale_offset
	s_wait_xcnt 0x1
	v_add_nc_u64_e32 v[32:33], 0x2000, v[32:33]
	s_wait_loadcnt 0xf
	v_fmac_f64_e32 v[14:15], v[88:89], v[92:93]
	v_fmac_f64_e32 v[10:11], 0, v[92:93]
	v_fmac_f64_e32 v[18:19], v[90:91], v[92:93]
	v_fmac_f64_e32 v[16:17], 0, v[92:93]
	v_fmac_f64_e32 v[24:25], v[84:85], v[92:93]
	v_fmac_f64_e32 v[20:21], 0, v[92:93]
	v_fmac_f64_e32 v[12:13], v[86:87], v[92:93]
	v_fmac_f64_e32 v[22:23], 0, v[92:93]
	v_fmac_f64_e32 v[14:15], 0x80000000, v[94:95]
	v_fmac_f64_e32 v[10:11], v[88:89], v[94:95]
	v_fmac_f64_e32 v[18:19], 0x80000000, v[94:95]
	v_fmac_f64_e32 v[16:17], v[90:91], v[94:95]
	v_fmac_f64_e32 v[24:25], 0x80000000, v[94:95]
	v_fmac_f64_e32 v[20:21], v[84:85], v[94:95]
	v_fmac_f64_e32 v[12:13], 0x80000000, v[94:95]
	v_fmac_f64_e32 v[22:23], v[86:87], v[94:95]
	s_wait_loadcnt 0xc
	v_fmac_f64_e32 v[14:15], v[100:101], v[104:105]
	v_fmac_f64_e32 v[10:11], 0, v[104:105]
	v_fmac_f64_e32 v[18:19], v[102:103], v[104:105]
	v_fmac_f64_e32 v[16:17], 0, v[104:105]
	v_fmac_f64_e32 v[24:25], v[96:97], v[104:105]
	v_fmac_f64_e32 v[20:21], 0, v[104:105]
	v_fmac_f64_e32 v[12:13], v[98:99], v[104:105]
	v_fmac_f64_e32 v[22:23], 0, v[104:105]
	v_fmac_f64_e32 v[14:15], 0x80000000, v[106:107]
	v_fmac_f64_e32 v[10:11], v[100:101], v[106:107]
	v_fmac_f64_e32 v[18:19], 0x80000000, v[106:107]
	v_fmac_f64_e32 v[16:17], v[102:103], v[106:107]
	v_fmac_f64_e32 v[24:25], 0x80000000, v[106:107]
	v_fmac_f64_e32 v[20:21], v[96:97], v[106:107]
	v_fmac_f64_e32 v[12:13], 0x80000000, v[106:107]
	v_fmac_f64_e32 v[22:23], v[98:99], v[106:107]
	;; [unrolled: 17-line block ×6, first 2 shown]
	s_and_not1_b32 exec_lo, exec_lo, s6
	s_cbranch_execnz .LBB142_31
; %bb.32:
	s_or_b32 exec_lo, exec_lo, s6
.LBB142_33:
	s_delay_alu instid0(SALU_CYCLE_1)
	s_or_b32 exec_lo, exec_lo, s2
.LBB142_34:
	s_delay_alu instid0(SALU_CYCLE_1)
	s_or_b32 exec_lo, exec_lo, s3
.LBB142_35:
	v_mbcnt_lo_u32_b32 v1, -1, 0
	s_delay_alu instid0(VALU_DEP_1) | instskip(NEXT) | instid1(VALU_DEP_1)
	v_xor_b32_e32 v27, 8, v1
	v_cmp_gt_i32_e32 vcc_lo, 32, v27
	v_cndmask_b32_e32 v27, v1, v27, vcc_lo
	s_delay_alu instid0(VALU_DEP_1)
	v_lshlrev_b32_e32 v27, 2, v27
	ds_bpermute_b32 v32, v27, v18
	ds_bpermute_b32 v33, v27, v19
	s_wait_dscnt 0x0
	v_add_f64_e32 v[18:19], v[18:19], v[32:33]
	ds_bpermute_b32 v28, v27, v14
	ds_bpermute_b32 v29, v27, v15
	;; [unrolled: 1-line block ×14, first 2 shown]
	v_xor_b32_e32 v27, 4, v1
	s_delay_alu instid0(VALU_DEP_1)
	v_cmp_gt_i32_e32 vcc_lo, 32, v27
	s_wait_dscnt 0xc
	v_add_f64_e32 v[14:15], v[14:15], v[28:29]
	s_wait_dscnt 0xa
	v_add_f64_e32 v[10:11], v[10:11], v[30:31]
	v_cndmask_b32_e32 v27, v1, v27, vcc_lo
	s_wait_dscnt 0x8
	v_add_f64_e32 v[16:17], v[16:17], v[34:35]
	s_wait_dscnt 0x6
	s_delay_alu instid0(VALU_DEP_2)
	v_dual_add_f64 v[24:25], v[24:25], v[36:37] :: v_dual_lshlrev_b32 v27, 2, v27
	s_wait_dscnt 0x4
	v_add_f64_e32 v[20:21], v[20:21], v[38:39]
	s_wait_dscnt 0x0
	v_add_f64_e32 v[22:23], v[22:23], v[42:43]
	ds_bpermute_b32 v32, v27, v18
	ds_bpermute_b32 v33, v27, v19
	;; [unrolled: 1-line block ×12, first 2 shown]
	s_wait_dscnt 0x8
	v_add_f64_e32 v[14:15], v[14:15], v[28:29]
	s_wait_dscnt 0x6
	v_dual_add_f64 v[28:29], v[10:11], v[30:31] :: v_dual_bitop2_b32 v10, 2, v1 bitop3:0x14
	ds_bpermute_b32 v38, v27, v20
	ds_bpermute_b32 v39, v27, v21
	s_wait_dscnt 0x6
	v_add_f64_e32 v[16:17], v[16:17], v[34:35]
	v_cmp_gt_i32_e32 vcc_lo, 32, v10
	v_add_f64_e32 v[18:19], v[18:19], v[32:33]
	s_wait_dscnt 0x4
	v_add_f64_e32 v[32:33], v[24:25], v[36:37]
	s_wait_dscnt 0x2
	v_add_f64_e32 v[22:23], v[22:23], v[42:43]
	v_cndmask_b32_e32 v10, v1, v10, vcc_lo
	v_add_f64_e32 v[12:13], v[12:13], v[40:41]
	s_wait_dscnt 0x0
	v_add_f64_e32 v[20:21], v[20:21], v[38:39]
	ds_bpermute_b32 v40, v27, v12
	ds_bpermute_b32 v41, v27, v13
	v_lshlrev_b32_e32 v27, 2, v10
	ds_bpermute_b32 v10, v27, v14
	ds_bpermute_b32 v11, v27, v15
	;; [unrolled: 1-line block ×10, first 2 shown]
	s_wait_dscnt 0xa
	v_add_f64_e32 v[34:35], v[12:13], v[40:41]
	ds_bpermute_b32 v12, v27, v28
	ds_bpermute_b32 v13, v27, v29
	;; [unrolled: 1-line block ×4, first 2 shown]
	s_wait_dscnt 0xc
	v_add_f64_e32 v[10:11], v[14:15], v[10:11]
	s_wait_dscnt 0x6
	v_add_f64_e32 v[14:15], v[32:33], v[38:39]
	;; [unrolled: 2-line block ×3, first 2 shown]
	v_add_f64_e32 v[12:13], v[18:19], v[24:25]
	v_add_f64_e32 v[24:25], v[16:17], v[36:37]
	s_wait_dscnt 0x0
	v_add_f64_e32 v[20:21], v[20:21], v[40:41]
	v_add_f64_e32 v[18:19], v[22:23], v[44:45]
	v_xor_b32_e32 v22, 1, v1
	ds_bpermute_b32 v42, v27, v34
	ds_bpermute_b32 v43, v27, v35
	v_cmp_gt_i32_e32 vcc_lo, 32, v22
	v_cndmask_b32_e32 v1, v1, v22, vcc_lo
	v_cmp_eq_u32_e32 vcc_lo, 15, v0
	s_delay_alu instid0(VALU_DEP_2)
	v_lshlrev_b32_e32 v1, 2, v1
	ds_bpermute_b32 v22, v1, v10
	ds_bpermute_b32 v23, v1, v11
	;; [unrolled: 1-line block ×4, first 2 shown]
	s_wait_dscnt 0x4
	v_add_f64_e32 v[16:17], v[34:35], v[42:43]
	ds_bpermute_b32 v42, v1, v30
	ds_bpermute_b32 v43, v1, v31
	;; [unrolled: 1-line block ×12, first 2 shown]
	s_and_b32 exec_lo, exec_lo, vcc_lo
	s_cbranch_execz .LBB142_8
; %bb.36:
	s_wait_dscnt 0xa
	v_add_f64_e32 v[0:1], v[30:31], v[42:43]
	s_wait_dscnt 0x6
	v_add_f64_e32 v[30:31], v[24:25], v[40:41]
	;; [unrolled: 2-line block ×4, first 2 shown]
	v_add_f64_e32 v[40:41], v[10:11], v[22:23]
	v_add_f64_e32 v[28:29], v[12:13], v[28:29]
	v_add_f64_e32 v[32:33], v[14:15], v[32:33]
	s_wait_dscnt 0x0
	v_add_f64_e32 v[34:35], v[16:17], v[34:35]
	v_cmp_eq_f64_e32 vcc_lo, 0, v[2:3]
	v_cmp_eq_f64_e64 s2, 0, v[4:5]
	s_load_b64 s[0:1], s[0:1], 0x60
	v_mul_f64_e64 v[22:23], v[0:1], -v[8:9]
	v_mul_f64_e32 v[24:25], v[6:7], v[0:1]
	v_mul_f64_e64 v[14:15], v[38:39], -v[8:9]
	v_mul_f64_e32 v[16:17], v[6:7], v[38:39]
	v_mul_f64_e64 v[10:11], v[36:37], -v[8:9]
	v_dual_mul_f64 v[12:13], v[6:7], v[36:37] :: v_dual_lshlrev_b32 v0, 2, v26
	v_mul_f64_e64 v[18:19], v[30:31], -v[8:9]
	v_mul_f64_e32 v[20:21], v[6:7], v[30:31]
	s_and_b32 s2, vcc_lo, s2
	v_fmac_f64_e32 v[22:23], v[6:7], v[40:41]
	v_fmac_f64_e32 v[24:25], v[8:9], v[40:41]
	;; [unrolled: 1-line block ×8, first 2 shown]
	s_and_saveexec_b32 s3, s2
	s_delay_alu instid0(SALU_CYCLE_1)
	s_xor_b32 s2, exec_lo, s3
	s_cbranch_execz .LBB142_38
; %bb.37:
	s_wait_kmcnt 0x0
	s_clause 0x3
	global_store_b128 v0, v[22:25], s[0:1] scale_offset
	global_store_b128 v0, v[18:21], s[0:1] offset:16 scale_offset
	global_store_b128 v0, v[14:17], s[0:1] offset:32 scale_offset
	;; [unrolled: 1-line block ×3, first 2 shown]
                                        ; implicit-def: $vgpr4_vgpr5
                                        ; implicit-def: $vgpr22_vgpr23
                                        ; implicit-def: $vgpr0
                                        ; implicit-def: $vgpr18_vgpr19
                                        ; implicit-def: $vgpr14_vgpr15
                                        ; implicit-def: $vgpr10_vgpr11
.LBB142_38:
	s_wait_xcnt 0x0
	s_and_not1_saveexec_b32 s2, s2
	s_cbranch_execz .LBB142_8
; %bb.39:
	s_wait_kmcnt 0x0
	s_clause 0x3
	global_load_b128 v[6:9], v0, s[0:1] scale_offset
	global_load_b128 v[26:29], v0, s[0:1] offset:16 scale_offset
	global_load_b128 v[30:33], v0, s[0:1] offset:32 scale_offset
	;; [unrolled: 1-line block ×3, first 2 shown]
	s_wait_loadcnt 0x3
	v_fmac_f64_e32 v[22:23], v[2:3], v[6:7]
	v_fmac_f64_e32 v[24:25], v[4:5], v[6:7]
	s_wait_loadcnt 0x2
	v_fmac_f64_e32 v[18:19], v[2:3], v[26:27]
	v_fmac_f64_e32 v[20:21], v[4:5], v[26:27]
	s_wait_loadcnt 0x1
	v_fmac_f64_e32 v[14:15], v[2:3], v[30:31]
	v_fmac_f64_e32 v[16:17], v[4:5], v[30:31]
	s_wait_loadcnt 0x0
	v_fmac_f64_e32 v[10:11], v[2:3], v[34:35]
	v_fmac_f64_e32 v[12:13], v[4:5], v[34:35]
	v_fma_f64 v[22:23], -v[4:5], v[8:9], v[22:23]
	v_fmac_f64_e32 v[24:25], v[2:3], v[8:9]
	v_fma_f64 v[18:19], -v[4:5], v[28:29], v[18:19]
	v_fmac_f64_e32 v[20:21], v[2:3], v[28:29]
	v_fma_f64 v[14:15], -v[4:5], v[32:33], v[14:15]
	v_fmac_f64_e32 v[16:17], v[2:3], v[32:33]
	v_fma_f64 v[10:11], -v[4:5], v[36:37], v[10:11]
	v_fmac_f64_e32 v[12:13], v[2:3], v[36:37]
	s_clause 0x3
	global_store_b128 v0, v[22:25], s[0:1] scale_offset
	global_store_b128 v0, v[18:21], s[0:1] offset:16 scale_offset
	global_store_b128 v0, v[14:17], s[0:1] offset:32 scale_offset
	;; [unrolled: 1-line block ×3, first 2 shown]
	s_sendmsg sendmsg(MSG_DEALLOC_VGPRS)
	s_endpgm
	.section	.rodata,"a",@progbits
	.p2align	6, 0x0
	.amdhsa_kernel _ZN9rocsparseL18bsrxmvn_4x4_kernelILj128ELj16E21rocsparse_complex_numIdElidS2_S2_EEvT3_20rocsparse_direction_NS_24const_host_device_scalarIT1_EES3_PKS3_PKT2_SC_S9_PKT4_PKT5_S7_PT6_21rocsparse_index_base_b
		.amdhsa_group_segment_fixed_size 0
		.amdhsa_private_segment_fixed_size 0
		.amdhsa_kernarg_size 112
		.amdhsa_user_sgpr_count 2
		.amdhsa_user_sgpr_dispatch_ptr 0
		.amdhsa_user_sgpr_queue_ptr 0
		.amdhsa_user_sgpr_kernarg_segment_ptr 1
		.amdhsa_user_sgpr_dispatch_id 0
		.amdhsa_user_sgpr_kernarg_preload_length 0
		.amdhsa_user_sgpr_kernarg_preload_offset 0
		.amdhsa_user_sgpr_private_segment_size 0
		.amdhsa_wavefront_size32 1
		.amdhsa_uses_dynamic_stack 0
		.amdhsa_enable_private_segment 0
		.amdhsa_system_sgpr_workgroup_id_x 1
		.amdhsa_system_sgpr_workgroup_id_y 0
		.amdhsa_system_sgpr_workgroup_id_z 0
		.amdhsa_system_sgpr_workgroup_info 0
		.amdhsa_system_vgpr_workitem_id 0
		.amdhsa_next_free_vgpr 141
		.amdhsa_next_free_sgpr 14
		.amdhsa_named_barrier_count 0
		.amdhsa_reserve_vcc 1
		.amdhsa_float_round_mode_32 0
		.amdhsa_float_round_mode_16_64 0
		.amdhsa_float_denorm_mode_32 3
		.amdhsa_float_denorm_mode_16_64 3
		.amdhsa_fp16_overflow 0
		.amdhsa_memory_ordered 1
		.amdhsa_forward_progress 1
		.amdhsa_inst_pref_size 62
		.amdhsa_round_robin_scheduling 0
		.amdhsa_exception_fp_ieee_invalid_op 0
		.amdhsa_exception_fp_denorm_src 0
		.amdhsa_exception_fp_ieee_div_zero 0
		.amdhsa_exception_fp_ieee_overflow 0
		.amdhsa_exception_fp_ieee_underflow 0
		.amdhsa_exception_fp_ieee_inexact 0
		.amdhsa_exception_int_div_zero 0
	.end_amdhsa_kernel
	.section	.text._ZN9rocsparseL18bsrxmvn_4x4_kernelILj128ELj16E21rocsparse_complex_numIdElidS2_S2_EEvT3_20rocsparse_direction_NS_24const_host_device_scalarIT1_EES3_PKS3_PKT2_SC_S9_PKT4_PKT5_S7_PT6_21rocsparse_index_base_b,"axG",@progbits,_ZN9rocsparseL18bsrxmvn_4x4_kernelILj128ELj16E21rocsparse_complex_numIdElidS2_S2_EEvT3_20rocsparse_direction_NS_24const_host_device_scalarIT1_EES3_PKS3_PKT2_SC_S9_PKT4_PKT5_S7_PT6_21rocsparse_index_base_b,comdat
.Lfunc_end142:
	.size	_ZN9rocsparseL18bsrxmvn_4x4_kernelILj128ELj16E21rocsparse_complex_numIdElidS2_S2_EEvT3_20rocsparse_direction_NS_24const_host_device_scalarIT1_EES3_PKS3_PKT2_SC_S9_PKT4_PKT5_S7_PT6_21rocsparse_index_base_b, .Lfunc_end142-_ZN9rocsparseL18bsrxmvn_4x4_kernelILj128ELj16E21rocsparse_complex_numIdElidS2_S2_EEvT3_20rocsparse_direction_NS_24const_host_device_scalarIT1_EES3_PKS3_PKT2_SC_S9_PKT4_PKT5_S7_PT6_21rocsparse_index_base_b
                                        ; -- End function
	.set _ZN9rocsparseL18bsrxmvn_4x4_kernelILj128ELj16E21rocsparse_complex_numIdElidS2_S2_EEvT3_20rocsparse_direction_NS_24const_host_device_scalarIT1_EES3_PKS3_PKT2_SC_S9_PKT4_PKT5_S7_PT6_21rocsparse_index_base_b.num_vgpr, 141
	.set _ZN9rocsparseL18bsrxmvn_4x4_kernelILj128ELj16E21rocsparse_complex_numIdElidS2_S2_EEvT3_20rocsparse_direction_NS_24const_host_device_scalarIT1_EES3_PKS3_PKT2_SC_S9_PKT4_PKT5_S7_PT6_21rocsparse_index_base_b.num_agpr, 0
	.set _ZN9rocsparseL18bsrxmvn_4x4_kernelILj128ELj16E21rocsparse_complex_numIdElidS2_S2_EEvT3_20rocsparse_direction_NS_24const_host_device_scalarIT1_EES3_PKS3_PKT2_SC_S9_PKT4_PKT5_S7_PT6_21rocsparse_index_base_b.numbered_sgpr, 14
	.set _ZN9rocsparseL18bsrxmvn_4x4_kernelILj128ELj16E21rocsparse_complex_numIdElidS2_S2_EEvT3_20rocsparse_direction_NS_24const_host_device_scalarIT1_EES3_PKS3_PKT2_SC_S9_PKT4_PKT5_S7_PT6_21rocsparse_index_base_b.num_named_barrier, 0
	.set _ZN9rocsparseL18bsrxmvn_4x4_kernelILj128ELj16E21rocsparse_complex_numIdElidS2_S2_EEvT3_20rocsparse_direction_NS_24const_host_device_scalarIT1_EES3_PKS3_PKT2_SC_S9_PKT4_PKT5_S7_PT6_21rocsparse_index_base_b.private_seg_size, 0
	.set _ZN9rocsparseL18bsrxmvn_4x4_kernelILj128ELj16E21rocsparse_complex_numIdElidS2_S2_EEvT3_20rocsparse_direction_NS_24const_host_device_scalarIT1_EES3_PKS3_PKT2_SC_S9_PKT4_PKT5_S7_PT6_21rocsparse_index_base_b.uses_vcc, 1
	.set _ZN9rocsparseL18bsrxmvn_4x4_kernelILj128ELj16E21rocsparse_complex_numIdElidS2_S2_EEvT3_20rocsparse_direction_NS_24const_host_device_scalarIT1_EES3_PKS3_PKT2_SC_S9_PKT4_PKT5_S7_PT6_21rocsparse_index_base_b.uses_flat_scratch, 0
	.set _ZN9rocsparseL18bsrxmvn_4x4_kernelILj128ELj16E21rocsparse_complex_numIdElidS2_S2_EEvT3_20rocsparse_direction_NS_24const_host_device_scalarIT1_EES3_PKS3_PKT2_SC_S9_PKT4_PKT5_S7_PT6_21rocsparse_index_base_b.has_dyn_sized_stack, 0
	.set _ZN9rocsparseL18bsrxmvn_4x4_kernelILj128ELj16E21rocsparse_complex_numIdElidS2_S2_EEvT3_20rocsparse_direction_NS_24const_host_device_scalarIT1_EES3_PKS3_PKT2_SC_S9_PKT4_PKT5_S7_PT6_21rocsparse_index_base_b.has_recursion, 0
	.set _ZN9rocsparseL18bsrxmvn_4x4_kernelILj128ELj16E21rocsparse_complex_numIdElidS2_S2_EEvT3_20rocsparse_direction_NS_24const_host_device_scalarIT1_EES3_PKS3_PKT2_SC_S9_PKT4_PKT5_S7_PT6_21rocsparse_index_base_b.has_indirect_call, 0
	.section	.AMDGPU.csdata,"",@progbits
; Kernel info:
; codeLenInByte = 7856
; TotalNumSgprs: 16
; NumVgprs: 141
; ScratchSize: 0
; MemoryBound: 0
; FloatMode: 240
; IeeeMode: 1
; LDSByteSize: 0 bytes/workgroup (compile time only)
; SGPRBlocks: 0
; VGPRBlocks: 8
; NumSGPRsForWavesPerEU: 16
; NumVGPRsForWavesPerEU: 141
; NamedBarCnt: 0
; Occupancy: 7
; WaveLimiterHint : 1
; COMPUTE_PGM_RSRC2:SCRATCH_EN: 0
; COMPUTE_PGM_RSRC2:USER_SGPR: 2
; COMPUTE_PGM_RSRC2:TRAP_HANDLER: 0
; COMPUTE_PGM_RSRC2:TGID_X_EN: 1
; COMPUTE_PGM_RSRC2:TGID_Y_EN: 0
; COMPUTE_PGM_RSRC2:TGID_Z_EN: 0
; COMPUTE_PGM_RSRC2:TIDIG_COMP_CNT: 0
	.section	.text._ZN9rocsparseL18bsrxmvn_4x4_kernelILj128ELj32E21rocsparse_complex_numIdElidS2_S2_EEvT3_20rocsparse_direction_NS_24const_host_device_scalarIT1_EES3_PKS3_PKT2_SC_S9_PKT4_PKT5_S7_PT6_21rocsparse_index_base_b,"axG",@progbits,_ZN9rocsparseL18bsrxmvn_4x4_kernelILj128ELj32E21rocsparse_complex_numIdElidS2_S2_EEvT3_20rocsparse_direction_NS_24const_host_device_scalarIT1_EES3_PKS3_PKT2_SC_S9_PKT4_PKT5_S7_PT6_21rocsparse_index_base_b,comdat
	.globl	_ZN9rocsparseL18bsrxmvn_4x4_kernelILj128ELj32E21rocsparse_complex_numIdElidS2_S2_EEvT3_20rocsparse_direction_NS_24const_host_device_scalarIT1_EES3_PKS3_PKT2_SC_S9_PKT4_PKT5_S7_PT6_21rocsparse_index_base_b ; -- Begin function _ZN9rocsparseL18bsrxmvn_4x4_kernelILj128ELj32E21rocsparse_complex_numIdElidS2_S2_EEvT3_20rocsparse_direction_NS_24const_host_device_scalarIT1_EES3_PKS3_PKT2_SC_S9_PKT4_PKT5_S7_PT6_21rocsparse_index_base_b
	.p2align	8
	.type	_ZN9rocsparseL18bsrxmvn_4x4_kernelILj128ELj32E21rocsparse_complex_numIdElidS2_S2_EEvT3_20rocsparse_direction_NS_24const_host_device_scalarIT1_EES3_PKS3_PKT2_SC_S9_PKT4_PKT5_S7_PT6_21rocsparse_index_base_b,@function
_ZN9rocsparseL18bsrxmvn_4x4_kernelILj128ELj32E21rocsparse_complex_numIdElidS2_S2_EEvT3_20rocsparse_direction_NS_24const_host_device_scalarIT1_EES3_PKS3_PKT2_SC_S9_PKT4_PKT5_S7_PT6_21rocsparse_index_base_b: ; @_ZN9rocsparseL18bsrxmvn_4x4_kernelILj128ELj32E21rocsparse_complex_numIdElidS2_S2_EEvT3_20rocsparse_direction_NS_24const_host_device_scalarIT1_EES3_PKS3_PKT2_SC_S9_PKT4_PKT5_S7_PT6_21rocsparse_index_base_b
; %bb.0:
	s_clause 0x1
	s_load_b64 s[12:13], s[0:1], 0x68
	s_load_b64 s[2:3], s[0:1], 0x8
	v_mov_b32_e32 v1, 0
	s_add_nc_u64 s[4:5], s[0:1], 8
	s_load_b64 s[6:7], s[0:1], 0x50
	s_wait_kmcnt 0x0
	s_bitcmp1_b32 s13, 0
	s_cselect_b32 s3, s5, s3
	s_cselect_b32 s2, s4, s2
	flat_load_b128 v[6:9], v1, s[2:3]
	s_wait_xcnt 0x0
	s_add_nc_u64 s[2:3], s[0:1], 0x50
	s_delay_alu instid0(SALU_CYCLE_1)
	s_cselect_b32 s3, s3, s7
	s_cselect_b32 s2, s2, s6
	flat_load_b128 v[2:5], v1, s[2:3]
	s_wait_loadcnt_dscnt 0x101
	v_cmp_eq_f64_e32 vcc_lo, 0, v[6:7]
	s_wait_xcnt 0x0
	v_cmp_eq_f64_e64 s2, 0, v[8:9]
	s_and_b32 s4, vcc_lo, s2
	s_mov_b32 s2, -1
	s_and_saveexec_b32 s3, s4
	s_cbranch_execz .LBB143_2
; %bb.1:
	s_wait_loadcnt_dscnt 0x0
	v_cmp_neq_f64_e32 vcc_lo, 1.0, v[2:3]
	v_cmp_neq_f64_e64 s2, 0, v[4:5]
	s_or_b32 s2, vcc_lo, s2
	s_delay_alu instid0(SALU_CYCLE_1)
	s_or_not1_b32 s2, s2, exec_lo
.LBB143_2:
	s_or_b32 exec_lo, exec_lo, s3
	s_and_saveexec_b32 s3, s2
	s_cbranch_execz .LBB143_8
; %bb.3:
	s_clause 0x1
	s_load_b64 s[4:5], s[0:1], 0x20
	s_load_b64 s[2:3], s[0:1], 0x0
	s_bfe_u32 s6, ttmp6, 0x4000c
	s_and_b32 s7, ttmp6, 15
	s_add_co_i32 s6, s6, 1
	s_getreg_b32 s8, hwreg(HW_REG_IB_STS2, 6, 4)
	s_mul_i32 s6, ttmp9, s6
	v_lshrrev_b32_e32 v1, 5, v0
	s_add_co_i32 s7, s7, s6
	s_cmp_eq_u32 s8, 0
	s_cselect_b32 s6, ttmp9, s7
	s_delay_alu instid0(VALU_DEP_1) | instid1(SALU_CYCLE_1)
	v_lshl_or_b32 v26, s6, 2, v1
	s_mov_b32 s6, 0
	s_wait_kmcnt 0x0
	s_cmp_lg_u64 s[4:5], 0
	s_cbranch_scc0 .LBB143_9
; %bb.4:
	s_load_b32 s6, s[0:1], 0x18
	s_mov_b32 s7, 0
                                        ; implicit-def: $vgpr1
	s_wait_kmcnt 0x0
	v_cmp_gt_i32_e32 vcc_lo, s6, v26
	s_mov_b32 s6, 0
	s_and_saveexec_b32 s8, vcc_lo
	s_delay_alu instid0(SALU_CYCLE_1)
	s_xor_b32 s8, exec_lo, s8
	s_cbranch_execz .LBB143_6
; %bb.5:
	global_load_b32 v1, v26, s[4:5] scale_offset
	s_mov_b32 s6, exec_lo
	s_wait_loadcnt 0x0
	v_subrev_nc_u32_e32 v1, s12, v1
.LBB143_6:
	s_or_b32 exec_lo, exec_lo, s8
	s_delay_alu instid0(SALU_CYCLE_1)
	s_and_b32 vcc_lo, exec_lo, s7
	s_cbranch_vccz .LBB143_10
.LBB143_7:
	v_cmp_gt_i32_e32 vcc_lo, s2, v26
	s_and_not1_b32 s2, s6, exec_lo
	s_and_b32 s4, vcc_lo, exec_lo
	s_delay_alu instid0(SALU_CYCLE_1) | instskip(NEXT) | instid1(SALU_CYCLE_1)
	s_or_b32 s6, s2, s4
	s_and_b32 exec_lo, exec_lo, s6
	s_cbranch_execnz .LBB143_11
.LBB143_8:
	s_sendmsg sendmsg(MSG_DEALLOC_VGPRS)
	s_endpgm
.LBB143_9:
                                        ; implicit-def: $vgpr1
	s_cbranch_execnz .LBB143_7
.LBB143_10:
	s_delay_alu instid0(VALU_DEP_1)
	v_mov_b32_e32 v26, v1
	s_and_b32 exec_lo, exec_lo, s6
	s_cbranch_execz .LBB143_8
.LBB143_11:
	s_load_b256 s[4:11], s[0:1], 0x28
	s_mov_b32 s13, 0
	v_dual_mov_b32 v1, 0 :: v_dual_bitop2_b32 v0, 31, v0 bitop3:0x40
	s_wait_kmcnt 0x0
	s_cmp_eq_u64 s[6:7], 0
	global_load_b64 v[34:35], v26, s[4:5] scale_offset
	s_cselect_b32 vcc_lo, -1, 0
	v_ashrrev_i32_e32 v27, 31, v26
	s_cmp_eq_u32 s3, 1
	s_delay_alu instid0(VALU_DEP_1) | instskip(NEXT) | instid1(VALU_DEP_1)
	v_lshlrev_b64_e32 v[10:11], 3, v[26:27]
	v_add_nc_u64_e32 v[12:13], s[4:5], v[10:11]
	v_add_nc_u64_e32 v[10:11], s[6:7], v[10:11]
	s_wait_xcnt 0x0
	s_load_b64 s[4:5], s[0:1], 0x48
	s_delay_alu instid0(VALU_DEP_2) | instskip(NEXT) | instid1(VALU_DEP_1)
	v_add_nc_u64_e32 v[12:13], 8, v[12:13]
	v_dual_cndmask_b32 v11, v11, v13 :: v_dual_cndmask_b32 v10, v10, v12
	global_load_b64 v[10:11], v[10:11], off
	s_wait_loadcnt 0x1
	v_sub_nc_u64_e64 v[12:13], v[34:35], s[12:13]
	s_delay_alu instid0(VALU_DEP_1) | instskip(NEXT) | instid1(VALU_DEP_1)
	v_add_nc_u64_e32 v[28:29], v[12:13], v[0:1]
	v_lshlrev_b64_e32 v[12:13], 7, v[28:29]
	s_delay_alu instid0(VALU_DEP_1) | instskip(SKIP_2) | instid1(VALU_DEP_1)
	v_add_nc_u64_e32 v[32:33], s[10:11], v[12:13]
	s_wait_loadcnt 0x0
	v_sub_nc_u64_e64 v[30:31], v[10:11], s[12:13]
	v_cmp_lt_i64_e64 s2, v[28:29], v[30:31]
	s_cbranch_scc1 .LBB143_23
; %bb.12:
	v_mov_b64_e32 v[10:11], 0
	v_mov_b64_e32 v[14:15], 0
	;; [unrolled: 1-line block ×8, first 2 shown]
	s_and_saveexec_b32 s3, s2
	s_cbranch_execz .LBB143_22
; %bb.13:
	v_dual_mov_b32 v11, v1 :: v_dual_bitop2_b32 v10, 32, v0 bitop3:0x54
	v_sub_nc_u64_e32 v[12:13], s[12:13], v[0:1]
	v_not_b32_e32 v15, v35
	v_not_b32_e32 v14, v34
	v_mov_b64_e32 v[22:23], 0
	v_sub_nc_u64_e64 v[10:11], v[10:11], s[12:13]
	v_mov_b64_e32 v[24:25], 0
	v_mov_b64_e32 v[20:21], 0
	v_add_nc_u64_e32 v[12:13], v[12:13], v[14:15]
	v_mov_b64_e32 v[18:19], 0
	v_mov_b64_e32 v[16:17], 0
	;; [unrolled: 1-line block ×3, first 2 shown]
	v_add_nc_u64_e32 v[10:11], v[10:11], v[34:35]
	v_mov_b64_e32 v[36:37], v[32:33]
	v_mov_b64_e32 v[38:39], v[28:29]
	v_mov_b32_e32 v45, 0
	s_mov_b32 s6, exec_lo
	s_delay_alu instid0(VALU_DEP_4) | instskip(NEXT) | instid1(VALU_DEP_1)
	v_max_i64 v[10:11], v[10:11], v[30:31]
	v_add_nc_u64_e32 v[40:41], v[12:13], v[10:11]
	v_mov_b64_e32 v[12:13], 0
	v_mov_b64_e32 v[10:11], 0
	s_delay_alu instid0(VALU_DEP_3) | instskip(NEXT) | instid1(VALU_DEP_1)
	v_and_b32_e32 v44, 0x60, v40
	v_cmpx_ne_u64_e32 0x60, v[44:45]
	s_cbranch_execz .LBB143_17
; %bb.14:
	v_lshrrev_b32_e32 v10, 5, v40
	v_mov_b64_e32 v[14:15], 0
	v_mov_b64_e32 v[16:17], 0
	;; [unrolled: 1-line block ×4, first 2 shown]
	v_add_nc_u32_e32 v12, 1, v10
	v_mov_b64_e32 v[10:11], 0
	v_mov_b64_e32 v[24:25], 0
	;; [unrolled: 1-line block ×4, first 2 shown]
	v_and_b32_e32 v44, 3, v12
	v_mov_b64_e32 v[12:13], 0
	v_mov_b64_e32 v[36:37], v[32:33]
	v_lshl_add_u64 v[42:43], v[28:29], 2, s[8:9]
	s_mov_b32 s7, 0
	v_sub_nc_u64_e32 v[44:45], 0, v[44:45]
.LBB143_15:                             ; =>This Inner Loop Header: Depth=1
	global_load_b32 v27, v[42:43], off
	s_clause 0x6
	global_load_b128 v[46:49], v[36:37], off offset:48
	global_load_b128 v[50:53], v[36:37], off offset:32
	;; [unrolled: 1-line block ×3, first 2 shown]
	global_load_b128 v[58:61], v[36:37], off
	global_load_b128 v[62:65], v[36:37], off offset:112
	global_load_b128 v[66:69], v[36:37], off offset:96
	;; [unrolled: 1-line block ×3, first 2 shown]
	v_add_nc_u64_e32 v[44:45], 1, v[44:45]
	v_add_nc_u64_e32 v[38:39], 32, v[38:39]
	s_wait_xcnt 0x7
	v_add_nc_u64_e32 v[42:43], 0x80, v[42:43]
	s_delay_alu instid0(VALU_DEP_3) | instskip(SKIP_3) | instid1(VALU_DEP_1)
	v_cmp_eq_u64_e32 vcc_lo, 0, v[44:45]
	s_or_b32 s7, vcc_lo, s7
	s_wait_loadcnt 0x7
	v_subrev_nc_u32_e32 v27, s12, v27
	v_lshlrev_b32_e32 v27, 2, v27
	s_wait_kmcnt 0x0
	s_clause 0x1
	global_load_b128 v[74:77], v27, s[4:5] scale_offset
	global_load_b128 v[78:81], v27, s[4:5] offset:16 scale_offset
	global_load_b128 v[82:85], v[36:37], off offset:80
	s_clause 0x1
	global_load_b128 v[86:89], v27, s[4:5] offset:32 scale_offset
	global_load_b128 v[90:93], v27, s[4:5] offset:48 scale_offset
	s_wait_xcnt 0x2
	v_add_nc_u64_e32 v[36:37], 0x1000, v[36:37]
	s_wait_loadcnt 0x4
	v_fmac_f64_e32 v[14:15], v[58:59], v[74:75]
	v_fmac_f64_e32 v[10:11], 0, v[74:75]
	v_fmac_f64_e32 v[18:19], v[50:51], v[74:75]
	v_fmac_f64_e32 v[16:17], 0, v[74:75]
	v_fmac_f64_e32 v[24:25], v[70:71], v[74:75]
	v_fmac_f64_e32 v[20:21], 0, v[74:75]
	v_fmac_f64_e32 v[12:13], v[66:67], v[74:75]
	v_fmac_f64_e32 v[22:23], 0, v[74:75]
	v_fmac_f64_e32 v[14:15], 0x80000000, v[76:77]
	v_fmac_f64_e32 v[10:11], v[58:59], v[76:77]
	v_fmac_f64_e32 v[18:19], 0x80000000, v[76:77]
	v_fmac_f64_e32 v[16:17], v[50:51], v[76:77]
	v_fmac_f64_e32 v[24:25], 0x80000000, v[76:77]
	v_fmac_f64_e32 v[20:21], v[70:71], v[76:77]
	v_fmac_f64_e32 v[12:13], 0x80000000, v[76:77]
	v_fmac_f64_e32 v[22:23], v[66:67], v[76:77]
	s_wait_loadcnt 0x3
	v_fmac_f64_e32 v[14:15], v[60:61], v[78:79]
	v_fmac_f64_e32 v[10:11], 0, v[78:79]
	v_fmac_f64_e32 v[18:19], v[52:53], v[78:79]
	v_fmac_f64_e32 v[16:17], 0, v[78:79]
	v_fmac_f64_e32 v[24:25], v[72:73], v[78:79]
	v_fmac_f64_e32 v[20:21], 0, v[78:79]
	v_fmac_f64_e32 v[12:13], v[68:69], v[78:79]
	v_fmac_f64_e32 v[22:23], 0, v[78:79]
	v_fmac_f64_e32 v[14:15], 0x80000000, v[80:81]
	v_fmac_f64_e32 v[10:11], v[60:61], v[80:81]
	v_fmac_f64_e32 v[18:19], 0x80000000, v[80:81]
	v_fmac_f64_e32 v[16:17], v[52:53], v[80:81]
	v_fmac_f64_e32 v[24:25], 0x80000000, v[80:81]
	v_fmac_f64_e32 v[20:21], v[72:73], v[80:81]
	v_fmac_f64_e32 v[12:13], 0x80000000, v[80:81]
	v_fmac_f64_e32 v[22:23], v[68:69], v[80:81]
	;; [unrolled: 17-line block ×4, first 2 shown]
	s_and_not1_b32 exec_lo, exec_lo, s7
	s_cbranch_execnz .LBB143_15
; %bb.16:
	s_or_b32 exec_lo, exec_lo, s7
.LBB143_17:
	s_delay_alu instid0(SALU_CYCLE_1) | instskip(NEXT) | instid1(SALU_CYCLE_1)
	s_or_b32 exec_lo, exec_lo, s6
	s_mov_b32 s6, exec_lo
	v_cmpx_lt_u64_e32 0x5f, v[40:41]
	s_cbranch_execz .LBB143_21
; %bb.18:
	v_lshl_add_u64 v[40:41], v[38:39], 2, s[8:9]
	s_mov_b32 s7, 0
	s_delay_alu instid0(VALU_DEP_1)
	v_add_nc_u64_e32 v[40:41], 0x100, v[40:41]
.LBB143_19:                             ; =>This Inner Loop Header: Depth=1
	s_clause 0x1
	global_load_b32 v27, v[40:41], off offset:-256
	global_load_b32 v122, v[40:41], off offset:-128
	s_clause 0x11
	global_load_b128 v[42:45], v[36:37], off offset:48
	global_load_b128 v[46:49], v[36:37], off offset:32
	;; [unrolled: 1-line block ×3, first 2 shown]
	global_load_b128 v[54:57], v[36:37], off
	global_load_b128 v[58:61], v[36:37], off offset:112
	global_load_b128 v[62:65], v[36:37], off offset:96
	;; [unrolled: 1-line block ×14, first 2 shown]
	s_clause 0x1
	global_load_b32 v138, v[40:41], off
	global_load_b32 v139, v[40:41], off offset:128
	s_clause 0x1
	global_load_b128 v[114:117], v[36:37], off offset:8208
	global_load_b128 v[118:121], v[36:37], off offset:8192
	v_add_nc_u64_e32 v[38:39], 0x80, v[38:39]
	s_wait_xcnt 0x2
	v_add_nc_u64_e32 v[40:41], 0x200, v[40:41]
	s_delay_alu instid0(VALU_DEP_2)
	v_cmp_ge_i64_e32 vcc_lo, v[38:39], v[30:31]
	s_or_b32 s7, vcc_lo, s7
	s_wait_loadcnt 0x17
	v_subrev_nc_u32_e32 v27, s12, v27
	s_wait_loadcnt 0x16
	v_subrev_nc_u32_e32 v122, s12, v122
	s_delay_alu instid0(VALU_DEP_1)
	v_dual_lshlrev_b32 v27, 2, v27 :: v_dual_lshlrev_b32 v140, 2, v122
	s_wait_kmcnt 0x0
	s_clause 0x3
	global_load_b128 v[122:125], v27, s[4:5] scale_offset
	global_load_b128 v[126:129], v27, s[4:5] offset:16 scale_offset
	global_load_b128 v[130:133], v27, s[4:5] offset:32 scale_offset
	global_load_b128 v[134:137], v27, s[4:5] offset:48 scale_offset
	s_wait_loadcnt 0x7
	s_wait_xcnt 0x0
	v_subrev_nc_u32_e32 v27, s12, v138
	s_delay_alu instid0(VALU_DEP_1)
	v_lshlrev_b32_e32 v27, 2, v27
	s_wait_loadcnt 0x3
	v_fmac_f64_e32 v[10:11], 0, v[122:123]
	v_fmac_f64_e32 v[14:15], v[54:55], v[122:123]
	;; [unrolled: 1-line block ×16, first 2 shown]
	global_load_b128 v[122:125], v140, s[4:5] scale_offset
	s_wait_loadcnt 0x3
	v_fmac_f64_e32 v[10:11], 0, v[126:127]
	v_fmac_f64_e32 v[14:15], v[56:57], v[126:127]
	;; [unrolled: 1-line block ×12, first 2 shown]
	global_load_b128 v[46:49], v140, s[4:5] offset:16 scale_offset
	v_fmac_f64_e32 v[20:21], v[72:73], v[128:129]
	v_fmac_f64_e32 v[24:25], 0x80000000, v[128:129]
	;; [unrolled: 1-line block ×4, first 2 shown]
	global_load_b128 v[126:129], v140, s[4:5] offset:32 scale_offset
	s_clause 0x2
	global_load_b128 v[54:57], v[36:37], off offset:8304
	global_load_b128 v[70:73], v[36:37], off offset:8288
	;; [unrolled: 1-line block ×3, first 2 shown]
	s_wait_loadcnt 0x7
	v_fmac_f64_e32 v[10:11], 0, v[130:131]
	v_fmac_f64_e32 v[14:15], v[50:51], v[130:131]
	;; [unrolled: 1-line block ×16, first 2 shown]
	global_load_b128 v[130:133], v140, s[4:5] offset:48 scale_offset
	s_wait_loadcnt 0x7
	v_fmac_f64_e32 v[10:11], 0, v[134:135]
	v_fmac_f64_e32 v[14:15], v[52:53], v[134:135]
	;; [unrolled: 1-line block ×9, first 2 shown]
	global_load_b128 v[50:53], v[36:37], off offset:8256
	v_fmac_f64_e32 v[14:15], 0x80000000, v[136:137]
	v_fmac_f64_e32 v[16:17], v[44:45], v[136:137]
	global_load_b128 v[42:45], v27, s[4:5] scale_offset
	v_fmac_f64_e32 v[18:19], 0x80000000, v[136:137]
	v_fmac_f64_e32 v[24:25], 0x80000000, v[136:137]
	;; [unrolled: 1-line block ×5, first 2 shown]
	s_clause 0x1
	global_load_b128 v[58:61], v27, s[4:5] offset:16 scale_offset
	global_load_b128 v[66:69], v27, s[4:5] offset:32 scale_offset
	s_wait_loadcnt 0xa
	v_fmac_f64_e32 v[14:15], v[86:87], v[122:123]
	v_fmac_f64_e32 v[10:11], 0, v[122:123]
	v_fmac_f64_e32 v[18:19], v[78:79], v[122:123]
	v_fmac_f64_e32 v[16:17], 0, v[122:123]
	v_fmac_f64_e32 v[24:25], v[102:103], v[122:123]
	v_fmac_f64_e32 v[20:21], 0, v[122:123]
	v_fmac_f64_e32 v[12:13], v[94:95], v[122:123]
	v_fmac_f64_e32 v[22:23], 0, v[122:123]
	v_fmac_f64_e32 v[14:15], 0x80000000, v[124:125]
	v_fmac_f64_e32 v[10:11], v[86:87], v[124:125]
	v_fmac_f64_e32 v[18:19], 0x80000000, v[124:125]
	v_fmac_f64_e32 v[16:17], v[78:79], v[124:125]
	v_fmac_f64_e32 v[24:25], 0x80000000, v[124:125]
	v_fmac_f64_e32 v[20:21], v[102:103], v[124:125]
	v_fmac_f64_e32 v[12:13], 0x80000000, v[124:125]
	v_fmac_f64_e32 v[22:23], v[94:95], v[124:125]
	s_wait_loadcnt 0x9
	v_fmac_f64_e32 v[14:15], v[88:89], v[46:47]
	v_fmac_f64_e32 v[10:11], 0, v[46:47]
	;; [unrolled: 1-line block ×16, first 2 shown]
	global_load_b128 v[46:49], v27, s[4:5] offset:48 scale_offset
	s_wait_xcnt 0x0
	v_subrev_nc_u32_e32 v27, s12, v139
	s_delay_alu instid0(VALU_DEP_1)
	v_lshlrev_b32_e32 v27, 2, v27
	s_wait_loadcnt 0x9
	v_fmac_f64_e32 v[14:15], v[82:83], v[126:127]
	v_fmac_f64_e32 v[10:11], 0, v[126:127]
	;; [unrolled: 1-line block ×16, first 2 shown]
	s_clause 0x5
	global_load_b128 v[78:81], v[36:37], off offset:12336
	global_load_b128 v[86:89], v[36:37], off offset:12320
	;; [unrolled: 1-line block ×6, first 2 shown]
	global_load_b128 v[134:137], v27, s[4:5] scale_offset
	s_wait_loadcnt 0xc
	v_fmac_f64_e32 v[14:15], v[84:85], v[130:131]
	v_fmac_f64_e32 v[10:11], 0, v[130:131]
	v_fmac_f64_e32 v[18:19], v[76:77], v[130:131]
	v_fmac_f64_e32 v[16:17], 0, v[130:131]
	v_fmac_f64_e32 v[24:25], v[100:101], v[130:131]
	v_fmac_f64_e32 v[20:21], 0, v[130:131]
	v_fmac_f64_e32 v[12:13], v[92:93], v[130:131]
	v_fmac_f64_e32 v[22:23], 0, v[130:131]
	v_fmac_f64_e32 v[14:15], 0x80000000, v[132:133]
	v_fmac_f64_e32 v[10:11], v[84:85], v[132:133]
	v_fmac_f64_e32 v[18:19], 0x80000000, v[132:133]
	v_fmac_f64_e32 v[16:17], v[76:77], v[132:133]
	v_fmac_f64_e32 v[24:25], 0x80000000, v[132:133]
	v_fmac_f64_e32 v[20:21], v[100:101], v[132:133]
	v_fmac_f64_e32 v[12:13], 0x80000000, v[132:133]
	v_fmac_f64_e32 v[22:23], v[92:93], v[132:133]
	global_load_b128 v[74:77], v27, s[4:5] offset:16 scale_offset
	s_wait_loadcnt 0xb
	v_fmac_f64_e32 v[14:15], v[118:119], v[42:43]
	v_fmac_f64_e32 v[10:11], 0, v[42:43]
	v_fmac_f64_e32 v[18:19], v[110:111], v[42:43]
	v_fmac_f64_e32 v[16:17], 0, v[42:43]
	v_fmac_f64_e32 v[24:25], v[50:51], v[42:43]
	v_fmac_f64_e32 v[20:21], 0, v[42:43]
	v_fmac_f64_e32 v[12:13], v[70:71], v[42:43]
	v_fmac_f64_e32 v[22:23], 0, v[42:43]
	v_fmac_f64_e32 v[14:15], 0x80000000, v[44:45]
	v_fmac_f64_e32 v[10:11], v[118:119], v[44:45]
	v_fmac_f64_e32 v[18:19], 0x80000000, v[44:45]
	v_fmac_f64_e32 v[16:17], v[110:111], v[44:45]
	v_fmac_f64_e32 v[24:25], 0x80000000, v[44:45]
	v_fmac_f64_e32 v[20:21], v[50:51], v[44:45]
	v_fmac_f64_e32 v[12:13], 0x80000000, v[44:45]
	v_fmac_f64_e32 v[22:23], v[70:71], v[44:45]
	s_clause 0x1
	global_load_b128 v[42:45], v[36:37], off offset:12400
	global_load_b128 v[82:85], v[36:37], off offset:12368
	global_load_b128 v[90:93], v27, s[4:5] offset:32 scale_offset
	s_wait_xcnt 0x1
	v_add_nc_u64_e32 v[36:37], 0x4000, v[36:37]
	s_wait_loadcnt 0xd
	v_fmac_f64_e32 v[14:15], v[120:121], v[58:59]
	v_fmac_f64_e32 v[10:11], 0, v[58:59]
	;; [unrolled: 1-line block ×16, first 2 shown]
	global_load_b128 v[50:53], v27, s[4:5] offset:48 scale_offset
	s_wait_loadcnt 0xd
	v_fmac_f64_e32 v[14:15], v[114:115], v[66:67]
	v_fmac_f64_e32 v[10:11], 0, v[66:67]
	v_fmac_f64_e32 v[18:19], v[106:107], v[66:67]
	v_fmac_f64_e32 v[16:17], 0, v[66:67]
	v_fmac_f64_e32 v[24:25], v[62:63], v[66:67]
	v_fmac_f64_e32 v[20:21], 0, v[66:67]
	v_fmac_f64_e32 v[12:13], v[54:55], v[66:67]
	v_fmac_f64_e32 v[22:23], 0, v[66:67]
	v_fmac_f64_e32 v[14:15], 0x80000000, v[68:69]
	v_fmac_f64_e32 v[10:11], v[114:115], v[68:69]
	v_fmac_f64_e32 v[18:19], 0x80000000, v[68:69]
	v_fmac_f64_e32 v[16:17], v[106:107], v[68:69]
	v_fmac_f64_e32 v[24:25], 0x80000000, v[68:69]
	v_fmac_f64_e32 v[20:21], v[62:63], v[68:69]
	v_fmac_f64_e32 v[12:13], 0x80000000, v[68:69]
	v_fmac_f64_e32 v[22:23], v[54:55], v[68:69]
	s_wait_loadcnt 0xc
	v_fmac_f64_e32 v[14:15], v[116:117], v[46:47]
	v_fmac_f64_e32 v[10:11], 0, v[46:47]
	v_fmac_f64_e32 v[18:19], v[108:109], v[46:47]
	v_fmac_f64_e32 v[16:17], 0, v[46:47]
	v_fmac_f64_e32 v[24:25], v[64:65], v[46:47]
	v_fmac_f64_e32 v[20:21], 0, v[46:47]
	v_fmac_f64_e32 v[12:13], v[56:57], v[46:47]
	v_fmac_f64_e32 v[22:23], 0, v[46:47]
	v_fmac_f64_e32 v[14:15], 0x80000000, v[48:49]
	v_fmac_f64_e32 v[10:11], v[116:117], v[48:49]
	v_fmac_f64_e32 v[18:19], 0x80000000, v[48:49]
	v_fmac_f64_e32 v[16:17], v[108:109], v[48:49]
	v_fmac_f64_e32 v[24:25], 0x80000000, v[48:49]
	v_fmac_f64_e32 v[20:21], v[64:65], v[48:49]
	v_fmac_f64_e32 v[12:13], 0x80000000, v[48:49]
	v_fmac_f64_e32 v[22:23], v[56:57], v[48:49]
	;; [unrolled: 17-line block ×6, first 2 shown]
	s_and_not1_b32 exec_lo, exec_lo, s7
	s_cbranch_execnz .LBB143_19
; %bb.20:
	s_or_b32 exec_lo, exec_lo, s7
.LBB143_21:
	s_delay_alu instid0(SALU_CYCLE_1)
	s_or_b32 exec_lo, exec_lo, s6
.LBB143_22:
	s_delay_alu instid0(SALU_CYCLE_1)
	s_or_b32 exec_lo, exec_lo, s3
	s_cbranch_execz .LBB143_24
	s_branch .LBB143_35
.LBB143_23:
                                        ; implicit-def: $vgpr10_vgpr11
                                        ; implicit-def: $vgpr14_vgpr15
                                        ; implicit-def: $vgpr16_vgpr17
                                        ; implicit-def: $vgpr18_vgpr19
                                        ; implicit-def: $vgpr20_vgpr21
                                        ; implicit-def: $vgpr24_vgpr25
                                        ; implicit-def: $vgpr22_vgpr23
                                        ; implicit-def: $vgpr12_vgpr13
.LBB143_24:
	v_mov_b64_e32 v[10:11], 0
	v_mov_b64_e32 v[14:15], 0
	;; [unrolled: 1-line block ×8, first 2 shown]
	s_and_saveexec_b32 s3, s2
	s_cbranch_execz .LBB143_34
; %bb.25:
	v_dual_mov_b32 v11, v1 :: v_dual_bitop2_b32 v10, 32, v0 bitop3:0x54
	v_sub_nc_u64_e32 v[12:13], s[12:13], v[0:1]
	v_not_b32_e32 v15, v35
	v_not_b32_e32 v14, v34
	v_mov_b64_e32 v[22:23], 0
	v_sub_nc_u64_e64 v[10:11], v[10:11], s[12:13]
	v_mov_b64_e32 v[24:25], 0
	v_mov_b64_e32 v[20:21], 0
	v_add_nc_u64_e32 v[12:13], v[12:13], v[14:15]
	v_mov_b64_e32 v[18:19], 0
	v_mov_b64_e32 v[16:17], 0
	;; [unrolled: 1-line block ×3, first 2 shown]
	v_add_nc_u64_e32 v[10:11], v[10:11], v[34:35]
	v_mov_b32_e32 v37, 0
	s_mov_b32 s2, exec_lo
	s_delay_alu instid0(VALU_DEP_2) | instskip(NEXT) | instid1(VALU_DEP_1)
	v_max_i64 v[10:11], v[10:11], v[30:31]
	v_add_nc_u64_e32 v[34:35], v[12:13], v[10:11]
	v_mov_b64_e32 v[12:13], 0
	v_mov_b64_e32 v[10:11], 0
	s_delay_alu instid0(VALU_DEP_3) | instskip(NEXT) | instid1(VALU_DEP_1)
	v_and_b32_e32 v36, 0x60, v34
	v_cmpx_ne_u64_e32 0x60, v[36:37]
	s_cbranch_execz .LBB143_29
; %bb.26:
	v_lshrrev_b32_e32 v1, 5, v34
	v_mov_b64_e32 v[10:11], 0
	v_mov_b64_e32 v[14:15], 0
	;; [unrolled: 1-line block ×4, first 2 shown]
	v_add_nc_u32_e32 v1, 1, v1
	v_mov_b64_e32 v[20:21], 0
	v_mov_b64_e32 v[24:25], 0
	;; [unrolled: 1-line block ×4, first 2 shown]
	v_and_b32_e32 v36, 3, v1
	v_lshl_add_u64 v[38:39], v[28:29], 2, s[8:9]
	s_mov_b32 s6, 0
	s_delay_alu instid0(VALU_DEP_2)
	v_sub_nc_u64_e32 v[36:37], 0, v[36:37]
.LBB143_27:                             ; =>This Inner Loop Header: Depth=1
	global_load_b32 v1, v[38:39], off
	s_clause 0x1
	global_load_b128 v[40:43], v[32:33], off offset:16
	global_load_b128 v[44:47], v[32:33], off
	v_add_nc_u64_e32 v[36:37], 1, v[36:37]
	v_add_nc_u64_e32 v[28:29], 32, v[28:29]
	s_wait_xcnt 0x2
	v_add_nc_u64_e32 v[38:39], 0x80, v[38:39]
	s_delay_alu instid0(VALU_DEP_3) | instskip(SKIP_3) | instid1(VALU_DEP_1)
	v_cmp_eq_u64_e32 vcc_lo, 0, v[36:37]
	s_or_b32 s6, vcc_lo, s6
	s_wait_loadcnt 0x2
	v_subrev_nc_u32_e32 v1, s12, v1
	v_lshlrev_b32_e32 v1, 2, v1
	s_wait_kmcnt 0x0
	s_clause 0x1
	global_load_b128 v[48:51], v1, s[4:5] scale_offset
	global_load_b128 v[52:55], v1, s[4:5] offset:16 scale_offset
	s_clause 0x3
	global_load_b128 v[56:59], v[32:33], off offset:32
	global_load_b128 v[60:63], v[32:33], off offset:48
	;; [unrolled: 1-line block ×4, first 2 shown]
	s_clause 0x1
	global_load_b128 v[72:75], v1, s[4:5] offset:32 scale_offset
	global_load_b128 v[76:79], v1, s[4:5] offset:48 scale_offset
	s_clause 0x1
	global_load_b128 v[80:83], v[32:33], off offset:96
	global_load_b128 v[84:87], v[32:33], off offset:112
	s_wait_xcnt 0x0
	v_add_nc_u64_e32 v[32:33], 0x1000, v[32:33]
	s_wait_loadcnt 0x9
	v_fmac_f64_e32 v[14:15], v[44:45], v[48:49]
	v_fmac_f64_e32 v[10:11], 0, v[48:49]
	;; [unrolled: 1-line block ×16, first 2 shown]
	s_wait_loadcnt 0x7
	v_fmac_f64_e32 v[14:15], v[56:57], v[52:53]
	v_fmac_f64_e32 v[10:11], 0, v[52:53]
	;; [unrolled: 1-line block ×4, first 2 shown]
	s_wait_loadcnt 0x6
	v_fmac_f64_e32 v[24:25], v[60:61], v[52:53]
	v_fmac_f64_e32 v[20:21], 0, v[52:53]
	;; [unrolled: 1-line block ×12, first 2 shown]
	s_wait_loadcnt 0x3
	v_fmac_f64_e32 v[14:15], v[68:69], v[72:73]
	v_fmac_f64_e32 v[10:11], 0, v[72:73]
	;; [unrolled: 1-line block ×16, first 2 shown]
	s_wait_loadcnt 0x1
	v_fmac_f64_e32 v[14:15], v[80:81], v[76:77]
	v_fmac_f64_e32 v[10:11], 0, v[76:77]
	;; [unrolled: 1-line block ×4, first 2 shown]
	s_wait_loadcnt 0x0
	v_fmac_f64_e32 v[24:25], v[84:85], v[76:77]
	v_fmac_f64_e32 v[20:21], 0, v[76:77]
	v_fmac_f64_e32 v[12:13], v[86:87], v[76:77]
	v_fmac_f64_e32 v[22:23], 0, v[76:77]
	v_fmac_f64_e32 v[14:15], 0x80000000, v[78:79]
	v_fmac_f64_e32 v[10:11], v[80:81], v[78:79]
	v_fmac_f64_e32 v[18:19], 0x80000000, v[78:79]
	v_fmac_f64_e32 v[16:17], v[82:83], v[78:79]
	v_fmac_f64_e32 v[24:25], 0x80000000, v[78:79]
	v_fmac_f64_e32 v[20:21], v[84:85], v[78:79]
	v_fmac_f64_e32 v[12:13], 0x80000000, v[78:79]
	v_fmac_f64_e32 v[22:23], v[86:87], v[78:79]
	s_and_not1_b32 exec_lo, exec_lo, s6
	s_cbranch_execnz .LBB143_27
; %bb.28:
	s_or_b32 exec_lo, exec_lo, s6
.LBB143_29:
	s_delay_alu instid0(SALU_CYCLE_1) | instskip(NEXT) | instid1(SALU_CYCLE_1)
	s_or_b32 exec_lo, exec_lo, s2
	s_mov_b32 s2, exec_lo
	v_cmpx_lt_u64_e32 0x5f, v[34:35]
	s_cbranch_execz .LBB143_33
; %bb.30:
	v_lshl_add_u64 v[34:35], v[28:29], 2, s[8:9]
	s_mov_b32 s6, 0
	s_delay_alu instid0(VALU_DEP_1)
	v_add_nc_u64_e32 v[34:35], 0x100, v[34:35]
.LBB143_31:                             ; =>This Inner Loop Header: Depth=1
	s_clause 0x1
	global_load_b32 v1, v[34:35], off offset:-256
	global_load_b32 v27, v[34:35], off offset:-128
	s_clause 0x1
	global_load_b128 v[36:39], v[32:33], off offset:16
	global_load_b128 v[40:43], v[32:33], off
	s_clause 0x1
	global_load_b32 v108, v[34:35], off
	global_load_b32 v109, v[34:35], off offset:128
	v_add_nc_u64_e32 v[28:29], 0x80, v[28:29]
	s_wait_xcnt 0x0
	v_add_nc_u64_e32 v[34:35], 0x200, v[34:35]
	s_delay_alu instid0(VALU_DEP_2) | instskip(SKIP_3) | instid1(VALU_DEP_1)
	v_cmp_ge_i64_e32 vcc_lo, v[28:29], v[30:31]
	s_or_b32 s6, vcc_lo, s6
	s_wait_loadcnt 0x5
	v_subrev_nc_u32_e32 v1, s12, v1
	v_lshlrev_b32_e32 v1, 2, v1
	s_wait_kmcnt 0x0
	global_load_b128 v[44:47], v1, s[4:5] scale_offset
	s_clause 0x1
	global_load_b128 v[48:51], v[32:33], off offset:48
	global_load_b128 v[52:55], v[32:33], off offset:32
	global_load_b128 v[56:59], v1, s[4:5] offset:16 scale_offset
	s_clause 0x1
	global_load_b128 v[60:63], v[32:33], off offset:80
	global_load_b128 v[64:67], v[32:33], off offset:64
	global_load_b128 v[68:71], v1, s[4:5] offset:32 scale_offset
	;; [unrolled: 4-line block ×3, first 2 shown]
	s_clause 0x1
	global_load_b128 v[84:87], v[32:33], off offset:4112
	global_load_b128 v[88:91], v[32:33], off offset:4096
	s_wait_loadcnt 0x10
	s_wait_xcnt 0x2
	v_subrev_nc_u32_e32 v1, s12, v27
	s_delay_alu instid0(VALU_DEP_1)
	v_lshlrev_b32_e32 v1, 2, v1
	global_load_b128 v[92:95], v1, s[4:5] scale_offset
	s_clause 0x1
	global_load_b128 v[96:99], v[32:33], off offset:4144
	global_load_b128 v[100:103], v[32:33], off offset:4128
	global_load_b128 v[104:107], v1, s[4:5] offset:16 scale_offset
	s_wait_loadcnt 0xf
	v_fmac_f64_e32 v[14:15], v[40:41], v[44:45]
	v_fmac_f64_e32 v[10:11], 0, v[44:45]
	v_fmac_f64_e32 v[18:19], v[42:43], v[44:45]
	v_fmac_f64_e32 v[16:17], 0, v[44:45]
	v_fmac_f64_e32 v[24:25], v[36:37], v[44:45]
	v_fmac_f64_e32 v[20:21], 0, v[44:45]
	v_fmac_f64_e32 v[12:13], v[38:39], v[44:45]
	v_fmac_f64_e32 v[22:23], 0, v[44:45]
	v_fmac_f64_e32 v[14:15], 0x80000000, v[46:47]
	v_fmac_f64_e32 v[10:11], v[40:41], v[46:47]
	v_fmac_f64_e32 v[18:19], 0x80000000, v[46:47]
	v_fmac_f64_e32 v[16:17], v[42:43], v[46:47]
	v_fmac_f64_e32 v[24:25], 0x80000000, v[46:47]
	v_fmac_f64_e32 v[20:21], v[36:37], v[46:47]
	v_fmac_f64_e32 v[12:13], 0x80000000, v[46:47]
	v_fmac_f64_e32 v[22:23], v[38:39], v[46:47]
	s_clause 0x1
	global_load_b128 v[36:39], v[32:33], off offset:4176
	global_load_b128 v[40:43], v[32:33], off offset:4160
	global_load_b128 v[44:47], v1, s[4:5] offset:32 scale_offset
	s_wait_loadcnt 0xf
	v_fmac_f64_e32 v[14:15], v[52:53], v[56:57]
	v_fmac_f64_e32 v[10:11], 0, v[56:57]
	;; [unrolled: 1-line block ×16, first 2 shown]
	s_clause 0x1
	global_load_b128 v[48:51], v[32:33], off offset:4208
	global_load_b128 v[52:55], v[32:33], off offset:4192
	global_load_b128 v[56:59], v1, s[4:5] offset:48 scale_offset
	s_wait_xcnt 0x0
	v_subrev_nc_u32_e32 v1, s12, v108
	s_delay_alu instid0(VALU_DEP_1)
	v_lshlrev_b32_e32 v1, 2, v1
	s_wait_loadcnt 0xf
	v_fmac_f64_e32 v[14:15], v[64:65], v[68:69]
	v_fmac_f64_e32 v[10:11], 0, v[68:69]
	;; [unrolled: 1-line block ×16, first 2 shown]
	s_clause 0x1
	global_load_b128 v[60:63], v[32:33], off offset:8208
	global_load_b128 v[64:67], v[32:33], off offset:8192
	global_load_b128 v[68:71], v1, s[4:5] scale_offset
	s_wait_loadcnt 0xf
	v_fmac_f64_e32 v[14:15], v[76:77], v[80:81]
	v_fmac_f64_e32 v[10:11], 0, v[80:81]
	v_fmac_f64_e32 v[18:19], v[78:79], v[80:81]
	v_fmac_f64_e32 v[16:17], 0, v[80:81]
	v_fmac_f64_e32 v[24:25], v[72:73], v[80:81]
	v_fmac_f64_e32 v[20:21], 0, v[80:81]
	v_fmac_f64_e32 v[12:13], v[74:75], v[80:81]
	v_fmac_f64_e32 v[22:23], 0, v[80:81]
	v_fmac_f64_e32 v[14:15], 0x80000000, v[82:83]
	v_fmac_f64_e32 v[10:11], v[76:77], v[82:83]
	v_fmac_f64_e32 v[18:19], 0x80000000, v[82:83]
	v_fmac_f64_e32 v[16:17], v[78:79], v[82:83]
	v_fmac_f64_e32 v[24:25], 0x80000000, v[82:83]
	v_fmac_f64_e32 v[20:21], v[72:73], v[82:83]
	v_fmac_f64_e32 v[12:13], 0x80000000, v[82:83]
	v_fmac_f64_e32 v[22:23], v[74:75], v[82:83]
	s_clause 0x1
	global_load_b128 v[72:75], v[32:33], off offset:8240
	global_load_b128 v[76:79], v[32:33], off offset:8224
	global_load_b128 v[80:83], v1, s[4:5] offset:16 scale_offset
	s_wait_loadcnt 0xf
	v_fmac_f64_e32 v[14:15], v[88:89], v[92:93]
	v_fmac_f64_e32 v[10:11], 0, v[92:93]
	v_fmac_f64_e32 v[18:19], v[90:91], v[92:93]
	v_fmac_f64_e32 v[16:17], 0, v[92:93]
	v_fmac_f64_e32 v[24:25], v[84:85], v[92:93]
	v_fmac_f64_e32 v[20:21], 0, v[92:93]
	v_fmac_f64_e32 v[12:13], v[86:87], v[92:93]
	v_fmac_f64_e32 v[22:23], 0, v[92:93]
	v_fmac_f64_e32 v[14:15], 0x80000000, v[94:95]
	v_fmac_f64_e32 v[10:11], v[88:89], v[94:95]
	v_fmac_f64_e32 v[18:19], 0x80000000, v[94:95]
	v_fmac_f64_e32 v[16:17], v[90:91], v[94:95]
	v_fmac_f64_e32 v[24:25], 0x80000000, v[94:95]
	v_fmac_f64_e32 v[20:21], v[84:85], v[94:95]
	v_fmac_f64_e32 v[12:13], 0x80000000, v[94:95]
	v_fmac_f64_e32 v[22:23], v[86:87], v[94:95]
	s_clause 0x1
	global_load_b128 v[84:87], v[32:33], off offset:8272
	global_load_b128 v[88:91], v[32:33], off offset:8256
	global_load_b128 v[92:95], v1, s[4:5] offset:32 scale_offset
	;; [unrolled: 21-line block ×3, first 2 shown]
	s_wait_xcnt 0x0
	v_subrev_nc_u32_e32 v1, s12, v109
	s_delay_alu instid0(VALU_DEP_1)
	v_lshlrev_b32_e32 v1, 2, v1
	s_wait_loadcnt 0xf
	v_fmac_f64_e32 v[14:15], v[40:41], v[44:45]
	v_fmac_f64_e32 v[10:11], 0, v[44:45]
	;; [unrolled: 1-line block ×16, first 2 shown]
	s_clause 0x1
	global_load_b128 v[36:39], v[32:33], off offset:12304
	global_load_b128 v[40:43], v[32:33], off offset:12288
	s_clause 0x1
	global_load_b128 v[44:47], v1, s[4:5] offset:16 scale_offset
	global_load_b128 v[108:111], v1, s[4:5] scale_offset
	s_wait_loadcnt 0x10
	v_fmac_f64_e32 v[14:15], v[52:53], v[56:57]
	v_fmac_f64_e32 v[10:11], 0, v[56:57]
	;; [unrolled: 1-line block ×16, first 2 shown]
	s_clause 0x1
	global_load_b128 v[48:51], v[32:33], off offset:12336
	global_load_b128 v[52:55], v[32:33], off offset:12320
	s_wait_loadcnt 0xf
	v_fmac_f64_e32 v[14:15], v[64:65], v[68:69]
	v_fmac_f64_e32 v[10:11], 0, v[68:69]
	;; [unrolled: 1-line block ×16, first 2 shown]
	s_clause 0x1
	global_load_b128 v[56:59], v[32:33], off offset:12368
	global_load_b128 v[60:63], v[32:33], off offset:12352
	global_load_b128 v[64:67], v1, s[4:5] offset:32 scale_offset
	s_wait_loadcnt 0xf
	v_fmac_f64_e32 v[14:15], v[76:77], v[80:81]
	v_fmac_f64_e32 v[10:11], 0, v[80:81]
	;; [unrolled: 1-line block ×16, first 2 shown]
	s_clause 0x1
	global_load_b128 v[68:71], v[32:33], off offset:12384
	global_load_b128 v[72:75], v[32:33], off offset:12400
	global_load_b128 v[76:79], v1, s[4:5] offset:48 scale_offset
	s_wait_xcnt 0x1
	v_add_nc_u64_e32 v[32:33], 0x4000, v[32:33]
	s_wait_loadcnt 0xf
	v_fmac_f64_e32 v[14:15], v[88:89], v[92:93]
	v_fmac_f64_e32 v[10:11], 0, v[92:93]
	v_fmac_f64_e32 v[18:19], v[90:91], v[92:93]
	v_fmac_f64_e32 v[16:17], 0, v[92:93]
	v_fmac_f64_e32 v[24:25], v[84:85], v[92:93]
	v_fmac_f64_e32 v[20:21], 0, v[92:93]
	v_fmac_f64_e32 v[12:13], v[86:87], v[92:93]
	v_fmac_f64_e32 v[22:23], 0, v[92:93]
	v_fmac_f64_e32 v[14:15], 0x80000000, v[94:95]
	v_fmac_f64_e32 v[10:11], v[88:89], v[94:95]
	v_fmac_f64_e32 v[18:19], 0x80000000, v[94:95]
	v_fmac_f64_e32 v[16:17], v[90:91], v[94:95]
	v_fmac_f64_e32 v[24:25], 0x80000000, v[94:95]
	v_fmac_f64_e32 v[20:21], v[84:85], v[94:95]
	v_fmac_f64_e32 v[12:13], 0x80000000, v[94:95]
	v_fmac_f64_e32 v[22:23], v[86:87], v[94:95]
	s_wait_loadcnt 0xc
	v_fmac_f64_e32 v[14:15], v[100:101], v[104:105]
	v_fmac_f64_e32 v[10:11], 0, v[104:105]
	v_fmac_f64_e32 v[18:19], v[102:103], v[104:105]
	v_fmac_f64_e32 v[16:17], 0, v[104:105]
	v_fmac_f64_e32 v[24:25], v[96:97], v[104:105]
	v_fmac_f64_e32 v[20:21], 0, v[104:105]
	v_fmac_f64_e32 v[12:13], v[98:99], v[104:105]
	v_fmac_f64_e32 v[22:23], 0, v[104:105]
	v_fmac_f64_e32 v[14:15], 0x80000000, v[106:107]
	v_fmac_f64_e32 v[10:11], v[100:101], v[106:107]
	v_fmac_f64_e32 v[18:19], 0x80000000, v[106:107]
	v_fmac_f64_e32 v[16:17], v[102:103], v[106:107]
	v_fmac_f64_e32 v[24:25], 0x80000000, v[106:107]
	v_fmac_f64_e32 v[20:21], v[96:97], v[106:107]
	v_fmac_f64_e32 v[12:13], 0x80000000, v[106:107]
	v_fmac_f64_e32 v[22:23], v[98:99], v[106:107]
	;; [unrolled: 17-line block ×6, first 2 shown]
	s_and_not1_b32 exec_lo, exec_lo, s6
	s_cbranch_execnz .LBB143_31
; %bb.32:
	s_or_b32 exec_lo, exec_lo, s6
.LBB143_33:
	s_delay_alu instid0(SALU_CYCLE_1)
	s_or_b32 exec_lo, exec_lo, s2
.LBB143_34:
	s_delay_alu instid0(SALU_CYCLE_1)
	s_or_b32 exec_lo, exec_lo, s3
.LBB143_35:
	v_mbcnt_lo_u32_b32 v1, -1, 0
	s_delay_alu instid0(VALU_DEP_1) | instskip(NEXT) | instid1(VALU_DEP_1)
	v_xor_b32_e32 v27, 16, v1
	v_cmp_gt_i32_e32 vcc_lo, 32, v27
	v_cndmask_b32_e32 v27, v1, v27, vcc_lo
	s_delay_alu instid0(VALU_DEP_1)
	v_lshlrev_b32_e32 v27, 2, v27
	ds_bpermute_b32 v32, v27, v18
	ds_bpermute_b32 v33, v27, v19
	s_wait_dscnt 0x0
	v_add_f64_e32 v[18:19], v[18:19], v[32:33]
	ds_bpermute_b32 v28, v27, v14
	ds_bpermute_b32 v29, v27, v15
	;; [unrolled: 1-line block ×14, first 2 shown]
	v_xor_b32_e32 v27, 8, v1
	s_delay_alu instid0(VALU_DEP_1)
	v_cmp_gt_i32_e32 vcc_lo, 32, v27
	s_wait_dscnt 0xc
	v_add_f64_e32 v[14:15], v[14:15], v[28:29]
	s_wait_dscnt 0xa
	v_add_f64_e32 v[10:11], v[10:11], v[30:31]
	v_cndmask_b32_e32 v27, v1, v27, vcc_lo
	s_wait_dscnt 0x8
	v_add_f64_e32 v[16:17], v[16:17], v[34:35]
	s_wait_dscnt 0x6
	s_delay_alu instid0(VALU_DEP_2)
	v_dual_add_f64 v[24:25], v[24:25], v[36:37] :: v_dual_lshlrev_b32 v27, 2, v27
	s_wait_dscnt 0x4
	v_add_f64_e32 v[20:21], v[20:21], v[38:39]
	s_wait_dscnt 0x2
	v_add_f64_e32 v[12:13], v[12:13], v[40:41]
	;; [unrolled: 2-line block ×3, first 2 shown]
	ds_bpermute_b32 v32, v27, v18
	ds_bpermute_b32 v33, v27, v19
	ds_bpermute_b32 v28, v27, v14
	ds_bpermute_b32 v29, v27, v15
	ds_bpermute_b32 v30, v27, v10
	ds_bpermute_b32 v31, v27, v11
	ds_bpermute_b32 v34, v27, v16
	ds_bpermute_b32 v35, v27, v17
	ds_bpermute_b32 v36, v27, v24
	ds_bpermute_b32 v37, v27, v25
	ds_bpermute_b32 v38, v27, v20
	ds_bpermute_b32 v39, v27, v21
	ds_bpermute_b32 v40, v27, v12
	ds_bpermute_b32 v41, v27, v13
	ds_bpermute_b32 v42, v27, v22
	ds_bpermute_b32 v43, v27, v23
	v_xor_b32_e32 v27, 4, v1
	s_delay_alu instid0(VALU_DEP_1)
	v_cmp_gt_i32_e32 vcc_lo, 32, v27
	s_wait_dscnt 0xc
	v_add_f64_e32 v[14:15], v[14:15], v[28:29]
	v_add_f64_e32 v[18:19], v[18:19], v[32:33]
	s_wait_dscnt 0xa
	v_add_f64_e32 v[10:11], v[10:11], v[30:31]
	v_cndmask_b32_e32 v27, v1, v27, vcc_lo
	s_wait_dscnt 0x8
	v_add_f64_e32 v[16:17], v[16:17], v[34:35]
	s_delay_alu instid0(VALU_DEP_2)
	v_lshlrev_b32_e32 v27, 2, v27
	s_wait_dscnt 0x4
	v_add_f64_e32 v[20:21], v[20:21], v[38:39]
	s_wait_dscnt 0x2
	v_add_f64_e32 v[12:13], v[12:13], v[40:41]
	ds_bpermute_b32 v28, v27, v14
	ds_bpermute_b32 v29, v27, v15
	ds_bpermute_b32 v30, v27, v10
	ds_bpermute_b32 v31, v27, v11
	ds_bpermute_b32 v32, v27, v18
	ds_bpermute_b32 v33, v27, v19
	ds_bpermute_b32 v34, v27, v16
	ds_bpermute_b32 v35, v27, v17
	ds_bpermute_b32 v38, v27, v20
	ds_bpermute_b32 v39, v27, v21
	ds_bpermute_b32 v40, v27, v12
	ds_bpermute_b32 v41, v27, v13
	s_wait_dscnt 0xa
	v_add_f64_e32 v[14:15], v[14:15], v[28:29]
	s_wait_dscnt 0x8
	v_dual_add_f64 v[28:29], v[10:11], v[30:31] :: v_dual_bitop2_b32 v10, 2, v1 bitop3:0x14
	v_add_f64_e32 v[22:23], v[22:23], v[42:43]
	s_wait_dscnt 0x6
	v_add_f64_e32 v[18:19], v[18:19], v[32:33]
	s_wait_dscnt 0x4
	v_add_f64_e32 v[16:17], v[16:17], v[34:35]
	v_cmp_gt_i32_e32 vcc_lo, 32, v10
	s_wait_dscnt 0x2
	v_add_f64_e32 v[20:21], v[20:21], v[38:39]
	s_wait_dscnt 0x0
	v_add_f64_e32 v[34:35], v[12:13], v[40:41]
	v_cndmask_b32_e32 v10, v1, v10, vcc_lo
	v_add_f64_e32 v[24:25], v[24:25], v[36:37]
	ds_bpermute_b32 v42, v27, v22
	ds_bpermute_b32 v43, v27, v23
	;; [unrolled: 1-line block ×4, first 2 shown]
	v_lshlrev_b32_e32 v27, 2, v10
	ds_bpermute_b32 v10, v27, v14
	ds_bpermute_b32 v11, v27, v15
	ds_bpermute_b32 v12, v27, v28
	ds_bpermute_b32 v13, v27, v29
	s_wait_dscnt 0x6
	v_add_f64_e32 v[22:23], v[22:23], v[42:43]
	ds_bpermute_b32 v40, v27, v20
	ds_bpermute_b32 v41, v27, v21
	ds_bpermute_b32 v42, v27, v34
	ds_bpermute_b32 v43, v27, v35
	s_wait_dscnt 0x8
	v_add_f64_e32 v[32:33], v[24:25], v[36:37]
	;; [unrolled: 6-line block ×3, first 2 shown]
	s_wait_dscnt 0x8
	v_add_f64_e32 v[30:31], v[28:29], v[12:13]
	s_wait_dscnt 0x6
	v_add_f64_e32 v[20:21], v[20:21], v[40:41]
	ds_bpermute_b32 v44, v27, v22
	ds_bpermute_b32 v45, v27, v23
	s_wait_dscnt 0x4
	v_add_f64_e32 v[12:13], v[18:19], v[24:25]
	s_wait_dscnt 0x2
	v_add_f64_e32 v[24:25], v[16:17], v[36:37]
	v_add_f64_e32 v[16:17], v[34:35], v[42:43]
	ds_bpermute_b32 v38, v27, v32
	ds_bpermute_b32 v39, v27, v33
	s_wait_dscnt 0x2
	v_add_f64_e32 v[18:19], v[22:23], v[44:45]
	v_xor_b32_e32 v22, 1, v1
	s_delay_alu instid0(VALU_DEP_1) | instskip(SKIP_4) | instid1(VALU_DEP_2)
	v_cmp_gt_i32_e32 vcc_lo, 32, v22
	s_wait_dscnt 0x0
	v_add_f64_e32 v[14:15], v[32:33], v[38:39]
	v_cndmask_b32_e32 v1, v1, v22, vcc_lo
	v_cmp_eq_u32_e32 vcc_lo, 31, v0
	v_lshlrev_b32_e32 v1, 2, v1
	ds_bpermute_b32 v22, v1, v10
	ds_bpermute_b32 v23, v1, v11
	ds_bpermute_b32 v42, v1, v30
	ds_bpermute_b32 v43, v1, v31
	ds_bpermute_b32 v28, v1, v12
	ds_bpermute_b32 v29, v1, v13
	ds_bpermute_b32 v40, v1, v24
	ds_bpermute_b32 v41, v1, v25
	ds_bpermute_b32 v38, v1, v20
	ds_bpermute_b32 v39, v1, v21
	ds_bpermute_b32 v34, v1, v16
	ds_bpermute_b32 v35, v1, v17
	ds_bpermute_b32 v36, v1, v18
	ds_bpermute_b32 v37, v1, v19
	ds_bpermute_b32 v32, v1, v14
	ds_bpermute_b32 v33, v1, v15
	s_and_b32 exec_lo, exec_lo, vcc_lo
	s_cbranch_execz .LBB143_8
; %bb.36:
	s_wait_dscnt 0xc
	v_add_f64_e32 v[0:1], v[30:31], v[42:43]
	s_wait_dscnt 0x8
	v_add_f64_e32 v[30:31], v[24:25], v[40:41]
	;; [unrolled: 2-line block ×4, first 2 shown]
	v_add_f64_e32 v[40:41], v[10:11], v[22:23]
	v_add_f64_e32 v[28:29], v[12:13], v[28:29]
	s_wait_dscnt 0x0
	v_add_f64_e32 v[32:33], v[14:15], v[32:33]
	v_add_f64_e32 v[34:35], v[16:17], v[34:35]
	v_cmp_eq_f64_e32 vcc_lo, 0, v[2:3]
	v_cmp_eq_f64_e64 s2, 0, v[4:5]
	s_load_b64 s[0:1], s[0:1], 0x60
	v_mul_f64_e64 v[22:23], v[0:1], -v[8:9]
	v_mul_f64_e32 v[24:25], v[6:7], v[0:1]
	v_mul_f64_e64 v[14:15], v[38:39], -v[8:9]
	v_mul_f64_e32 v[16:17], v[6:7], v[38:39]
	v_mul_f64_e64 v[10:11], v[36:37], -v[8:9]
	v_dual_mul_f64 v[12:13], v[6:7], v[36:37] :: v_dual_lshlrev_b32 v0, 2, v26
	v_mul_f64_e64 v[18:19], v[30:31], -v[8:9]
	v_mul_f64_e32 v[20:21], v[6:7], v[30:31]
	s_and_b32 s2, vcc_lo, s2
	v_fmac_f64_e32 v[22:23], v[6:7], v[40:41]
	v_fmac_f64_e32 v[24:25], v[8:9], v[40:41]
	;; [unrolled: 1-line block ×8, first 2 shown]
	s_and_saveexec_b32 s3, s2
	s_delay_alu instid0(SALU_CYCLE_1)
	s_xor_b32 s2, exec_lo, s3
	s_cbranch_execz .LBB143_38
; %bb.37:
	s_wait_kmcnt 0x0
	s_clause 0x3
	global_store_b128 v0, v[22:25], s[0:1] scale_offset
	global_store_b128 v0, v[18:21], s[0:1] offset:16 scale_offset
	global_store_b128 v0, v[14:17], s[0:1] offset:32 scale_offset
	;; [unrolled: 1-line block ×3, first 2 shown]
                                        ; implicit-def: $vgpr4_vgpr5
                                        ; implicit-def: $vgpr22_vgpr23
                                        ; implicit-def: $vgpr0
                                        ; implicit-def: $vgpr18_vgpr19
                                        ; implicit-def: $vgpr14_vgpr15
                                        ; implicit-def: $vgpr10_vgpr11
.LBB143_38:
	s_wait_xcnt 0x0
	s_and_not1_saveexec_b32 s2, s2
	s_cbranch_execz .LBB143_8
; %bb.39:
	s_wait_kmcnt 0x0
	s_clause 0x3
	global_load_b128 v[6:9], v0, s[0:1] scale_offset
	global_load_b128 v[26:29], v0, s[0:1] offset:16 scale_offset
	global_load_b128 v[30:33], v0, s[0:1] offset:32 scale_offset
	;; [unrolled: 1-line block ×3, first 2 shown]
	s_wait_loadcnt 0x3
	v_fmac_f64_e32 v[22:23], v[2:3], v[6:7]
	v_fmac_f64_e32 v[24:25], v[4:5], v[6:7]
	s_wait_loadcnt 0x2
	v_fmac_f64_e32 v[18:19], v[2:3], v[26:27]
	v_fmac_f64_e32 v[20:21], v[4:5], v[26:27]
	s_wait_loadcnt 0x1
	v_fmac_f64_e32 v[14:15], v[2:3], v[30:31]
	v_fmac_f64_e32 v[16:17], v[4:5], v[30:31]
	s_wait_loadcnt 0x0
	v_fmac_f64_e32 v[10:11], v[2:3], v[34:35]
	v_fmac_f64_e32 v[12:13], v[4:5], v[34:35]
	v_fma_f64 v[22:23], -v[4:5], v[8:9], v[22:23]
	v_fmac_f64_e32 v[24:25], v[2:3], v[8:9]
	v_fma_f64 v[18:19], -v[4:5], v[28:29], v[18:19]
	v_fmac_f64_e32 v[20:21], v[2:3], v[28:29]
	v_fma_f64 v[14:15], -v[4:5], v[32:33], v[14:15]
	v_fmac_f64_e32 v[16:17], v[2:3], v[32:33]
	v_fma_f64 v[10:11], -v[4:5], v[36:37], v[10:11]
	v_fmac_f64_e32 v[12:13], v[2:3], v[36:37]
	s_clause 0x3
	global_store_b128 v0, v[22:25], s[0:1] scale_offset
	global_store_b128 v0, v[18:21], s[0:1] offset:16 scale_offset
	global_store_b128 v0, v[14:17], s[0:1] offset:32 scale_offset
	;; [unrolled: 1-line block ×3, first 2 shown]
	s_sendmsg sendmsg(MSG_DEALLOC_VGPRS)
	s_endpgm
	.section	.rodata,"a",@progbits
	.p2align	6, 0x0
	.amdhsa_kernel _ZN9rocsparseL18bsrxmvn_4x4_kernelILj128ELj32E21rocsparse_complex_numIdElidS2_S2_EEvT3_20rocsparse_direction_NS_24const_host_device_scalarIT1_EES3_PKS3_PKT2_SC_S9_PKT4_PKT5_S7_PT6_21rocsparse_index_base_b
		.amdhsa_group_segment_fixed_size 0
		.amdhsa_private_segment_fixed_size 0
		.amdhsa_kernarg_size 112
		.amdhsa_user_sgpr_count 2
		.amdhsa_user_sgpr_dispatch_ptr 0
		.amdhsa_user_sgpr_queue_ptr 0
		.amdhsa_user_sgpr_kernarg_segment_ptr 1
		.amdhsa_user_sgpr_dispatch_id 0
		.amdhsa_user_sgpr_kernarg_preload_length 0
		.amdhsa_user_sgpr_kernarg_preload_offset 0
		.amdhsa_user_sgpr_private_segment_size 0
		.amdhsa_wavefront_size32 1
		.amdhsa_uses_dynamic_stack 0
		.amdhsa_enable_private_segment 0
		.amdhsa_system_sgpr_workgroup_id_x 1
		.amdhsa_system_sgpr_workgroup_id_y 0
		.amdhsa_system_sgpr_workgroup_id_z 0
		.amdhsa_system_sgpr_workgroup_info 0
		.amdhsa_system_vgpr_workitem_id 0
		.amdhsa_next_free_vgpr 141
		.amdhsa_next_free_sgpr 14
		.amdhsa_named_barrier_count 0
		.amdhsa_reserve_vcc 1
		.amdhsa_float_round_mode_32 0
		.amdhsa_float_round_mode_16_64 0
		.amdhsa_float_denorm_mode_32 3
		.amdhsa_float_denorm_mode_16_64 3
		.amdhsa_fp16_overflow 0
		.amdhsa_memory_ordered 1
		.amdhsa_forward_progress 1
		.amdhsa_inst_pref_size 64
		.amdhsa_round_robin_scheduling 0
		.amdhsa_exception_fp_ieee_invalid_op 0
		.amdhsa_exception_fp_denorm_src 0
		.amdhsa_exception_fp_ieee_div_zero 0
		.amdhsa_exception_fp_ieee_overflow 0
		.amdhsa_exception_fp_ieee_underflow 0
		.amdhsa_exception_fp_ieee_inexact 0
		.amdhsa_exception_int_div_zero 0
	.end_amdhsa_kernel
	.section	.text._ZN9rocsparseL18bsrxmvn_4x4_kernelILj128ELj32E21rocsparse_complex_numIdElidS2_S2_EEvT3_20rocsparse_direction_NS_24const_host_device_scalarIT1_EES3_PKS3_PKT2_SC_S9_PKT4_PKT5_S7_PT6_21rocsparse_index_base_b,"axG",@progbits,_ZN9rocsparseL18bsrxmvn_4x4_kernelILj128ELj32E21rocsparse_complex_numIdElidS2_S2_EEvT3_20rocsparse_direction_NS_24const_host_device_scalarIT1_EES3_PKS3_PKT2_SC_S9_PKT4_PKT5_S7_PT6_21rocsparse_index_base_b,comdat
.Lfunc_end143:
	.size	_ZN9rocsparseL18bsrxmvn_4x4_kernelILj128ELj32E21rocsparse_complex_numIdElidS2_S2_EEvT3_20rocsparse_direction_NS_24const_host_device_scalarIT1_EES3_PKS3_PKT2_SC_S9_PKT4_PKT5_S7_PT6_21rocsparse_index_base_b, .Lfunc_end143-_ZN9rocsparseL18bsrxmvn_4x4_kernelILj128ELj32E21rocsparse_complex_numIdElidS2_S2_EEvT3_20rocsparse_direction_NS_24const_host_device_scalarIT1_EES3_PKS3_PKT2_SC_S9_PKT4_PKT5_S7_PT6_21rocsparse_index_base_b
                                        ; -- End function
	.set _ZN9rocsparseL18bsrxmvn_4x4_kernelILj128ELj32E21rocsparse_complex_numIdElidS2_S2_EEvT3_20rocsparse_direction_NS_24const_host_device_scalarIT1_EES3_PKS3_PKT2_SC_S9_PKT4_PKT5_S7_PT6_21rocsparse_index_base_b.num_vgpr, 141
	.set _ZN9rocsparseL18bsrxmvn_4x4_kernelILj128ELj32E21rocsparse_complex_numIdElidS2_S2_EEvT3_20rocsparse_direction_NS_24const_host_device_scalarIT1_EES3_PKS3_PKT2_SC_S9_PKT4_PKT5_S7_PT6_21rocsparse_index_base_b.num_agpr, 0
	.set _ZN9rocsparseL18bsrxmvn_4x4_kernelILj128ELj32E21rocsparse_complex_numIdElidS2_S2_EEvT3_20rocsparse_direction_NS_24const_host_device_scalarIT1_EES3_PKS3_PKT2_SC_S9_PKT4_PKT5_S7_PT6_21rocsparse_index_base_b.numbered_sgpr, 14
	.set _ZN9rocsparseL18bsrxmvn_4x4_kernelILj128ELj32E21rocsparse_complex_numIdElidS2_S2_EEvT3_20rocsparse_direction_NS_24const_host_device_scalarIT1_EES3_PKS3_PKT2_SC_S9_PKT4_PKT5_S7_PT6_21rocsparse_index_base_b.num_named_barrier, 0
	.set _ZN9rocsparseL18bsrxmvn_4x4_kernelILj128ELj32E21rocsparse_complex_numIdElidS2_S2_EEvT3_20rocsparse_direction_NS_24const_host_device_scalarIT1_EES3_PKS3_PKT2_SC_S9_PKT4_PKT5_S7_PT6_21rocsparse_index_base_b.private_seg_size, 0
	.set _ZN9rocsparseL18bsrxmvn_4x4_kernelILj128ELj32E21rocsparse_complex_numIdElidS2_S2_EEvT3_20rocsparse_direction_NS_24const_host_device_scalarIT1_EES3_PKS3_PKT2_SC_S9_PKT4_PKT5_S7_PT6_21rocsparse_index_base_b.uses_vcc, 1
	.set _ZN9rocsparseL18bsrxmvn_4x4_kernelILj128ELj32E21rocsparse_complex_numIdElidS2_S2_EEvT3_20rocsparse_direction_NS_24const_host_device_scalarIT1_EES3_PKS3_PKT2_SC_S9_PKT4_PKT5_S7_PT6_21rocsparse_index_base_b.uses_flat_scratch, 0
	.set _ZN9rocsparseL18bsrxmvn_4x4_kernelILj128ELj32E21rocsparse_complex_numIdElidS2_S2_EEvT3_20rocsparse_direction_NS_24const_host_device_scalarIT1_EES3_PKS3_PKT2_SC_S9_PKT4_PKT5_S7_PT6_21rocsparse_index_base_b.has_dyn_sized_stack, 0
	.set _ZN9rocsparseL18bsrxmvn_4x4_kernelILj128ELj32E21rocsparse_complex_numIdElidS2_S2_EEvT3_20rocsparse_direction_NS_24const_host_device_scalarIT1_EES3_PKS3_PKT2_SC_S9_PKT4_PKT5_S7_PT6_21rocsparse_index_base_b.has_recursion, 0
	.set _ZN9rocsparseL18bsrxmvn_4x4_kernelILj128ELj32E21rocsparse_complex_numIdElidS2_S2_EEvT3_20rocsparse_direction_NS_24const_host_device_scalarIT1_EES3_PKS3_PKT2_SC_S9_PKT4_PKT5_S7_PT6_21rocsparse_index_base_b.has_indirect_call, 0
	.section	.AMDGPU.csdata,"",@progbits
; Kernel info:
; codeLenInByte = 8108
; TotalNumSgprs: 16
; NumVgprs: 141
; ScratchSize: 0
; MemoryBound: 0
; FloatMode: 240
; IeeeMode: 1
; LDSByteSize: 0 bytes/workgroup (compile time only)
; SGPRBlocks: 0
; VGPRBlocks: 8
; NumSGPRsForWavesPerEU: 16
; NumVGPRsForWavesPerEU: 141
; NamedBarCnt: 0
; Occupancy: 7
; WaveLimiterHint : 1
; COMPUTE_PGM_RSRC2:SCRATCH_EN: 0
; COMPUTE_PGM_RSRC2:USER_SGPR: 2
; COMPUTE_PGM_RSRC2:TRAP_HANDLER: 0
; COMPUTE_PGM_RSRC2:TGID_X_EN: 1
; COMPUTE_PGM_RSRC2:TGID_Y_EN: 0
; COMPUTE_PGM_RSRC2:TGID_Z_EN: 0
; COMPUTE_PGM_RSRC2:TIDIG_COMP_CNT: 0
	.section	.text._ZN9rocsparseL18bsrxmvn_4x4_kernelILj128ELj64E21rocsparse_complex_numIdElidS2_S2_EEvT3_20rocsparse_direction_NS_24const_host_device_scalarIT1_EES3_PKS3_PKT2_SC_S9_PKT4_PKT5_S7_PT6_21rocsparse_index_base_b,"axG",@progbits,_ZN9rocsparseL18bsrxmvn_4x4_kernelILj128ELj64E21rocsparse_complex_numIdElidS2_S2_EEvT3_20rocsparse_direction_NS_24const_host_device_scalarIT1_EES3_PKS3_PKT2_SC_S9_PKT4_PKT5_S7_PT6_21rocsparse_index_base_b,comdat
	.globl	_ZN9rocsparseL18bsrxmvn_4x4_kernelILj128ELj64E21rocsparse_complex_numIdElidS2_S2_EEvT3_20rocsparse_direction_NS_24const_host_device_scalarIT1_EES3_PKS3_PKT2_SC_S9_PKT4_PKT5_S7_PT6_21rocsparse_index_base_b ; -- Begin function _ZN9rocsparseL18bsrxmvn_4x4_kernelILj128ELj64E21rocsparse_complex_numIdElidS2_S2_EEvT3_20rocsparse_direction_NS_24const_host_device_scalarIT1_EES3_PKS3_PKT2_SC_S9_PKT4_PKT5_S7_PT6_21rocsparse_index_base_b
	.p2align	8
	.type	_ZN9rocsparseL18bsrxmvn_4x4_kernelILj128ELj64E21rocsparse_complex_numIdElidS2_S2_EEvT3_20rocsparse_direction_NS_24const_host_device_scalarIT1_EES3_PKS3_PKT2_SC_S9_PKT4_PKT5_S7_PT6_21rocsparse_index_base_b,@function
_ZN9rocsparseL18bsrxmvn_4x4_kernelILj128ELj64E21rocsparse_complex_numIdElidS2_S2_EEvT3_20rocsparse_direction_NS_24const_host_device_scalarIT1_EES3_PKS3_PKT2_SC_S9_PKT4_PKT5_S7_PT6_21rocsparse_index_base_b: ; @_ZN9rocsparseL18bsrxmvn_4x4_kernelILj128ELj64E21rocsparse_complex_numIdElidS2_S2_EEvT3_20rocsparse_direction_NS_24const_host_device_scalarIT1_EES3_PKS3_PKT2_SC_S9_PKT4_PKT5_S7_PT6_21rocsparse_index_base_b
; %bb.0:
	s_clause 0x1
	s_load_b64 s[12:13], s[0:1], 0x68
	s_load_b64 s[2:3], s[0:1], 0x8
	v_mov_b32_e32 v1, 0
	s_add_nc_u64 s[4:5], s[0:1], 8
	s_load_b64 s[6:7], s[0:1], 0x50
	s_wait_kmcnt 0x0
	s_bitcmp1_b32 s13, 0
	s_cselect_b32 s3, s5, s3
	s_cselect_b32 s2, s4, s2
	flat_load_b128 v[6:9], v1, s[2:3]
	s_wait_xcnt 0x0
	s_add_nc_u64 s[2:3], s[0:1], 0x50
	s_delay_alu instid0(SALU_CYCLE_1)
	s_cselect_b32 s3, s3, s7
	s_cselect_b32 s2, s2, s6
	flat_load_b128 v[2:5], v1, s[2:3]
	s_wait_loadcnt_dscnt 0x101
	v_cmp_eq_f64_e32 vcc_lo, 0, v[6:7]
	s_wait_xcnt 0x0
	v_cmp_eq_f64_e64 s2, 0, v[8:9]
	s_and_b32 s4, vcc_lo, s2
	s_mov_b32 s2, -1
	s_and_saveexec_b32 s3, s4
	s_cbranch_execz .LBB144_2
; %bb.1:
	s_wait_loadcnt_dscnt 0x0
	v_cmp_neq_f64_e32 vcc_lo, 1.0, v[2:3]
	v_cmp_neq_f64_e64 s2, 0, v[4:5]
	s_or_b32 s2, vcc_lo, s2
	s_delay_alu instid0(SALU_CYCLE_1)
	s_or_not1_b32 s2, s2, exec_lo
.LBB144_2:
	s_or_b32 exec_lo, exec_lo, s3
	s_and_saveexec_b32 s3, s2
	s_cbranch_execz .LBB144_8
; %bb.3:
	s_clause 0x1
	s_load_b64 s[4:5], s[0:1], 0x20
	s_load_b64 s[2:3], s[0:1], 0x0
	s_bfe_u32 s6, ttmp6, 0x4000c
	s_and_b32 s7, ttmp6, 15
	s_add_co_i32 s6, s6, 1
	s_getreg_b32 s8, hwreg(HW_REG_IB_STS2, 6, 4)
	s_mul_i32 s6, ttmp9, s6
	v_lshrrev_b32_e32 v1, 6, v0
	s_add_co_i32 s7, s7, s6
	s_cmp_eq_u32 s8, 0
	s_cselect_b32 s6, ttmp9, s7
	s_delay_alu instid0(VALU_DEP_1) | instid1(SALU_CYCLE_1)
	v_lshl_or_b32 v26, s6, 1, v1
	s_mov_b32 s6, 0
	s_wait_kmcnt 0x0
	s_cmp_lg_u64 s[4:5], 0
	s_cbranch_scc0 .LBB144_9
; %bb.4:
	s_load_b32 s6, s[0:1], 0x18
	s_mov_b32 s7, 0
                                        ; implicit-def: $vgpr1
	s_wait_kmcnt 0x0
	v_cmp_gt_i32_e32 vcc_lo, s6, v26
	s_mov_b32 s6, 0
	s_and_saveexec_b32 s8, vcc_lo
	s_delay_alu instid0(SALU_CYCLE_1)
	s_xor_b32 s8, exec_lo, s8
	s_cbranch_execz .LBB144_6
; %bb.5:
	global_load_b32 v1, v26, s[4:5] scale_offset
	s_mov_b32 s6, exec_lo
	s_wait_loadcnt 0x0
	v_subrev_nc_u32_e32 v1, s12, v1
.LBB144_6:
	s_or_b32 exec_lo, exec_lo, s8
	s_delay_alu instid0(SALU_CYCLE_1)
	s_and_b32 vcc_lo, exec_lo, s7
	s_cbranch_vccz .LBB144_10
.LBB144_7:
	v_cmp_gt_i32_e32 vcc_lo, s2, v26
	s_and_not1_b32 s2, s6, exec_lo
	s_and_b32 s4, vcc_lo, exec_lo
	s_delay_alu instid0(SALU_CYCLE_1) | instskip(NEXT) | instid1(SALU_CYCLE_1)
	s_or_b32 s6, s2, s4
	s_and_b32 exec_lo, exec_lo, s6
	s_cbranch_execnz .LBB144_11
.LBB144_8:
	s_sendmsg sendmsg(MSG_DEALLOC_VGPRS)
	s_endpgm
.LBB144_9:
                                        ; implicit-def: $vgpr1
	s_cbranch_execnz .LBB144_7
.LBB144_10:
	s_delay_alu instid0(VALU_DEP_1)
	v_mov_b32_e32 v26, v1
	s_and_b32 exec_lo, exec_lo, s6
	s_cbranch_execz .LBB144_8
.LBB144_11:
	s_load_b256 s[4:11], s[0:1], 0x28
	s_mov_b32 s13, 0
	v_dual_mov_b32 v1, 0 :: v_dual_bitop2_b32 v0, 63, v0 bitop3:0x40
	s_wait_kmcnt 0x0
	s_cmp_eq_u64 s[6:7], 0
	global_load_b64 v[34:35], v26, s[4:5] scale_offset
	s_cselect_b32 vcc_lo, -1, 0
	v_ashrrev_i32_e32 v27, 31, v26
	s_cmp_eq_u32 s3, 1
	s_delay_alu instid0(VALU_DEP_1) | instskip(NEXT) | instid1(VALU_DEP_1)
	v_lshlrev_b64_e32 v[10:11], 3, v[26:27]
	v_add_nc_u64_e32 v[12:13], s[4:5], v[10:11]
	v_add_nc_u64_e32 v[10:11], s[6:7], v[10:11]
	s_wait_xcnt 0x0
	s_load_b64 s[4:5], s[0:1], 0x48
	s_delay_alu instid0(VALU_DEP_2) | instskip(NEXT) | instid1(VALU_DEP_1)
	v_add_nc_u64_e32 v[12:13], 8, v[12:13]
	v_dual_cndmask_b32 v11, v11, v13 :: v_dual_cndmask_b32 v10, v10, v12
	global_load_b64 v[10:11], v[10:11], off
	s_wait_loadcnt 0x1
	v_sub_nc_u64_e64 v[12:13], v[34:35], s[12:13]
	s_delay_alu instid0(VALU_DEP_1) | instskip(NEXT) | instid1(VALU_DEP_1)
	v_add_nc_u64_e32 v[28:29], v[12:13], v[0:1]
	v_lshlrev_b64_e32 v[12:13], 7, v[28:29]
	s_delay_alu instid0(VALU_DEP_1) | instskip(SKIP_2) | instid1(VALU_DEP_1)
	v_add_nc_u64_e32 v[32:33], s[10:11], v[12:13]
	s_wait_loadcnt 0x0
	v_sub_nc_u64_e64 v[30:31], v[10:11], s[12:13]
	v_cmp_lt_i64_e64 s2, v[28:29], v[30:31]
	s_cbranch_scc1 .LBB144_23
; %bb.12:
	v_mov_b64_e32 v[10:11], 0
	v_mov_b64_e32 v[14:15], 0
	;; [unrolled: 1-line block ×8, first 2 shown]
	s_and_saveexec_b32 s3, s2
	s_cbranch_execz .LBB144_22
; %bb.13:
	v_dual_mov_b32 v11, v1 :: v_dual_bitop2_b32 v10, 64, v0 bitop3:0x54
	v_sub_nc_u64_e32 v[12:13], s[12:13], v[0:1]
	v_not_b32_e32 v15, v35
	v_not_b32_e32 v14, v34
	v_mov_b64_e32 v[22:23], 0
	v_sub_nc_u64_e64 v[10:11], v[10:11], s[12:13]
	v_mov_b64_e32 v[24:25], 0
	v_mov_b64_e32 v[20:21], 0
	v_add_nc_u64_e32 v[12:13], v[12:13], v[14:15]
	v_mov_b64_e32 v[18:19], 0
	v_mov_b64_e32 v[16:17], 0
	;; [unrolled: 1-line block ×3, first 2 shown]
	v_add_nc_u64_e32 v[10:11], v[10:11], v[34:35]
	v_mov_b64_e32 v[36:37], v[32:33]
	v_mov_b64_e32 v[38:39], v[28:29]
	v_mov_b32_e32 v45, 0
	s_mov_b32 s6, exec_lo
	s_delay_alu instid0(VALU_DEP_4) | instskip(NEXT) | instid1(VALU_DEP_1)
	v_max_i64 v[10:11], v[10:11], v[30:31]
	v_add_nc_u64_e32 v[40:41], v[12:13], v[10:11]
	v_mov_b64_e32 v[12:13], 0
	v_mov_b64_e32 v[10:11], 0
	s_delay_alu instid0(VALU_DEP_3) | instskip(NEXT) | instid1(VALU_DEP_1)
	v_and_b32_e32 v44, 0xc0, v40
	v_cmpx_ne_u64_e32 0xc0, v[44:45]
	s_cbranch_execz .LBB144_17
; %bb.14:
	v_lshrrev_b32_e32 v10, 6, v40
	v_mov_b64_e32 v[14:15], 0
	v_mov_b64_e32 v[16:17], 0
	v_mov_b64_e32 v[18:19], 0
	v_mov_b64_e32 v[20:21], 0
	v_add_nc_u32_e32 v12, 1, v10
	v_mov_b64_e32 v[10:11], 0
	v_mov_b64_e32 v[24:25], 0
	v_mov_b64_e32 v[22:23], 0
	v_mov_b64_e32 v[38:39], v[28:29]
	v_and_b32_e32 v44, 3, v12
	v_mov_b64_e32 v[12:13], 0
	v_mov_b64_e32 v[36:37], v[32:33]
	v_lshl_add_u64 v[42:43], v[28:29], 2, s[8:9]
	s_mov_b32 s7, 0
	v_sub_nc_u64_e32 v[44:45], 0, v[44:45]
.LBB144_15:                             ; =>This Inner Loop Header: Depth=1
	global_load_b32 v27, v[42:43], off
	s_clause 0x6
	global_load_b128 v[46:49], v[36:37], off offset:48
	global_load_b128 v[50:53], v[36:37], off offset:32
	global_load_b128 v[54:57], v[36:37], off offset:16
	global_load_b128 v[58:61], v[36:37], off
	global_load_b128 v[62:65], v[36:37], off offset:112
	global_load_b128 v[66:69], v[36:37], off offset:96
	;; [unrolled: 1-line block ×3, first 2 shown]
	v_add_nc_u64_e32 v[44:45], 1, v[44:45]
	v_add_nc_u64_e32 v[38:39], 64, v[38:39]
	s_wait_xcnt 0x7
	v_add_nc_u64_e32 v[42:43], 0x100, v[42:43]
	s_delay_alu instid0(VALU_DEP_3) | instskip(SKIP_3) | instid1(VALU_DEP_1)
	v_cmp_eq_u64_e32 vcc_lo, 0, v[44:45]
	s_or_b32 s7, vcc_lo, s7
	s_wait_loadcnt 0x7
	v_subrev_nc_u32_e32 v27, s12, v27
	v_lshlrev_b32_e32 v27, 2, v27
	s_wait_kmcnt 0x0
	s_clause 0x1
	global_load_b128 v[74:77], v27, s[4:5] scale_offset
	global_load_b128 v[78:81], v27, s[4:5] offset:16 scale_offset
	global_load_b128 v[82:85], v[36:37], off offset:80
	s_clause 0x1
	global_load_b128 v[86:89], v27, s[4:5] offset:32 scale_offset
	global_load_b128 v[90:93], v27, s[4:5] offset:48 scale_offset
	s_wait_xcnt 0x2
	v_add_nc_u64_e32 v[36:37], 0x2000, v[36:37]
	s_wait_loadcnt 0x4
	v_fmac_f64_e32 v[14:15], v[58:59], v[74:75]
	v_fmac_f64_e32 v[10:11], 0, v[74:75]
	v_fmac_f64_e32 v[18:19], v[50:51], v[74:75]
	v_fmac_f64_e32 v[16:17], 0, v[74:75]
	v_fmac_f64_e32 v[24:25], v[70:71], v[74:75]
	v_fmac_f64_e32 v[20:21], 0, v[74:75]
	v_fmac_f64_e32 v[12:13], v[66:67], v[74:75]
	v_fmac_f64_e32 v[22:23], 0, v[74:75]
	v_fmac_f64_e32 v[14:15], 0x80000000, v[76:77]
	v_fmac_f64_e32 v[10:11], v[58:59], v[76:77]
	v_fmac_f64_e32 v[18:19], 0x80000000, v[76:77]
	v_fmac_f64_e32 v[16:17], v[50:51], v[76:77]
	v_fmac_f64_e32 v[24:25], 0x80000000, v[76:77]
	v_fmac_f64_e32 v[20:21], v[70:71], v[76:77]
	v_fmac_f64_e32 v[12:13], 0x80000000, v[76:77]
	v_fmac_f64_e32 v[22:23], v[66:67], v[76:77]
	s_wait_loadcnt 0x3
	v_fmac_f64_e32 v[14:15], v[60:61], v[78:79]
	v_fmac_f64_e32 v[10:11], 0, v[78:79]
	v_fmac_f64_e32 v[18:19], v[52:53], v[78:79]
	v_fmac_f64_e32 v[16:17], 0, v[78:79]
	v_fmac_f64_e32 v[24:25], v[72:73], v[78:79]
	v_fmac_f64_e32 v[20:21], 0, v[78:79]
	v_fmac_f64_e32 v[12:13], v[68:69], v[78:79]
	v_fmac_f64_e32 v[22:23], 0, v[78:79]
	v_fmac_f64_e32 v[14:15], 0x80000000, v[80:81]
	v_fmac_f64_e32 v[10:11], v[60:61], v[80:81]
	v_fmac_f64_e32 v[18:19], 0x80000000, v[80:81]
	v_fmac_f64_e32 v[16:17], v[52:53], v[80:81]
	v_fmac_f64_e32 v[24:25], 0x80000000, v[80:81]
	v_fmac_f64_e32 v[20:21], v[72:73], v[80:81]
	v_fmac_f64_e32 v[12:13], 0x80000000, v[80:81]
	v_fmac_f64_e32 v[22:23], v[68:69], v[80:81]
	s_wait_loadcnt 0x1
	v_fmac_f64_e32 v[14:15], v[54:55], v[86:87]
	v_fmac_f64_e32 v[10:11], 0, v[86:87]
	v_fmac_f64_e32 v[18:19], v[46:47], v[86:87]
	v_fmac_f64_e32 v[16:17], 0, v[86:87]
	v_fmac_f64_e32 v[24:25], v[82:83], v[86:87]
	v_fmac_f64_e32 v[20:21], 0, v[86:87]
	v_fmac_f64_e32 v[12:13], v[62:63], v[86:87]
	v_fmac_f64_e32 v[22:23], 0, v[86:87]
	v_fmac_f64_e32 v[14:15], 0x80000000, v[88:89]
	v_fmac_f64_e32 v[10:11], v[54:55], v[88:89]
	v_fmac_f64_e32 v[18:19], 0x80000000, v[88:89]
	v_fmac_f64_e32 v[16:17], v[46:47], v[88:89]
	v_fmac_f64_e32 v[24:25], 0x80000000, v[88:89]
	v_fmac_f64_e32 v[20:21], v[82:83], v[88:89]
	v_fmac_f64_e32 v[12:13], 0x80000000, v[88:89]
	v_fmac_f64_e32 v[22:23], v[62:63], v[88:89]
	s_wait_loadcnt 0x0
	v_fmac_f64_e32 v[14:15], v[56:57], v[90:91]
	v_fmac_f64_e32 v[10:11], 0, v[90:91]
	v_fmac_f64_e32 v[18:19], v[48:49], v[90:91]
	v_fmac_f64_e32 v[16:17], 0, v[90:91]
	v_fmac_f64_e32 v[24:25], v[84:85], v[90:91]
	v_fmac_f64_e32 v[20:21], 0, v[90:91]
	v_fmac_f64_e32 v[12:13], v[64:65], v[90:91]
	v_fmac_f64_e32 v[22:23], 0, v[90:91]
	v_fmac_f64_e32 v[14:15], 0x80000000, v[92:93]
	v_fmac_f64_e32 v[10:11], v[56:57], v[92:93]
	v_fmac_f64_e32 v[18:19], 0x80000000, v[92:93]
	v_fmac_f64_e32 v[16:17], v[48:49], v[92:93]
	v_fmac_f64_e32 v[24:25], 0x80000000, v[92:93]
	v_fmac_f64_e32 v[20:21], v[84:85], v[92:93]
	v_fmac_f64_e32 v[12:13], 0x80000000, v[92:93]
	v_fmac_f64_e32 v[22:23], v[64:65], v[92:93]
	s_and_not1_b32 exec_lo, exec_lo, s7
	s_cbranch_execnz .LBB144_15
; %bb.16:
	s_or_b32 exec_lo, exec_lo, s7
.LBB144_17:
	s_delay_alu instid0(SALU_CYCLE_1) | instskip(NEXT) | instid1(SALU_CYCLE_1)
	s_or_b32 exec_lo, exec_lo, s6
	s_mov_b32 s6, exec_lo
	v_cmpx_lt_u64_e32 0xbf, v[40:41]
	s_cbranch_execz .LBB144_21
; %bb.18:
	v_lshl_add_u64 v[40:41], v[38:39], 2, s[8:9]
	s_mov_b32 s7, 0
	s_delay_alu instid0(VALU_DEP_1)
	v_add_nc_u64_e32 v[40:41], 0x200, v[40:41]
.LBB144_19:                             ; =>This Inner Loop Header: Depth=1
	s_clause 0x1
	global_load_b32 v27, v[40:41], off offset:-512
	global_load_b32 v122, v[40:41], off offset:-256
	s_clause 0x11
	global_load_b128 v[42:45], v[36:37], off offset:48
	global_load_b128 v[46:49], v[36:37], off offset:32
	;; [unrolled: 1-line block ×3, first 2 shown]
	global_load_b128 v[54:57], v[36:37], off
	global_load_b128 v[58:61], v[36:37], off offset:112
	global_load_b128 v[62:65], v[36:37], off offset:96
	;; [unrolled: 1-line block ×14, first 2 shown]
	s_clause 0x1
	global_load_b32 v138, v[40:41], off
	global_load_b32 v139, v[40:41], off offset:256
	s_clause 0x1
	global_load_b128 v[114:117], v[36:37], off offset:16400
	global_load_b128 v[118:121], v[36:37], off offset:16384
	v_add_nc_u64_e32 v[38:39], 0x100, v[38:39]
	s_wait_xcnt 0x2
	v_add_nc_u64_e32 v[40:41], 0x400, v[40:41]
	s_delay_alu instid0(VALU_DEP_2)
	v_cmp_ge_i64_e32 vcc_lo, v[38:39], v[30:31]
	s_or_b32 s7, vcc_lo, s7
	s_wait_loadcnt 0x17
	v_subrev_nc_u32_e32 v27, s12, v27
	s_wait_loadcnt 0x16
	v_subrev_nc_u32_e32 v122, s12, v122
	s_delay_alu instid0(VALU_DEP_1)
	v_dual_lshlrev_b32 v27, 2, v27 :: v_dual_lshlrev_b32 v140, 2, v122
	s_wait_kmcnt 0x0
	s_clause 0x3
	global_load_b128 v[122:125], v27, s[4:5] scale_offset
	global_load_b128 v[126:129], v27, s[4:5] offset:16 scale_offset
	global_load_b128 v[130:133], v27, s[4:5] offset:32 scale_offset
	;; [unrolled: 1-line block ×3, first 2 shown]
	s_wait_loadcnt 0x7
	s_wait_xcnt 0x0
	v_subrev_nc_u32_e32 v27, s12, v138
	s_delay_alu instid0(VALU_DEP_1)
	v_lshlrev_b32_e32 v27, 2, v27
	s_wait_loadcnt 0x3
	v_fmac_f64_e32 v[10:11], 0, v[122:123]
	v_fmac_f64_e32 v[14:15], v[54:55], v[122:123]
	v_fmac_f64_e32 v[18:19], v[46:47], v[122:123]
	v_fmac_f64_e32 v[16:17], 0, v[122:123]
	v_fmac_f64_e32 v[24:25], v[70:71], v[122:123]
	v_fmac_f64_e32 v[20:21], 0, v[122:123]
	v_fmac_f64_e32 v[12:13], v[62:63], v[122:123]
	v_fmac_f64_e32 v[22:23], 0, v[122:123]
	v_fmac_f64_e32 v[10:11], v[54:55], v[124:125]
	v_fmac_f64_e32 v[14:15], 0x80000000, v[124:125]
	v_fmac_f64_e32 v[18:19], 0x80000000, v[124:125]
	v_fmac_f64_e32 v[16:17], v[46:47], v[124:125]
	v_fmac_f64_e32 v[24:25], 0x80000000, v[124:125]
	v_fmac_f64_e32 v[20:21], v[70:71], v[124:125]
	v_fmac_f64_e32 v[12:13], 0x80000000, v[124:125]
	v_fmac_f64_e32 v[22:23], v[62:63], v[124:125]
	global_load_b128 v[122:125], v140, s[4:5] scale_offset
	s_wait_loadcnt 0x3
	v_fmac_f64_e32 v[10:11], 0, v[126:127]
	v_fmac_f64_e32 v[14:15], v[56:57], v[126:127]
	;; [unrolled: 1-line block ×12, first 2 shown]
	global_load_b128 v[46:49], v140, s[4:5] offset:16 scale_offset
	v_fmac_f64_e32 v[20:21], v[72:73], v[128:129]
	v_fmac_f64_e32 v[24:25], 0x80000000, v[128:129]
	v_fmac_f64_e32 v[22:23], v[64:65], v[128:129]
	v_fmac_f64_e32 v[12:13], 0x80000000, v[128:129]
	global_load_b128 v[126:129], v140, s[4:5] offset:32 scale_offset
	s_clause 0x2
	global_load_b128 v[54:57], v[36:37], off offset:16496
	global_load_b128 v[70:73], v[36:37], off offset:16480
	;; [unrolled: 1-line block ×3, first 2 shown]
	s_wait_loadcnt 0x7
	v_fmac_f64_e32 v[10:11], 0, v[130:131]
	v_fmac_f64_e32 v[14:15], v[50:51], v[130:131]
	;; [unrolled: 1-line block ×16, first 2 shown]
	global_load_b128 v[130:133], v140, s[4:5] offset:48 scale_offset
	s_wait_loadcnt 0x7
	v_fmac_f64_e32 v[10:11], 0, v[134:135]
	v_fmac_f64_e32 v[14:15], v[52:53], v[134:135]
	;; [unrolled: 1-line block ×9, first 2 shown]
	global_load_b128 v[50:53], v[36:37], off offset:16448
	v_fmac_f64_e32 v[14:15], 0x80000000, v[136:137]
	v_fmac_f64_e32 v[16:17], v[44:45], v[136:137]
	global_load_b128 v[42:45], v27, s[4:5] scale_offset
	v_fmac_f64_e32 v[18:19], 0x80000000, v[136:137]
	v_fmac_f64_e32 v[24:25], 0x80000000, v[136:137]
	;; [unrolled: 1-line block ×5, first 2 shown]
	s_clause 0x1
	global_load_b128 v[58:61], v27, s[4:5] offset:16 scale_offset
	global_load_b128 v[66:69], v27, s[4:5] offset:32 scale_offset
	s_wait_loadcnt 0xa
	v_fmac_f64_e32 v[14:15], v[86:87], v[122:123]
	v_fmac_f64_e32 v[10:11], 0, v[122:123]
	;; [unrolled: 1-line block ×16, first 2 shown]
	s_wait_loadcnt 0x9
	v_fmac_f64_e32 v[14:15], v[88:89], v[46:47]
	v_fmac_f64_e32 v[10:11], 0, v[46:47]
	;; [unrolled: 1-line block ×16, first 2 shown]
	global_load_b128 v[46:49], v27, s[4:5] offset:48 scale_offset
	s_wait_xcnt 0x0
	v_subrev_nc_u32_e32 v27, s12, v139
	s_delay_alu instid0(VALU_DEP_1)
	v_lshlrev_b32_e32 v27, 2, v27
	s_wait_loadcnt 0x9
	v_fmac_f64_e32 v[14:15], v[82:83], v[126:127]
	v_fmac_f64_e32 v[10:11], 0, v[126:127]
	;; [unrolled: 1-line block ×16, first 2 shown]
	s_clause 0x5
	global_load_b128 v[78:81], v[36:37], off offset:24624
	global_load_b128 v[86:89], v[36:37], off offset:24608
	;; [unrolled: 1-line block ×6, first 2 shown]
	global_load_b128 v[134:137], v27, s[4:5] scale_offset
	s_wait_loadcnt 0xc
	v_fmac_f64_e32 v[14:15], v[84:85], v[130:131]
	v_fmac_f64_e32 v[10:11], 0, v[130:131]
	;; [unrolled: 1-line block ×16, first 2 shown]
	global_load_b128 v[74:77], v27, s[4:5] offset:16 scale_offset
	s_wait_loadcnt 0xb
	v_fmac_f64_e32 v[14:15], v[118:119], v[42:43]
	v_fmac_f64_e32 v[10:11], 0, v[42:43]
	;; [unrolled: 1-line block ×16, first 2 shown]
	s_clause 0x1
	global_load_b128 v[42:45], v[36:37], off offset:24688
	global_load_b128 v[82:85], v[36:37], off offset:24656
	global_load_b128 v[90:93], v27, s[4:5] offset:32 scale_offset
	s_wait_xcnt 0x1
	v_add_nc_u64_e32 v[36:37], 0x8000, v[36:37]
	s_wait_loadcnt 0xd
	v_fmac_f64_e32 v[14:15], v[120:121], v[58:59]
	v_fmac_f64_e32 v[10:11], 0, v[58:59]
	;; [unrolled: 1-line block ×16, first 2 shown]
	global_load_b128 v[50:53], v27, s[4:5] offset:48 scale_offset
	s_wait_loadcnt 0xd
	v_fmac_f64_e32 v[14:15], v[114:115], v[66:67]
	v_fmac_f64_e32 v[10:11], 0, v[66:67]
	v_fmac_f64_e32 v[18:19], v[106:107], v[66:67]
	v_fmac_f64_e32 v[16:17], 0, v[66:67]
	v_fmac_f64_e32 v[24:25], v[62:63], v[66:67]
	v_fmac_f64_e32 v[20:21], 0, v[66:67]
	v_fmac_f64_e32 v[12:13], v[54:55], v[66:67]
	v_fmac_f64_e32 v[22:23], 0, v[66:67]
	v_fmac_f64_e32 v[14:15], 0x80000000, v[68:69]
	v_fmac_f64_e32 v[10:11], v[114:115], v[68:69]
	v_fmac_f64_e32 v[18:19], 0x80000000, v[68:69]
	v_fmac_f64_e32 v[16:17], v[106:107], v[68:69]
	v_fmac_f64_e32 v[24:25], 0x80000000, v[68:69]
	v_fmac_f64_e32 v[20:21], v[62:63], v[68:69]
	v_fmac_f64_e32 v[12:13], 0x80000000, v[68:69]
	v_fmac_f64_e32 v[22:23], v[54:55], v[68:69]
	s_wait_loadcnt 0xc
	v_fmac_f64_e32 v[14:15], v[116:117], v[46:47]
	v_fmac_f64_e32 v[10:11], 0, v[46:47]
	v_fmac_f64_e32 v[18:19], v[108:109], v[46:47]
	v_fmac_f64_e32 v[16:17], 0, v[46:47]
	v_fmac_f64_e32 v[24:25], v[64:65], v[46:47]
	v_fmac_f64_e32 v[20:21], 0, v[46:47]
	v_fmac_f64_e32 v[12:13], v[56:57], v[46:47]
	v_fmac_f64_e32 v[22:23], 0, v[46:47]
	v_fmac_f64_e32 v[14:15], 0x80000000, v[48:49]
	v_fmac_f64_e32 v[10:11], v[116:117], v[48:49]
	v_fmac_f64_e32 v[18:19], 0x80000000, v[48:49]
	v_fmac_f64_e32 v[16:17], v[108:109], v[48:49]
	v_fmac_f64_e32 v[24:25], 0x80000000, v[48:49]
	v_fmac_f64_e32 v[20:21], v[64:65], v[48:49]
	v_fmac_f64_e32 v[12:13], 0x80000000, v[48:49]
	v_fmac_f64_e32 v[22:23], v[56:57], v[48:49]
	;; [unrolled: 17-line block ×6, first 2 shown]
	s_and_not1_b32 exec_lo, exec_lo, s7
	s_cbranch_execnz .LBB144_19
; %bb.20:
	s_or_b32 exec_lo, exec_lo, s7
.LBB144_21:
	s_delay_alu instid0(SALU_CYCLE_1)
	s_or_b32 exec_lo, exec_lo, s6
.LBB144_22:
	s_delay_alu instid0(SALU_CYCLE_1)
	s_or_b32 exec_lo, exec_lo, s3
	s_cbranch_execz .LBB144_24
	s_branch .LBB144_35
.LBB144_23:
                                        ; implicit-def: $vgpr10_vgpr11
                                        ; implicit-def: $vgpr14_vgpr15
                                        ; implicit-def: $vgpr16_vgpr17
                                        ; implicit-def: $vgpr18_vgpr19
                                        ; implicit-def: $vgpr20_vgpr21
                                        ; implicit-def: $vgpr24_vgpr25
                                        ; implicit-def: $vgpr22_vgpr23
                                        ; implicit-def: $vgpr12_vgpr13
.LBB144_24:
	v_mov_b64_e32 v[10:11], 0
	v_mov_b64_e32 v[14:15], 0
	;; [unrolled: 1-line block ×8, first 2 shown]
	s_and_saveexec_b32 s3, s2
	s_cbranch_execz .LBB144_34
; %bb.25:
	v_dual_mov_b32 v11, v1 :: v_dual_bitop2_b32 v10, 64, v0 bitop3:0x54
	v_sub_nc_u64_e32 v[12:13], s[12:13], v[0:1]
	v_not_b32_e32 v15, v35
	v_not_b32_e32 v14, v34
	v_mov_b64_e32 v[22:23], 0
	v_sub_nc_u64_e64 v[10:11], v[10:11], s[12:13]
	v_mov_b64_e32 v[24:25], 0
	v_mov_b64_e32 v[20:21], 0
	v_add_nc_u64_e32 v[12:13], v[12:13], v[14:15]
	v_mov_b64_e32 v[18:19], 0
	v_mov_b64_e32 v[16:17], 0
	;; [unrolled: 1-line block ×3, first 2 shown]
	v_add_nc_u64_e32 v[10:11], v[10:11], v[34:35]
	v_mov_b32_e32 v37, 0
	s_mov_b32 s2, exec_lo
	s_delay_alu instid0(VALU_DEP_2) | instskip(NEXT) | instid1(VALU_DEP_1)
	v_max_i64 v[10:11], v[10:11], v[30:31]
	v_add_nc_u64_e32 v[34:35], v[12:13], v[10:11]
	v_mov_b64_e32 v[12:13], 0
	v_mov_b64_e32 v[10:11], 0
	s_delay_alu instid0(VALU_DEP_3) | instskip(NEXT) | instid1(VALU_DEP_1)
	v_and_b32_e32 v36, 0xc0, v34
	v_cmpx_ne_u64_e32 0xc0, v[36:37]
	s_cbranch_execz .LBB144_29
; %bb.26:
	v_lshrrev_b32_e32 v1, 6, v34
	v_mov_b64_e32 v[10:11], 0
	v_mov_b64_e32 v[14:15], 0
	v_mov_b64_e32 v[16:17], 0
	v_mov_b64_e32 v[18:19], 0
	v_add_nc_u32_e32 v1, 1, v1
	v_mov_b64_e32 v[20:21], 0
	v_mov_b64_e32 v[24:25], 0
	;; [unrolled: 1-line block ×4, first 2 shown]
	v_and_b32_e32 v36, 3, v1
	v_lshl_add_u64 v[38:39], v[28:29], 2, s[8:9]
	s_mov_b32 s6, 0
	s_delay_alu instid0(VALU_DEP_2)
	v_sub_nc_u64_e32 v[36:37], 0, v[36:37]
.LBB144_27:                             ; =>This Inner Loop Header: Depth=1
	global_load_b32 v1, v[38:39], off
	s_clause 0x1
	global_load_b128 v[40:43], v[32:33], off offset:16
	global_load_b128 v[44:47], v[32:33], off
	v_add_nc_u64_e32 v[36:37], 1, v[36:37]
	v_add_nc_u64_e32 v[28:29], 64, v[28:29]
	s_wait_xcnt 0x2
	v_add_nc_u64_e32 v[38:39], 0x100, v[38:39]
	s_delay_alu instid0(VALU_DEP_3) | instskip(SKIP_3) | instid1(VALU_DEP_1)
	v_cmp_eq_u64_e32 vcc_lo, 0, v[36:37]
	s_or_b32 s6, vcc_lo, s6
	s_wait_loadcnt 0x2
	v_subrev_nc_u32_e32 v1, s12, v1
	v_lshlrev_b32_e32 v1, 2, v1
	s_wait_kmcnt 0x0
	s_clause 0x1
	global_load_b128 v[48:51], v1, s[4:5] scale_offset
	global_load_b128 v[52:55], v1, s[4:5] offset:16 scale_offset
	s_clause 0x3
	global_load_b128 v[56:59], v[32:33], off offset:32
	global_load_b128 v[60:63], v[32:33], off offset:48
	;; [unrolled: 1-line block ×4, first 2 shown]
	s_clause 0x1
	global_load_b128 v[72:75], v1, s[4:5] offset:32 scale_offset
	global_load_b128 v[76:79], v1, s[4:5] offset:48 scale_offset
	s_clause 0x1
	global_load_b128 v[80:83], v[32:33], off offset:96
	global_load_b128 v[84:87], v[32:33], off offset:112
	s_wait_xcnt 0x0
	v_add_nc_u64_e32 v[32:33], 0x2000, v[32:33]
	s_wait_loadcnt 0x9
	v_fmac_f64_e32 v[14:15], v[44:45], v[48:49]
	v_fmac_f64_e32 v[10:11], 0, v[48:49]
	;; [unrolled: 1-line block ×16, first 2 shown]
	s_wait_loadcnt 0x7
	v_fmac_f64_e32 v[14:15], v[56:57], v[52:53]
	v_fmac_f64_e32 v[10:11], 0, v[52:53]
	;; [unrolled: 1-line block ×4, first 2 shown]
	s_wait_loadcnt 0x6
	v_fmac_f64_e32 v[24:25], v[60:61], v[52:53]
	v_fmac_f64_e32 v[20:21], 0, v[52:53]
	;; [unrolled: 1-line block ×12, first 2 shown]
	s_wait_loadcnt 0x3
	v_fmac_f64_e32 v[14:15], v[68:69], v[72:73]
	v_fmac_f64_e32 v[10:11], 0, v[72:73]
	;; [unrolled: 1-line block ×16, first 2 shown]
	s_wait_loadcnt 0x1
	v_fmac_f64_e32 v[14:15], v[80:81], v[76:77]
	v_fmac_f64_e32 v[10:11], 0, v[76:77]
	;; [unrolled: 1-line block ×4, first 2 shown]
	s_wait_loadcnt 0x0
	v_fmac_f64_e32 v[24:25], v[84:85], v[76:77]
	v_fmac_f64_e32 v[20:21], 0, v[76:77]
	;; [unrolled: 1-line block ×12, first 2 shown]
	s_and_not1_b32 exec_lo, exec_lo, s6
	s_cbranch_execnz .LBB144_27
; %bb.28:
	s_or_b32 exec_lo, exec_lo, s6
.LBB144_29:
	s_delay_alu instid0(SALU_CYCLE_1) | instskip(NEXT) | instid1(SALU_CYCLE_1)
	s_or_b32 exec_lo, exec_lo, s2
	s_mov_b32 s2, exec_lo
	v_cmpx_lt_u64_e32 0xbf, v[34:35]
	s_cbranch_execz .LBB144_33
; %bb.30:
	v_lshl_add_u64 v[34:35], v[28:29], 2, s[8:9]
	s_mov_b32 s6, 0
	s_delay_alu instid0(VALU_DEP_1)
	v_add_nc_u64_e32 v[34:35], 0x200, v[34:35]
.LBB144_31:                             ; =>This Inner Loop Header: Depth=1
	s_clause 0x1
	global_load_b32 v1, v[34:35], off offset:-512
	global_load_b32 v27, v[34:35], off offset:-256
	s_clause 0x1
	global_load_b128 v[36:39], v[32:33], off offset:16
	global_load_b128 v[40:43], v[32:33], off
	s_clause 0x1
	global_load_b32 v108, v[34:35], off
	global_load_b32 v109, v[34:35], off offset:256
	v_add_nc_u64_e32 v[28:29], 0x100, v[28:29]
	s_wait_xcnt 0x0
	v_add_nc_u64_e32 v[34:35], 0x400, v[34:35]
	s_delay_alu instid0(VALU_DEP_2) | instskip(SKIP_3) | instid1(VALU_DEP_1)
	v_cmp_ge_i64_e32 vcc_lo, v[28:29], v[30:31]
	s_or_b32 s6, vcc_lo, s6
	s_wait_loadcnt 0x5
	v_subrev_nc_u32_e32 v1, s12, v1
	v_lshlrev_b32_e32 v1, 2, v1
	s_wait_kmcnt 0x0
	global_load_b128 v[44:47], v1, s[4:5] scale_offset
	s_clause 0x1
	global_load_b128 v[48:51], v[32:33], off offset:48
	global_load_b128 v[52:55], v[32:33], off offset:32
	global_load_b128 v[56:59], v1, s[4:5] offset:16 scale_offset
	s_clause 0x1
	global_load_b128 v[60:63], v[32:33], off offset:80
	global_load_b128 v[64:67], v[32:33], off offset:64
	global_load_b128 v[68:71], v1, s[4:5] offset:32 scale_offset
	;; [unrolled: 4-line block ×3, first 2 shown]
	s_clause 0x1
	global_load_b128 v[84:87], v[32:33], off offset:8208
	global_load_b128 v[88:91], v[32:33], off offset:8192
	s_wait_loadcnt 0x10
	s_wait_xcnt 0x2
	v_subrev_nc_u32_e32 v1, s12, v27
	s_delay_alu instid0(VALU_DEP_1)
	v_lshlrev_b32_e32 v1, 2, v1
	global_load_b128 v[92:95], v1, s[4:5] scale_offset
	s_clause 0x1
	global_load_b128 v[96:99], v[32:33], off offset:8240
	global_load_b128 v[100:103], v[32:33], off offset:8224
	global_load_b128 v[104:107], v1, s[4:5] offset:16 scale_offset
	s_wait_loadcnt 0xf
	v_fmac_f64_e32 v[14:15], v[40:41], v[44:45]
	v_fmac_f64_e32 v[10:11], 0, v[44:45]
	;; [unrolled: 1-line block ×16, first 2 shown]
	s_clause 0x1
	global_load_b128 v[36:39], v[32:33], off offset:8272
	global_load_b128 v[40:43], v[32:33], off offset:8256
	global_load_b128 v[44:47], v1, s[4:5] offset:32 scale_offset
	s_wait_loadcnt 0xf
	v_fmac_f64_e32 v[14:15], v[52:53], v[56:57]
	v_fmac_f64_e32 v[10:11], 0, v[56:57]
	v_fmac_f64_e32 v[18:19], v[54:55], v[56:57]
	v_fmac_f64_e32 v[16:17], 0, v[56:57]
	v_fmac_f64_e32 v[24:25], v[48:49], v[56:57]
	v_fmac_f64_e32 v[20:21], 0, v[56:57]
	v_fmac_f64_e32 v[12:13], v[50:51], v[56:57]
	v_fmac_f64_e32 v[22:23], 0, v[56:57]
	v_fmac_f64_e32 v[14:15], 0x80000000, v[58:59]
	v_fmac_f64_e32 v[10:11], v[52:53], v[58:59]
	v_fmac_f64_e32 v[18:19], 0x80000000, v[58:59]
	v_fmac_f64_e32 v[16:17], v[54:55], v[58:59]
	v_fmac_f64_e32 v[24:25], 0x80000000, v[58:59]
	v_fmac_f64_e32 v[20:21], v[48:49], v[58:59]
	v_fmac_f64_e32 v[12:13], 0x80000000, v[58:59]
	v_fmac_f64_e32 v[22:23], v[50:51], v[58:59]
	s_clause 0x1
	global_load_b128 v[48:51], v[32:33], off offset:8304
	global_load_b128 v[52:55], v[32:33], off offset:8288
	global_load_b128 v[56:59], v1, s[4:5] offset:48 scale_offset
	s_wait_xcnt 0x0
	v_subrev_nc_u32_e32 v1, s12, v108
	s_delay_alu instid0(VALU_DEP_1)
	v_lshlrev_b32_e32 v1, 2, v1
	s_wait_loadcnt 0xf
	v_fmac_f64_e32 v[14:15], v[64:65], v[68:69]
	v_fmac_f64_e32 v[10:11], 0, v[68:69]
	;; [unrolled: 1-line block ×16, first 2 shown]
	s_clause 0x1
	global_load_b128 v[60:63], v[32:33], off offset:16400
	global_load_b128 v[64:67], v[32:33], off offset:16384
	global_load_b128 v[68:71], v1, s[4:5] scale_offset
	s_wait_loadcnt 0xf
	v_fmac_f64_e32 v[14:15], v[76:77], v[80:81]
	v_fmac_f64_e32 v[10:11], 0, v[80:81]
	v_fmac_f64_e32 v[18:19], v[78:79], v[80:81]
	v_fmac_f64_e32 v[16:17], 0, v[80:81]
	v_fmac_f64_e32 v[24:25], v[72:73], v[80:81]
	v_fmac_f64_e32 v[20:21], 0, v[80:81]
	v_fmac_f64_e32 v[12:13], v[74:75], v[80:81]
	v_fmac_f64_e32 v[22:23], 0, v[80:81]
	v_fmac_f64_e32 v[14:15], 0x80000000, v[82:83]
	v_fmac_f64_e32 v[10:11], v[76:77], v[82:83]
	v_fmac_f64_e32 v[18:19], 0x80000000, v[82:83]
	v_fmac_f64_e32 v[16:17], v[78:79], v[82:83]
	v_fmac_f64_e32 v[24:25], 0x80000000, v[82:83]
	v_fmac_f64_e32 v[20:21], v[72:73], v[82:83]
	v_fmac_f64_e32 v[12:13], 0x80000000, v[82:83]
	v_fmac_f64_e32 v[22:23], v[74:75], v[82:83]
	s_clause 0x1
	global_load_b128 v[72:75], v[32:33], off offset:16432
	global_load_b128 v[76:79], v[32:33], off offset:16416
	global_load_b128 v[80:83], v1, s[4:5] offset:16 scale_offset
	s_wait_loadcnt 0xf
	v_fmac_f64_e32 v[14:15], v[88:89], v[92:93]
	v_fmac_f64_e32 v[10:11], 0, v[92:93]
	v_fmac_f64_e32 v[18:19], v[90:91], v[92:93]
	v_fmac_f64_e32 v[16:17], 0, v[92:93]
	v_fmac_f64_e32 v[24:25], v[84:85], v[92:93]
	v_fmac_f64_e32 v[20:21], 0, v[92:93]
	v_fmac_f64_e32 v[12:13], v[86:87], v[92:93]
	v_fmac_f64_e32 v[22:23], 0, v[92:93]
	v_fmac_f64_e32 v[14:15], 0x80000000, v[94:95]
	v_fmac_f64_e32 v[10:11], v[88:89], v[94:95]
	v_fmac_f64_e32 v[18:19], 0x80000000, v[94:95]
	v_fmac_f64_e32 v[16:17], v[90:91], v[94:95]
	v_fmac_f64_e32 v[24:25], 0x80000000, v[94:95]
	v_fmac_f64_e32 v[20:21], v[84:85], v[94:95]
	v_fmac_f64_e32 v[12:13], 0x80000000, v[94:95]
	v_fmac_f64_e32 v[22:23], v[86:87], v[94:95]
	s_clause 0x1
	global_load_b128 v[84:87], v[32:33], off offset:16464
	global_load_b128 v[88:91], v[32:33], off offset:16448
	global_load_b128 v[92:95], v1, s[4:5] offset:32 scale_offset
	;; [unrolled: 21-line block ×3, first 2 shown]
	s_wait_xcnt 0x0
	v_subrev_nc_u32_e32 v1, s12, v109
	s_delay_alu instid0(VALU_DEP_1)
	v_lshlrev_b32_e32 v1, 2, v1
	s_wait_loadcnt 0xf
	v_fmac_f64_e32 v[14:15], v[40:41], v[44:45]
	v_fmac_f64_e32 v[10:11], 0, v[44:45]
	;; [unrolled: 1-line block ×16, first 2 shown]
	s_clause 0x1
	global_load_b128 v[36:39], v[32:33], off offset:24592
	global_load_b128 v[40:43], v[32:33], off offset:24576
	s_clause 0x1
	global_load_b128 v[44:47], v1, s[4:5] offset:16 scale_offset
	global_load_b128 v[108:111], v1, s[4:5] scale_offset
	s_wait_loadcnt 0x10
	v_fmac_f64_e32 v[14:15], v[52:53], v[56:57]
	v_fmac_f64_e32 v[10:11], 0, v[56:57]
	;; [unrolled: 1-line block ×16, first 2 shown]
	s_clause 0x1
	global_load_b128 v[48:51], v[32:33], off offset:24624
	global_load_b128 v[52:55], v[32:33], off offset:24608
	s_wait_loadcnt 0xf
	v_fmac_f64_e32 v[14:15], v[64:65], v[68:69]
	v_fmac_f64_e32 v[10:11], 0, v[68:69]
	;; [unrolled: 1-line block ×16, first 2 shown]
	s_clause 0x1
	global_load_b128 v[56:59], v[32:33], off offset:24656
	global_load_b128 v[60:63], v[32:33], off offset:24640
	global_load_b128 v[64:67], v1, s[4:5] offset:32 scale_offset
	s_wait_loadcnt 0xf
	v_fmac_f64_e32 v[14:15], v[76:77], v[80:81]
	v_fmac_f64_e32 v[10:11], 0, v[80:81]
	;; [unrolled: 1-line block ×16, first 2 shown]
	s_clause 0x1
	global_load_b128 v[68:71], v[32:33], off offset:24672
	global_load_b128 v[72:75], v[32:33], off offset:24688
	global_load_b128 v[76:79], v1, s[4:5] offset:48 scale_offset
	s_wait_xcnt 0x1
	v_add_nc_u64_e32 v[32:33], 0x8000, v[32:33]
	s_wait_loadcnt 0xf
	v_fmac_f64_e32 v[14:15], v[88:89], v[92:93]
	v_fmac_f64_e32 v[10:11], 0, v[92:93]
	v_fmac_f64_e32 v[18:19], v[90:91], v[92:93]
	v_fmac_f64_e32 v[16:17], 0, v[92:93]
	v_fmac_f64_e32 v[24:25], v[84:85], v[92:93]
	v_fmac_f64_e32 v[20:21], 0, v[92:93]
	v_fmac_f64_e32 v[12:13], v[86:87], v[92:93]
	v_fmac_f64_e32 v[22:23], 0, v[92:93]
	v_fmac_f64_e32 v[14:15], 0x80000000, v[94:95]
	v_fmac_f64_e32 v[10:11], v[88:89], v[94:95]
	v_fmac_f64_e32 v[18:19], 0x80000000, v[94:95]
	v_fmac_f64_e32 v[16:17], v[90:91], v[94:95]
	v_fmac_f64_e32 v[24:25], 0x80000000, v[94:95]
	v_fmac_f64_e32 v[20:21], v[84:85], v[94:95]
	v_fmac_f64_e32 v[12:13], 0x80000000, v[94:95]
	v_fmac_f64_e32 v[22:23], v[86:87], v[94:95]
	s_wait_loadcnt 0xc
	v_fmac_f64_e32 v[14:15], v[100:101], v[104:105]
	v_fmac_f64_e32 v[10:11], 0, v[104:105]
	v_fmac_f64_e32 v[18:19], v[102:103], v[104:105]
	v_fmac_f64_e32 v[16:17], 0, v[104:105]
	v_fmac_f64_e32 v[24:25], v[96:97], v[104:105]
	v_fmac_f64_e32 v[20:21], 0, v[104:105]
	v_fmac_f64_e32 v[12:13], v[98:99], v[104:105]
	v_fmac_f64_e32 v[22:23], 0, v[104:105]
	v_fmac_f64_e32 v[14:15], 0x80000000, v[106:107]
	v_fmac_f64_e32 v[10:11], v[100:101], v[106:107]
	v_fmac_f64_e32 v[18:19], 0x80000000, v[106:107]
	v_fmac_f64_e32 v[16:17], v[102:103], v[106:107]
	v_fmac_f64_e32 v[24:25], 0x80000000, v[106:107]
	v_fmac_f64_e32 v[20:21], v[96:97], v[106:107]
	v_fmac_f64_e32 v[12:13], 0x80000000, v[106:107]
	v_fmac_f64_e32 v[22:23], v[98:99], v[106:107]
	;; [unrolled: 17-line block ×6, first 2 shown]
	s_and_not1_b32 exec_lo, exec_lo, s6
	s_cbranch_execnz .LBB144_31
; %bb.32:
	s_or_b32 exec_lo, exec_lo, s6
.LBB144_33:
	s_delay_alu instid0(SALU_CYCLE_1)
	s_or_b32 exec_lo, exec_lo, s2
.LBB144_34:
	s_delay_alu instid0(SALU_CYCLE_1)
	s_or_b32 exec_lo, exec_lo, s3
.LBB144_35:
	v_mbcnt_lo_u32_b32 v1, -1, 0
	s_delay_alu instid0(VALU_DEP_1) | instskip(NEXT) | instid1(VALU_DEP_1)
	v_or_b32_e32 v27, 32, v1
	v_cmp_gt_i32_e32 vcc_lo, 32, v27
	v_cndmask_b32_e32 v27, v1, v27, vcc_lo
	s_delay_alu instid0(VALU_DEP_1)
	v_lshlrev_b32_e32 v27, 2, v27
	ds_bpermute_b32 v32, v27, v18
	ds_bpermute_b32 v33, v27, v19
	s_wait_dscnt 0x0
	v_add_f64_e32 v[18:19], v[18:19], v[32:33]
	ds_bpermute_b32 v28, v27, v14
	ds_bpermute_b32 v29, v27, v15
	;; [unrolled: 1-line block ×14, first 2 shown]
	v_xor_b32_e32 v27, 16, v1
	s_delay_alu instid0(VALU_DEP_1)
	v_cmp_gt_i32_e32 vcc_lo, 32, v27
	s_wait_dscnt 0xc
	v_add_f64_e32 v[14:15], v[14:15], v[28:29]
	s_wait_dscnt 0xa
	v_add_f64_e32 v[10:11], v[10:11], v[30:31]
	v_cndmask_b32_e32 v27, v1, v27, vcc_lo
	s_wait_dscnt 0x8
	v_add_f64_e32 v[16:17], v[16:17], v[34:35]
	s_wait_dscnt 0x6
	s_delay_alu instid0(VALU_DEP_2)
	v_dual_add_f64 v[24:25], v[24:25], v[36:37] :: v_dual_lshlrev_b32 v27, 2, v27
	s_wait_dscnt 0x4
	v_add_f64_e32 v[20:21], v[20:21], v[38:39]
	s_wait_dscnt 0x2
	v_add_f64_e32 v[12:13], v[12:13], v[40:41]
	;; [unrolled: 2-line block ×3, first 2 shown]
	ds_bpermute_b32 v32, v27, v18
	ds_bpermute_b32 v33, v27, v19
	;; [unrolled: 1-line block ×16, first 2 shown]
	v_xor_b32_e32 v27, 8, v1
	s_delay_alu instid0(VALU_DEP_1)
	v_cmp_gt_i32_e32 vcc_lo, 32, v27
	s_wait_dscnt 0xc
	v_add_f64_e32 v[14:15], v[14:15], v[28:29]
	v_add_f64_e32 v[18:19], v[18:19], v[32:33]
	s_wait_dscnt 0xa
	v_add_f64_e32 v[10:11], v[10:11], v[30:31]
	v_cndmask_b32_e32 v27, v1, v27, vcc_lo
	s_wait_dscnt 0x8
	v_add_f64_e32 v[16:17], v[16:17], v[34:35]
	s_wait_dscnt 0x6
	v_add_f64_e32 v[24:25], v[24:25], v[36:37]
	s_wait_dscnt 0x4
	v_add_f64_e32 v[20:21], v[20:21], v[38:39]
	s_wait_dscnt 0x2
	v_dual_add_f64 v[12:13], v[12:13], v[40:41] :: v_dual_lshlrev_b32 v27, 2, v27
	s_wait_dscnt 0x0
	v_add_f64_e32 v[22:23], v[22:23], v[42:43]
	ds_bpermute_b32 v28, v27, v14
	ds_bpermute_b32 v29, v27, v15
	;; [unrolled: 1-line block ×16, first 2 shown]
	v_xor_b32_e32 v27, 4, v1
	s_delay_alu instid0(VALU_DEP_1)
	v_cmp_gt_i32_e32 vcc_lo, 32, v27
	s_wait_dscnt 0xe
	v_add_f64_e32 v[14:15], v[14:15], v[28:29]
	s_wait_dscnt 0xc
	v_add_f64_e32 v[10:11], v[10:11], v[30:31]
	v_cndmask_b32_e32 v27, v1, v27, vcc_lo
	s_wait_dscnt 0x6
	s_delay_alu instid0(VALU_DEP_1)
	v_dual_add_f64 v[24:25], v[24:25], v[36:37] :: v_dual_lshlrev_b32 v27, 2, v27
	s_wait_dscnt 0x4
	v_add_f64_e32 v[20:21], v[20:21], v[38:39]
	s_wait_dscnt 0x2
	v_add_f64_e32 v[12:13], v[12:13], v[40:41]
	;; [unrolled: 2-line block ×3, first 2 shown]
	ds_bpermute_b32 v28, v27, v14
	ds_bpermute_b32 v29, v27, v15
	;; [unrolled: 1-line block ×12, first 2 shown]
	s_wait_dscnt 0xa
	v_add_f64_e32 v[14:15], v[14:15], v[28:29]
	s_wait_dscnt 0x8
	v_dual_add_f64 v[28:29], v[10:11], v[30:31] :: v_dual_bitop2_b32 v10, 2, v1 bitop3:0x14
	v_add_f64_e32 v[16:17], v[16:17], v[34:35]
	s_delay_alu instid0(VALU_DEP_2)
	v_cmp_gt_i32_e32 vcc_lo, 32, v10
	v_dual_add_f64 v[18:19], v[18:19], v[32:33] :: v_dual_cndmask_b32 v10, v1, v10, vcc_lo
	s_wait_dscnt 0x3
	v_add_f64_e32 v[22:23], v[22:23], v[42:43]
	s_wait_dscnt 0x2
	v_add_f64_e32 v[20:21], v[20:21], v[38:39]
	ds_bpermute_b32 v34, v27, v16
	ds_bpermute_b32 v35, v27, v17
	;; [unrolled: 1-line block ×4, first 2 shown]
	v_lshlrev_b32_e32 v27, 2, v10
	ds_bpermute_b32 v44, v27, v22
	ds_bpermute_b32 v45, v27, v23
	s_wait_dscnt 0x4
	v_add_f64_e32 v[16:17], v[16:17], v[34:35]
	v_add_f64_e32 v[34:35], v[12:13], v[40:41]
	ds_bpermute_b32 v12, v27, v28
	ds_bpermute_b32 v13, v27, v29
	;; [unrolled: 1-line block ×3, first 2 shown]
	s_wait_dscnt 0x5
	v_add_f64_e32 v[18:19], v[18:19], v[32:33]
	v_add_f64_e32 v[32:33], v[24:25], v[36:37]
	ds_bpermute_b32 v41, v27, v21
	s_wait_dscnt 0x2
	v_add_f64_e32 v[30:31], v[28:29], v[12:13]
	s_wait_dscnt 0x0
	v_add_f64_e32 v[20:21], v[20:21], v[40:41]
	ds_bpermute_b32 v36, v27, v16
	ds_bpermute_b32 v37, v27, v17
	;; [unrolled: 1-line block ×8, first 2 shown]
	s_wait_dscnt 0x2
	v_add_f64_e32 v[12:13], v[18:19], v[24:25]
	v_add_f64_e32 v[18:19], v[22:23], v[44:45]
	v_xor_b32_e32 v22, 1, v1
	v_add_f64_e32 v[24:25], v[16:17], v[36:37]
	v_add_f64_e32 v[16:17], v[34:35], v[42:43]
	s_delay_alu instid0(VALU_DEP_3)
	v_cmp_gt_i32_e32 vcc_lo, 32, v22
	v_cndmask_b32_e32 v1, v1, v22, vcc_lo
	ds_bpermute_b32 v10, v27, v14
	ds_bpermute_b32 v11, v27, v15
	v_cmp_eq_u32_e32 vcc_lo, 63, v0
	v_lshlrev_b32_e32 v1, 2, v1
	ds_bpermute_b32 v42, v1, v30
	ds_bpermute_b32 v43, v1, v31
	;; [unrolled: 1-line block ×4, first 2 shown]
	s_wait_dscnt 0x4
	v_add_f64_e32 v[10:11], v[14:15], v[10:11]
	v_add_f64_e32 v[14:15], v[32:33], v[38:39]
	ds_bpermute_b32 v40, v1, v24
	ds_bpermute_b32 v41, v1, v25
	;; [unrolled: 1-line block ×12, first 2 shown]
	s_and_b32 exec_lo, exec_lo, vcc_lo
	s_cbranch_execz .LBB144_8
; %bb.36:
	s_wait_dscnt 0xe
	v_add_f64_e32 v[0:1], v[30:31], v[42:43]
	s_wait_dscnt 0xa
	v_add_f64_e32 v[30:31], v[24:25], v[40:41]
	;; [unrolled: 2-line block ×5, first 2 shown]
	v_add_f64_e32 v[28:29], v[12:13], v[28:29]
	s_wait_dscnt 0x0
	v_add_f64_e32 v[32:33], v[14:15], v[32:33]
	v_add_f64_e32 v[34:35], v[16:17], v[34:35]
	v_cmp_eq_f64_e32 vcc_lo, 0, v[2:3]
	v_cmp_eq_f64_e64 s2, 0, v[4:5]
	s_load_b64 s[0:1], s[0:1], 0x60
	v_mul_f64_e64 v[22:23], v[0:1], -v[8:9]
	v_mul_f64_e32 v[24:25], v[6:7], v[0:1]
	v_mul_f64_e64 v[14:15], v[38:39], -v[8:9]
	v_mul_f64_e32 v[16:17], v[6:7], v[38:39]
	v_mul_f64_e64 v[10:11], v[36:37], -v[8:9]
	v_dual_mul_f64 v[12:13], v[6:7], v[36:37] :: v_dual_lshlrev_b32 v0, 2, v26
	v_mul_f64_e64 v[18:19], v[30:31], -v[8:9]
	v_mul_f64_e32 v[20:21], v[6:7], v[30:31]
	s_and_b32 s2, vcc_lo, s2
	v_fmac_f64_e32 v[22:23], v[6:7], v[40:41]
	v_fmac_f64_e32 v[24:25], v[8:9], v[40:41]
	;; [unrolled: 1-line block ×8, first 2 shown]
	s_and_saveexec_b32 s3, s2
	s_delay_alu instid0(SALU_CYCLE_1)
	s_xor_b32 s2, exec_lo, s3
	s_cbranch_execz .LBB144_38
; %bb.37:
	s_wait_kmcnt 0x0
	s_clause 0x3
	global_store_b128 v0, v[22:25], s[0:1] scale_offset
	global_store_b128 v0, v[18:21], s[0:1] offset:16 scale_offset
	global_store_b128 v0, v[14:17], s[0:1] offset:32 scale_offset
	global_store_b128 v0, v[10:13], s[0:1] offset:48 scale_offset
                                        ; implicit-def: $vgpr4_vgpr5
                                        ; implicit-def: $vgpr22_vgpr23
                                        ; implicit-def: $vgpr0
                                        ; implicit-def: $vgpr18_vgpr19
                                        ; implicit-def: $vgpr14_vgpr15
                                        ; implicit-def: $vgpr10_vgpr11
.LBB144_38:
	s_wait_xcnt 0x0
	s_and_not1_saveexec_b32 s2, s2
	s_cbranch_execz .LBB144_8
; %bb.39:
	s_wait_kmcnt 0x0
	s_clause 0x3
	global_load_b128 v[6:9], v0, s[0:1] scale_offset
	global_load_b128 v[26:29], v0, s[0:1] offset:16 scale_offset
	global_load_b128 v[30:33], v0, s[0:1] offset:32 scale_offset
	;; [unrolled: 1-line block ×3, first 2 shown]
	s_wait_loadcnt 0x3
	v_fmac_f64_e32 v[22:23], v[2:3], v[6:7]
	v_fmac_f64_e32 v[24:25], v[4:5], v[6:7]
	s_wait_loadcnt 0x2
	v_fmac_f64_e32 v[18:19], v[2:3], v[26:27]
	v_fmac_f64_e32 v[20:21], v[4:5], v[26:27]
	;; [unrolled: 3-line block ×4, first 2 shown]
	v_fma_f64 v[22:23], -v[4:5], v[8:9], v[22:23]
	v_fmac_f64_e32 v[24:25], v[2:3], v[8:9]
	v_fma_f64 v[18:19], -v[4:5], v[28:29], v[18:19]
	v_fmac_f64_e32 v[20:21], v[2:3], v[28:29]
	;; [unrolled: 2-line block ×4, first 2 shown]
	s_clause 0x3
	global_store_b128 v0, v[22:25], s[0:1] scale_offset
	global_store_b128 v0, v[18:21], s[0:1] offset:16 scale_offset
	global_store_b128 v0, v[14:17], s[0:1] offset:32 scale_offset
	;; [unrolled: 1-line block ×3, first 2 shown]
	s_sendmsg sendmsg(MSG_DEALLOC_VGPRS)
	s_endpgm
	.section	.rodata,"a",@progbits
	.p2align	6, 0x0
	.amdhsa_kernel _ZN9rocsparseL18bsrxmvn_4x4_kernelILj128ELj64E21rocsparse_complex_numIdElidS2_S2_EEvT3_20rocsparse_direction_NS_24const_host_device_scalarIT1_EES3_PKS3_PKT2_SC_S9_PKT4_PKT5_S7_PT6_21rocsparse_index_base_b
		.amdhsa_group_segment_fixed_size 0
		.amdhsa_private_segment_fixed_size 0
		.amdhsa_kernarg_size 112
		.amdhsa_user_sgpr_count 2
		.amdhsa_user_sgpr_dispatch_ptr 0
		.amdhsa_user_sgpr_queue_ptr 0
		.amdhsa_user_sgpr_kernarg_segment_ptr 1
		.amdhsa_user_sgpr_dispatch_id 0
		.amdhsa_user_sgpr_kernarg_preload_length 0
		.amdhsa_user_sgpr_kernarg_preload_offset 0
		.amdhsa_user_sgpr_private_segment_size 0
		.amdhsa_wavefront_size32 1
		.amdhsa_uses_dynamic_stack 0
		.amdhsa_enable_private_segment 0
		.amdhsa_system_sgpr_workgroup_id_x 1
		.amdhsa_system_sgpr_workgroup_id_y 0
		.amdhsa_system_sgpr_workgroup_id_z 0
		.amdhsa_system_sgpr_workgroup_info 0
		.amdhsa_system_vgpr_workitem_id 0
		.amdhsa_next_free_vgpr 141
		.amdhsa_next_free_sgpr 14
		.amdhsa_named_barrier_count 0
		.amdhsa_reserve_vcc 1
		.amdhsa_float_round_mode_32 0
		.amdhsa_float_round_mode_16_64 0
		.amdhsa_float_denorm_mode_32 3
		.amdhsa_float_denorm_mode_16_64 3
		.amdhsa_fp16_overflow 0
		.amdhsa_memory_ordered 1
		.amdhsa_forward_progress 1
		.amdhsa_inst_pref_size 65
		.amdhsa_round_robin_scheduling 0
		.amdhsa_exception_fp_ieee_invalid_op 0
		.amdhsa_exception_fp_denorm_src 0
		.amdhsa_exception_fp_ieee_div_zero 0
		.amdhsa_exception_fp_ieee_overflow 0
		.amdhsa_exception_fp_ieee_underflow 0
		.amdhsa_exception_fp_ieee_inexact 0
		.amdhsa_exception_int_div_zero 0
	.end_amdhsa_kernel
	.section	.text._ZN9rocsparseL18bsrxmvn_4x4_kernelILj128ELj64E21rocsparse_complex_numIdElidS2_S2_EEvT3_20rocsparse_direction_NS_24const_host_device_scalarIT1_EES3_PKS3_PKT2_SC_S9_PKT4_PKT5_S7_PT6_21rocsparse_index_base_b,"axG",@progbits,_ZN9rocsparseL18bsrxmvn_4x4_kernelILj128ELj64E21rocsparse_complex_numIdElidS2_S2_EEvT3_20rocsparse_direction_NS_24const_host_device_scalarIT1_EES3_PKS3_PKT2_SC_S9_PKT4_PKT5_S7_PT6_21rocsparse_index_base_b,comdat
.Lfunc_end144:
	.size	_ZN9rocsparseL18bsrxmvn_4x4_kernelILj128ELj64E21rocsparse_complex_numIdElidS2_S2_EEvT3_20rocsparse_direction_NS_24const_host_device_scalarIT1_EES3_PKS3_PKT2_SC_S9_PKT4_PKT5_S7_PT6_21rocsparse_index_base_b, .Lfunc_end144-_ZN9rocsparseL18bsrxmvn_4x4_kernelILj128ELj64E21rocsparse_complex_numIdElidS2_S2_EEvT3_20rocsparse_direction_NS_24const_host_device_scalarIT1_EES3_PKS3_PKT2_SC_S9_PKT4_PKT5_S7_PT6_21rocsparse_index_base_b
                                        ; -- End function
	.set _ZN9rocsparseL18bsrxmvn_4x4_kernelILj128ELj64E21rocsparse_complex_numIdElidS2_S2_EEvT3_20rocsparse_direction_NS_24const_host_device_scalarIT1_EES3_PKS3_PKT2_SC_S9_PKT4_PKT5_S7_PT6_21rocsparse_index_base_b.num_vgpr, 141
	.set _ZN9rocsparseL18bsrxmvn_4x4_kernelILj128ELj64E21rocsparse_complex_numIdElidS2_S2_EEvT3_20rocsparse_direction_NS_24const_host_device_scalarIT1_EES3_PKS3_PKT2_SC_S9_PKT4_PKT5_S7_PT6_21rocsparse_index_base_b.num_agpr, 0
	.set _ZN9rocsparseL18bsrxmvn_4x4_kernelILj128ELj64E21rocsparse_complex_numIdElidS2_S2_EEvT3_20rocsparse_direction_NS_24const_host_device_scalarIT1_EES3_PKS3_PKT2_SC_S9_PKT4_PKT5_S7_PT6_21rocsparse_index_base_b.numbered_sgpr, 14
	.set _ZN9rocsparseL18bsrxmvn_4x4_kernelILj128ELj64E21rocsparse_complex_numIdElidS2_S2_EEvT3_20rocsparse_direction_NS_24const_host_device_scalarIT1_EES3_PKS3_PKT2_SC_S9_PKT4_PKT5_S7_PT6_21rocsparse_index_base_b.num_named_barrier, 0
	.set _ZN9rocsparseL18bsrxmvn_4x4_kernelILj128ELj64E21rocsparse_complex_numIdElidS2_S2_EEvT3_20rocsparse_direction_NS_24const_host_device_scalarIT1_EES3_PKS3_PKT2_SC_S9_PKT4_PKT5_S7_PT6_21rocsparse_index_base_b.private_seg_size, 0
	.set _ZN9rocsparseL18bsrxmvn_4x4_kernelILj128ELj64E21rocsparse_complex_numIdElidS2_S2_EEvT3_20rocsparse_direction_NS_24const_host_device_scalarIT1_EES3_PKS3_PKT2_SC_S9_PKT4_PKT5_S7_PT6_21rocsparse_index_base_b.uses_vcc, 1
	.set _ZN9rocsparseL18bsrxmvn_4x4_kernelILj128ELj64E21rocsparse_complex_numIdElidS2_S2_EEvT3_20rocsparse_direction_NS_24const_host_device_scalarIT1_EES3_PKS3_PKT2_SC_S9_PKT4_PKT5_S7_PT6_21rocsparse_index_base_b.uses_flat_scratch, 0
	.set _ZN9rocsparseL18bsrxmvn_4x4_kernelILj128ELj64E21rocsparse_complex_numIdElidS2_S2_EEvT3_20rocsparse_direction_NS_24const_host_device_scalarIT1_EES3_PKS3_PKT2_SC_S9_PKT4_PKT5_S7_PT6_21rocsparse_index_base_b.has_dyn_sized_stack, 0
	.set _ZN9rocsparseL18bsrxmvn_4x4_kernelILj128ELj64E21rocsparse_complex_numIdElidS2_S2_EEvT3_20rocsparse_direction_NS_24const_host_device_scalarIT1_EES3_PKS3_PKT2_SC_S9_PKT4_PKT5_S7_PT6_21rocsparse_index_base_b.has_recursion, 0
	.set _ZN9rocsparseL18bsrxmvn_4x4_kernelILj128ELj64E21rocsparse_complex_numIdElidS2_S2_EEvT3_20rocsparse_direction_NS_24const_host_device_scalarIT1_EES3_PKS3_PKT2_SC_S9_PKT4_PKT5_S7_PT6_21rocsparse_index_base_b.has_indirect_call, 0
	.section	.AMDGPU.csdata,"",@progbits
; Kernel info:
; codeLenInByte = 8320
; TotalNumSgprs: 16
; NumVgprs: 141
; ScratchSize: 0
; MemoryBound: 0
; FloatMode: 240
; IeeeMode: 1
; LDSByteSize: 0 bytes/workgroup (compile time only)
; SGPRBlocks: 0
; VGPRBlocks: 8
; NumSGPRsForWavesPerEU: 16
; NumVGPRsForWavesPerEU: 141
; NamedBarCnt: 0
; Occupancy: 7
; WaveLimiterHint : 1
; COMPUTE_PGM_RSRC2:SCRATCH_EN: 0
; COMPUTE_PGM_RSRC2:USER_SGPR: 2
; COMPUTE_PGM_RSRC2:TRAP_HANDLER: 0
; COMPUTE_PGM_RSRC2:TGID_X_EN: 1
; COMPUTE_PGM_RSRC2:TGID_Y_EN: 0
; COMPUTE_PGM_RSRC2:TGID_Z_EN: 0
; COMPUTE_PGM_RSRC2:TIDIG_COMP_CNT: 0
	.section	.text._ZN9rocsparseL18bsrxmvn_4x4_kernelILj128ELj4E21rocsparse_complex_numIdElldS2_S2_EEvT3_20rocsparse_direction_NS_24const_host_device_scalarIT1_EES3_PKS3_PKT2_SC_S9_PKT4_PKT5_S7_PT6_21rocsparse_index_base_b,"axG",@progbits,_ZN9rocsparseL18bsrxmvn_4x4_kernelILj128ELj4E21rocsparse_complex_numIdElldS2_S2_EEvT3_20rocsparse_direction_NS_24const_host_device_scalarIT1_EES3_PKS3_PKT2_SC_S9_PKT4_PKT5_S7_PT6_21rocsparse_index_base_b,comdat
	.globl	_ZN9rocsparseL18bsrxmvn_4x4_kernelILj128ELj4E21rocsparse_complex_numIdElldS2_S2_EEvT3_20rocsparse_direction_NS_24const_host_device_scalarIT1_EES3_PKS3_PKT2_SC_S9_PKT4_PKT5_S7_PT6_21rocsparse_index_base_b ; -- Begin function _ZN9rocsparseL18bsrxmvn_4x4_kernelILj128ELj4E21rocsparse_complex_numIdElldS2_S2_EEvT3_20rocsparse_direction_NS_24const_host_device_scalarIT1_EES3_PKS3_PKT2_SC_S9_PKT4_PKT5_S7_PT6_21rocsparse_index_base_b
	.p2align	8
	.type	_ZN9rocsparseL18bsrxmvn_4x4_kernelILj128ELj4E21rocsparse_complex_numIdElldS2_S2_EEvT3_20rocsparse_direction_NS_24const_host_device_scalarIT1_EES3_PKS3_PKT2_SC_S9_PKT4_PKT5_S7_PT6_21rocsparse_index_base_b,@function
_ZN9rocsparseL18bsrxmvn_4x4_kernelILj128ELj4E21rocsparse_complex_numIdElldS2_S2_EEvT3_20rocsparse_direction_NS_24const_host_device_scalarIT1_EES3_PKS3_PKT2_SC_S9_PKT4_PKT5_S7_PT6_21rocsparse_index_base_b: ; @_ZN9rocsparseL18bsrxmvn_4x4_kernelILj128ELj4E21rocsparse_complex_numIdElldS2_S2_EEvT3_20rocsparse_direction_NS_24const_host_device_scalarIT1_EES3_PKS3_PKT2_SC_S9_PKT4_PKT5_S7_PT6_21rocsparse_index_base_b
; %bb.0:
	s_clause 0x1
	s_load_b64 s[4:5], s[0:1], 0x70
	s_load_b64 s[2:3], s[0:1], 0x10
	v_mov_b32_e32 v1, 0
	s_add_nc_u64 s[6:7], s[0:1], 16
	s_load_b64 s[8:9], s[0:1], 0x58
	s_wait_kmcnt 0x0
	s_bitcmp1_b32 s5, 0
	s_cselect_b32 s3, s7, s3
	s_cselect_b32 s2, s6, s2
	flat_load_b128 v[6:9], v1, s[2:3]
	s_wait_xcnt 0x0
	s_add_nc_u64 s[2:3], s[0:1], 0x58
	s_delay_alu instid0(SALU_CYCLE_1)
	s_cselect_b32 s3, s3, s9
	s_cselect_b32 s2, s2, s8
	flat_load_b128 v[2:5], v1, s[2:3]
	s_wait_loadcnt_dscnt 0x101
	v_cmp_eq_f64_e32 vcc_lo, 0, v[6:7]
	s_wait_xcnt 0x0
	v_cmp_eq_f64_e64 s2, 0, v[8:9]
	s_and_b32 s5, vcc_lo, s2
	s_mov_b32 s2, -1
	s_and_saveexec_b32 s3, s5
	s_cbranch_execz .LBB145_2
; %bb.1:
	s_wait_loadcnt_dscnt 0x0
	v_cmp_neq_f64_e32 vcc_lo, 1.0, v[2:3]
	v_cmp_neq_f64_e64 s2, 0, v[4:5]
	s_or_b32 s2, vcc_lo, s2
	s_delay_alu instid0(SALU_CYCLE_1)
	s_or_not1_b32 s2, s2, exec_lo
.LBB145_2:
	s_or_b32 exec_lo, exec_lo, s3
	s_and_saveexec_b32 s3, s2
	s_cbranch_execz .LBB145_8
; %bb.3:
	s_load_b64 s[2:3], s[0:1], 0x28
	s_bfe_u32 s5, ttmp6, 0x4000c
	s_and_b32 s6, ttmp6, 15
	s_add_co_i32 s5, s5, 1
	s_getreg_b32 s7, hwreg(HW_REG_IB_STS2, 6, 4)
	s_mul_i32 s5, ttmp9, s5
	v_dual_lshrrev_b32 v1, 2, v0 :: v_dual_mov_b32 v13, 0
	s_add_co_i32 s6, s6, s5
	s_cmp_eq_u32 s7, 0
	s_cselect_b32 s5, ttmp9, s6
	s_mov_b32 s6, 0
	v_lshl_or_b32 v12, s5, 5, v1
	s_wait_kmcnt 0x0
	s_cmp_lg_u64 s[2:3], 0
	s_cbranch_scc0 .LBB145_9
; %bb.4:
	s_load_b64 s[6:7], s[0:1], 0x20
                                        ; implicit-def: $vgpr26_vgpr27
                                        ; implicit-def: $vgpr10_vgpr11
	s_wait_kmcnt 0x0
	v_cmp_gt_i64_e32 vcc_lo, s[6:7], v[12:13]
	s_mov_b32 s7, 0
	s_mov_b32 s6, 0
	s_and_saveexec_b32 s5, vcc_lo
	s_delay_alu instid0(SALU_CYCLE_1)
	s_xor_b32 s8, exec_lo, s5
	s_cbranch_execz .LBB145_6
; %bb.5:
	v_lshl_add_u64 v[10:11], v[12:13], 3, s[2:3]
	s_mov_b32 s5, 0
	s_mov_b32 s6, exec_lo
	global_load_b64 v[10:11], v[10:11], off
	s_wait_loadcnt 0x0
	v_sub_nc_u64_e64 v[26:27], v[10:11], s[4:5]
	v_mov_b64_e32 v[10:11], s[4:5]
.LBB145_6:
	s_or_b32 exec_lo, exec_lo, s8
	s_delay_alu instid0(SALU_CYCLE_1)
	s_and_b32 vcc_lo, exec_lo, s7
	s_cbranch_vccnz .LBB145_10
.LBB145_7:
	s_and_b32 exec_lo, exec_lo, s6
	s_cbranch_execnz .LBB145_13
.LBB145_8:
	s_sendmsg sendmsg(MSG_DEALLOC_VGPRS)
	s_endpgm
.LBB145_9:
                                        ; implicit-def: $vgpr26_vgpr27
                                        ; implicit-def: $vgpr10_vgpr11
	s_cbranch_execz .LBB145_7
.LBB145_10:
	s_load_b64 s[2:3], s[0:1], 0x0
	s_wait_kmcnt 0x0
	v_cmp_gt_i64_e32 vcc_lo, s[2:3], v[12:13]
	s_and_saveexec_b32 s2, vcc_lo
; %bb.11:
	s_mov_b32 s5, 0
	s_or_b32 s6, s6, exec_lo
; %bb.12:
	s_or_b32 exec_lo, exec_lo, s2
	v_mov_b64_e32 v[10:11], s[4:5]
	v_mov_b64_e32 v[26:27], v[12:13]
	s_and_b32 exec_lo, exec_lo, s6
	s_cbranch_execz .LBB145_8
.LBB145_13:
	s_load_b256 s[4:11], s[0:1], 0x30
	s_delay_alu instid0(VALU_DEP_1) | instskip(SKIP_3) | instid1(VALU_DEP_2)
	v_lshlrev_b64_e32 v[12:13], 3, v[26:27]
	v_dual_mov_b32 v1, 0 :: v_dual_bitop2_b32 v0, 3, v0 bitop3:0x40
	s_load_b32 s3, s[0:1], 0x8
	s_wait_kmcnt 0x0
	v_add_nc_u64_e32 v[14:15], s[4:5], v[12:13]
	v_add_nc_u64_e32 v[12:13], s[6:7], v[12:13]
	s_cmp_eq_u64 s[6:7], 0
	s_load_b64 s[4:5], s[0:1], 0x50
	s_cselect_b32 vcc_lo, -1, 0
	s_cmp_eq_u32 s3, 1
	global_load_b64 v[36:37], v[14:15], off
	s_wait_xcnt 0x0
	v_add_nc_u64_e32 v[14:15], 8, v[14:15]
	s_delay_alu instid0(VALU_DEP_1) | instskip(SKIP_3) | instid1(VALU_DEP_1)
	v_dual_cndmask_b32 v13, v13, v15 :: v_dual_cndmask_b32 v12, v12, v14
	global_load_b64 v[12:13], v[12:13], off
	s_wait_loadcnt 0x1
	v_sub_nc_u64_e32 v[14:15], v[36:37], v[10:11]
	v_add_nc_u64_e32 v[14:15], v[14:15], v[0:1]
	s_wait_loadcnt 0x0
	v_sub_nc_u64_e32 v[18:19], v[12:13], v[10:11]
	s_delay_alu instid0(VALU_DEP_2) | instskip(NEXT) | instid1(VALU_DEP_2)
	v_lshlrev_b64_e32 v[16:17], 7, v[14:15]
	v_cmp_lt_i64_e64 s2, v[14:15], v[18:19]
	s_delay_alu instid0(VALU_DEP_2)
	v_add_nc_u64_e32 v[20:21], s[10:11], v[16:17]
	s_cbranch_scc1 .LBB145_25
; %bb.14:
	v_mov_b64_e32 v[12:13], 0
	v_mov_b64_e32 v[22:23], 0
	;; [unrolled: 1-line block ×8, first 2 shown]
	s_and_saveexec_b32 s3, s2
	s_cbranch_execz .LBB145_24
; %bb.15:
	v_dual_mov_b32 v13, v1 :: v_dual_bitop2_b32 v12, 4, v0 bitop3:0x54
	v_sub_nc_u64_e32 v[16:17], v[10:11], v[0:1]
	v_not_b32_e32 v23, v37
	v_not_b32_e32 v22, v36
	v_mov_b64_e32 v[32:33], 0
	v_sub_nc_u64_e32 v[12:13], v[12:13], v[10:11]
	v_mov_b64_e32 v[34:35], 0
	v_mov_b64_e32 v[30:31], 0
	v_add_nc_u64_e32 v[16:17], v[16:17], v[22:23]
	v_mov_b64_e32 v[28:29], 0
	v_mov_b64_e32 v[24:25], 0
	;; [unrolled: 1-line block ×3, first 2 shown]
	v_add_nc_u64_e32 v[12:13], v[12:13], v[36:37]
	v_mov_b64_e32 v[38:39], v[20:21]
	v_mov_b64_e32 v[40:41], v[14:15]
	s_mov_b32 s6, exec_lo
	s_delay_alu instid0(VALU_DEP_3) | instskip(NEXT) | instid1(VALU_DEP_1)
	v_max_i64 v[12:13], v[12:13], v[18:19]
	v_add_nc_u64_e32 v[42:43], v[16:17], v[12:13]
	v_mov_b64_e32 v[16:17], 0
	v_mov_b64_e32 v[12:13], 0
	s_delay_alu instid0(VALU_DEP_3) | instskip(NEXT) | instid1(VALU_DEP_1)
	v_dual_mov_b32 v47, 0 :: v_dual_bitop2_b32 v46, 12, v42 bitop3:0x40
	v_cmpx_ne_u64_e32 12, v[46:47]
	s_cbranch_execz .LBB145_19
; %bb.16:
	v_lshrrev_b32_e32 v12, 2, v42
	v_mov_b64_e32 v[22:23], 0
	v_mov_b64_e32 v[24:25], 0
	;; [unrolled: 1-line block ×4, first 2 shown]
	v_add_nc_u32_e32 v16, 1, v12
	v_mov_b64_e32 v[12:13], 0
	v_mov_b64_e32 v[34:35], 0
	;; [unrolled: 1-line block ×4, first 2 shown]
	v_and_b32_e32 v46, 3, v16
	v_mov_b64_e32 v[16:17], 0
	v_mov_b64_e32 v[38:39], v[20:21]
	v_lshl_add_u64 v[44:45], v[14:15], 3, s[8:9]
	s_mov_b32 s7, 0
	v_sub_nc_u64_e32 v[46:47], 0, v[46:47]
.LBB145_17:                             ; =>This Inner Loop Header: Depth=1
	global_load_b64 v[76:77], v[44:45], off
	s_clause 0x6
	global_load_b128 v[48:51], v[38:39], off offset:48
	global_load_b128 v[52:55], v[38:39], off offset:32
	;; [unrolled: 1-line block ×3, first 2 shown]
	global_load_b128 v[60:63], v[38:39], off
	global_load_b128 v[64:67], v[38:39], off offset:112
	global_load_b128 v[68:71], v[38:39], off offset:96
	;; [unrolled: 1-line block ×3, first 2 shown]
	v_add_nc_u64_e32 v[46:47], 1, v[46:47]
	v_add_nc_u64_e32 v[40:41], 4, v[40:41]
	s_wait_xcnt 0x7
	v_add_nc_u64_e32 v[44:45], 32, v[44:45]
	s_delay_alu instid0(VALU_DEP_3) | instskip(SKIP_3) | instid1(VALU_DEP_1)
	v_cmp_eq_u64_e32 vcc_lo, 0, v[46:47]
	s_or_b32 s7, vcc_lo, s7
	s_wait_loadcnt 0x7
	v_sub_nc_u64_e32 v[76:77], v[76:77], v[10:11]
	v_lshlrev_b64_e32 v[76:77], 6, v[76:77]
	s_wait_kmcnt 0x0
	s_delay_alu instid0(VALU_DEP_1)
	v_add_nc_u64_e32 v[96:97], s[4:5], v[76:77]
	s_clause 0x1
	global_load_b128 v[76:79], v[96:97], off
	global_load_b128 v[80:83], v[96:97], off offset:16
	global_load_b128 v[84:87], v[38:39], off offset:80
	s_clause 0x1
	global_load_b128 v[88:91], v[96:97], off offset:32
	global_load_b128 v[92:95], v[96:97], off offset:48
	s_wait_xcnt 0x2
	v_add_nc_u64_e32 v[38:39], 0x200, v[38:39]
	s_wait_loadcnt 0x4
	v_fmac_f64_e32 v[22:23], v[60:61], v[76:77]
	v_fmac_f64_e32 v[12:13], 0, v[76:77]
	v_fmac_f64_e32 v[28:29], v[52:53], v[76:77]
	v_fmac_f64_e32 v[24:25], 0, v[76:77]
	v_fmac_f64_e32 v[34:35], v[72:73], v[76:77]
	v_fmac_f64_e32 v[30:31], 0, v[76:77]
	v_fmac_f64_e32 v[16:17], v[68:69], v[76:77]
	v_fmac_f64_e32 v[32:33], 0, v[76:77]
	v_fmac_f64_e32 v[22:23], 0x80000000, v[78:79]
	v_fmac_f64_e32 v[12:13], v[60:61], v[78:79]
	v_fmac_f64_e32 v[28:29], 0x80000000, v[78:79]
	v_fmac_f64_e32 v[24:25], v[52:53], v[78:79]
	v_fmac_f64_e32 v[34:35], 0x80000000, v[78:79]
	v_fmac_f64_e32 v[30:31], v[72:73], v[78:79]
	v_fmac_f64_e32 v[16:17], 0x80000000, v[78:79]
	v_fmac_f64_e32 v[32:33], v[68:69], v[78:79]
	s_wait_loadcnt 0x3
	v_fmac_f64_e32 v[22:23], v[62:63], v[80:81]
	v_fmac_f64_e32 v[12:13], 0, v[80:81]
	v_fmac_f64_e32 v[28:29], v[54:55], v[80:81]
	v_fmac_f64_e32 v[24:25], 0, v[80:81]
	v_fmac_f64_e32 v[34:35], v[74:75], v[80:81]
	v_fmac_f64_e32 v[30:31], 0, v[80:81]
	v_fmac_f64_e32 v[16:17], v[70:71], v[80:81]
	v_fmac_f64_e32 v[32:33], 0, v[80:81]
	v_fmac_f64_e32 v[22:23], 0x80000000, v[82:83]
	v_fmac_f64_e32 v[12:13], v[62:63], v[82:83]
	v_fmac_f64_e32 v[28:29], 0x80000000, v[82:83]
	v_fmac_f64_e32 v[24:25], v[54:55], v[82:83]
	v_fmac_f64_e32 v[34:35], 0x80000000, v[82:83]
	v_fmac_f64_e32 v[30:31], v[74:75], v[82:83]
	v_fmac_f64_e32 v[16:17], 0x80000000, v[82:83]
	v_fmac_f64_e32 v[32:33], v[70:71], v[82:83]
	;; [unrolled: 17-line block ×4, first 2 shown]
	s_and_not1_b32 exec_lo, exec_lo, s7
	s_cbranch_execnz .LBB145_17
; %bb.18:
	s_or_b32 exec_lo, exec_lo, s7
.LBB145_19:
	s_delay_alu instid0(SALU_CYCLE_1) | instskip(NEXT) | instid1(SALU_CYCLE_1)
	s_or_b32 exec_lo, exec_lo, s6
	s_mov_b32 s6, exec_lo
	v_cmpx_lt_u64_e32 11, v[42:43]
	s_cbranch_execz .LBB145_23
; %bb.20:
	v_lshl_add_u64 v[42:43], v[40:41], 3, s[8:9]
	s_mov_b32 s7, 0
	s_delay_alu instid0(VALU_DEP_1)
	v_add_nc_u64_e32 v[42:43], 64, v[42:43]
.LBB145_21:                             ; =>This Inner Loop Header: Depth=1
	global_load_b64 v[124:125], v[42:43], off offset:-64
	s_clause 0xf
	global_load_b128 v[44:47], v[38:39], off offset:48
	global_load_b128 v[48:51], v[38:39], off offset:32
	;; [unrolled: 1-line block ×3, first 2 shown]
	global_load_b128 v[56:59], v[38:39], off
	global_load_b128 v[60:63], v[38:39], off offset:112
	global_load_b128 v[64:67], v[38:39], off offset:96
	;; [unrolled: 1-line block ×12, first 2 shown]
	s_clause 0x2
	global_load_b64 v[136:137], v[42:43], off offset:-32
	global_load_b64 v[138:139], v[42:43], off
	global_load_b64 v[140:141], v[42:43], off offset:32
	s_clause 0x3
	global_load_b128 v[108:111], v[38:39], off offset:1072
	global_load_b128 v[112:115], v[38:39], off offset:1056
	global_load_b128 v[116:119], v[38:39], off offset:1040
	global_load_b128 v[120:123], v[38:39], off offset:1024
	v_add_nc_u64_e32 v[40:41], 16, v[40:41]
	s_wait_xcnt 0x4
	v_add_nc_u64_e32 v[42:43], 0x80, v[42:43]
	s_delay_alu instid0(VALU_DEP_2) | instskip(SKIP_3) | instid1(VALU_DEP_1)
	v_cmp_ge_i64_e32 vcc_lo, v[40:41], v[18:19]
	s_or_b32 s7, vcc_lo, s7
	s_wait_loadcnt 0x17
	v_sub_nc_u64_e32 v[124:125], v[124:125], v[10:11]
	v_lshlrev_b64_e32 v[124:125], 6, v[124:125]
	s_wait_kmcnt 0x0
	s_delay_alu instid0(VALU_DEP_1)
	v_add_nc_u64_e32 v[142:143], s[4:5], v[124:125]
	s_clause 0x1
	global_load_b128 v[124:127], v[142:143], off
	global_load_b128 v[128:131], v[142:143], off offset:16
	s_wait_loadcnt 0x1
	v_fmac_f64_e32 v[22:23], v[56:57], v[124:125]
	v_fmac_f64_e32 v[12:13], 0, v[124:125]
	;; [unrolled: 1-line block ×16, first 2 shown]
	s_clause 0x1
	global_load_b128 v[124:127], v[142:143], off offset:32
	global_load_b128 v[132:135], v[142:143], off offset:48
	v_sub_nc_u64_e32 v[48:49], v[136:137], v[10:11]
	s_delay_alu instid0(VALU_DEP_1) | instskip(NEXT) | instid1(VALU_DEP_1)
	v_lshlrev_b64_e32 v[48:49], 6, v[48:49]
	v_add_nc_u64_e32 v[136:137], s[4:5], v[48:49]
	s_wait_loadcnt 0x2
	v_fmac_f64_e32 v[22:23], v[58:59], v[128:129]
	v_fmac_f64_e32 v[12:13], 0, v[128:129]
	;; [unrolled: 1-line block ×12, first 2 shown]
	global_load_b128 v[48:51], v[136:137], off
	v_fmac_f64_e32 v[30:31], v[74:75], v[130:131]
	v_fmac_f64_e32 v[34:35], 0x80000000, v[130:131]
	;; [unrolled: 1-line block ×3, first 2 shown]
	global_load_b128 v[64:67], v[136:137], off offset:16
	v_fmac_f64_e32 v[16:17], 0x80000000, v[130:131]
	global_load_b128 v[128:131], v[136:137], off offset:32
	s_clause 0x1
	global_load_b128 v[56:59], v[38:39], off offset:1136
	global_load_b128 v[72:75], v[38:39], off offset:1120
	s_wait_loadcnt 0x6
	v_fmac_f64_e32 v[12:13], 0, v[124:125]
	v_fmac_f64_e32 v[22:23], v[52:53], v[124:125]
	;; [unrolled: 1-line block ×16, first 2 shown]
	v_sub_nc_u64_e32 v[60:61], v[138:139], v[10:11]
	global_load_b128 v[124:127], v[38:39], off offset:1104
	v_lshlrev_b64_e32 v[60:61], 6, v[60:61]
	s_wait_loadcnt 0x6
	v_fmac_f64_e32 v[12:13], 0, v[132:133]
	v_fmac_f64_e32 v[22:23], v[54:55], v[132:133]
	v_fmac_f64_e32 v[24:25], 0, v[132:133]
	v_fmac_f64_e32 v[30:31], 0, v[132:133]
	v_fmac_f64_e32 v[28:29], v[46:47], v[132:133]
	v_fmac_f64_e32 v[34:35], v[70:71], v[132:133]
	v_fmac_f64_e32 v[16:17], v[62:63], v[132:133]
	v_fmac_f64_e32 v[32:33], 0, v[132:133]
	v_fmac_f64_e32 v[12:13], v[54:55], v[134:135]
	global_load_b128 v[52:55], v[136:137], off offset:48
	s_wait_xcnt 0x0
	v_add_nc_u64_e32 v[136:137], s[4:5], v[60:61]
	v_fmac_f64_e32 v[24:25], v[46:47], v[134:135]
	global_load_b128 v[44:47], v[38:39], off offset:1088
	v_fmac_f64_e32 v[30:31], v[70:71], v[134:135]
	v_fmac_f64_e32 v[22:23], 0x80000000, v[134:135]
	;; [unrolled: 1-line block ×4, first 2 shown]
	global_load_b128 v[68:71], v[136:137], off
	v_fmac_f64_e32 v[16:17], 0x80000000, v[134:135]
	v_fmac_f64_e32 v[32:33], v[62:63], v[134:135]
	global_load_b128 v[60:63], v[136:137], off offset:16
	s_wait_loadcnt 0x9
	v_fmac_f64_e32 v[12:13], 0, v[48:49]
	v_fmac_f64_e32 v[24:25], 0, v[48:49]
	;; [unrolled: 1-line block ×16, first 2 shown]
	global_load_b128 v[48:51], v[136:137], off offset:32
	s_wait_loadcnt 0x9
	v_fmac_f64_e32 v[12:13], 0, v[64:65]
	v_fmac_f64_e32 v[24:25], 0, v[64:65]
	;; [unrolled: 1-line block ×16, first 2 shown]
	global_load_b128 v[64:67], v[136:137], off offset:48
	s_clause 0x3
	global_load_b128 v[80:83], v[38:39], off offset:1584
	global_load_b128 v[88:91], v[38:39], off offset:1568
	;; [unrolled: 1-line block ×4, first 2 shown]
	s_wait_loadcnt 0xd
	v_fmac_f64_e32 v[12:13], 0, v[128:129]
	v_fmac_f64_e32 v[24:25], 0, v[128:129]
	v_fmac_f64_e32 v[30:31], 0, v[128:129]
	v_fmac_f64_e32 v[22:23], v[84:85], v[128:129]
	v_fmac_f64_e32 v[28:29], v[76:77], v[128:129]
	v_fmac_f64_e32 v[34:35], v[100:101], v[128:129]
	v_fmac_f64_e32 v[16:17], v[92:93], v[128:129]
	v_fmac_f64_e32 v[32:33], 0, v[128:129]
	v_fmac_f64_e32 v[12:13], v[84:85], v[130:131]
	v_fmac_f64_e32 v[24:25], v[76:77], v[130:131]
	v_sub_nc_u64_e32 v[76:77], v[140:141], v[10:11]
	v_fmac_f64_e32 v[30:31], v[100:101], v[130:131]
	v_fmac_f64_e32 v[22:23], 0x80000000, v[130:131]
	;; [unrolled: 1-line block ×6, first 2 shown]
	v_lshlrev_b64_e32 v[76:77], 6, v[76:77]
	s_clause 0x1
	global_load_b128 v[128:131], v[38:39], off offset:1632
	global_load_b128 v[132:135], v[38:39], off offset:1600
	v_add_nc_u64_e32 v[92:93], s[4:5], v[76:77]
	global_load_b128 v[136:139], v[92:93], off
	s_wait_loadcnt 0xc
	v_fmac_f64_e32 v[22:23], v[86:87], v[52:53]
	v_fmac_f64_e32 v[12:13], 0, v[52:53]
	;; [unrolled: 1-line block ×16, first 2 shown]
	global_load_b128 v[52:55], v[92:93], off offset:16
	s_wait_loadcnt 0xb
	v_fmac_f64_e32 v[22:23], v[120:121], v[68:69]
	v_fmac_f64_e32 v[12:13], 0, v[68:69]
	;; [unrolled: 1-line block ×16, first 2 shown]
	s_clause 0x1
	global_load_b128 v[68:71], v[38:39], off offset:1648
	global_load_b128 v[76:79], v[38:39], off offset:1616
	;; [unrolled: 1-line block ×3, first 2 shown]
	s_wait_xcnt 0x1
	v_add_nc_u64_e32 v[38:39], 0x800, v[38:39]
	s_wait_loadcnt 0xd
	v_fmac_f64_e32 v[22:23], v[122:123], v[60:61]
	v_fmac_f64_e32 v[12:13], 0, v[60:61]
	;; [unrolled: 1-line block ×16, first 2 shown]
	global_load_b128 v[44:47], v[92:93], off offset:48
	s_wait_loadcnt 0xd
	v_fmac_f64_e32 v[22:23], v[116:117], v[48:49]
	v_fmac_f64_e32 v[12:13], 0, v[48:49]
	v_fmac_f64_e32 v[28:29], v[108:109], v[48:49]
	v_fmac_f64_e32 v[24:25], 0, v[48:49]
	v_fmac_f64_e32 v[34:35], v[124:125], v[48:49]
	v_fmac_f64_e32 v[30:31], 0, v[48:49]
	v_fmac_f64_e32 v[16:17], v[56:57], v[48:49]
	v_fmac_f64_e32 v[32:33], 0, v[48:49]
	v_fmac_f64_e32 v[22:23], 0x80000000, v[50:51]
	v_fmac_f64_e32 v[12:13], v[116:117], v[50:51]
	v_fmac_f64_e32 v[28:29], 0x80000000, v[50:51]
	v_fmac_f64_e32 v[24:25], v[108:109], v[50:51]
	v_fmac_f64_e32 v[34:35], 0x80000000, v[50:51]
	v_fmac_f64_e32 v[30:31], v[124:125], v[50:51]
	v_fmac_f64_e32 v[16:17], 0x80000000, v[50:51]
	v_fmac_f64_e32 v[32:33], v[56:57], v[50:51]
	s_wait_loadcnt 0xc
	v_fmac_f64_e32 v[22:23], v[118:119], v[64:65]
	v_fmac_f64_e32 v[12:13], 0, v[64:65]
	v_fmac_f64_e32 v[28:29], v[110:111], v[64:65]
	v_fmac_f64_e32 v[24:25], 0, v[64:65]
	v_fmac_f64_e32 v[34:35], v[126:127], v[64:65]
	v_fmac_f64_e32 v[30:31], 0, v[64:65]
	v_fmac_f64_e32 v[16:17], v[58:59], v[64:65]
	v_fmac_f64_e32 v[32:33], 0, v[64:65]
	v_fmac_f64_e32 v[22:23], 0x80000000, v[66:67]
	v_fmac_f64_e32 v[12:13], v[118:119], v[66:67]
	v_fmac_f64_e32 v[28:29], 0x80000000, v[66:67]
	v_fmac_f64_e32 v[24:25], v[110:111], v[66:67]
	v_fmac_f64_e32 v[34:35], 0x80000000, v[66:67]
	v_fmac_f64_e32 v[30:31], v[126:127], v[66:67]
	v_fmac_f64_e32 v[16:17], 0x80000000, v[66:67]
	v_fmac_f64_e32 v[32:33], v[58:59], v[66:67]
	;; [unrolled: 17-line block ×6, first 2 shown]
	s_and_not1_b32 exec_lo, exec_lo, s7
	s_cbranch_execnz .LBB145_21
; %bb.22:
	s_or_b32 exec_lo, exec_lo, s7
.LBB145_23:
	s_delay_alu instid0(SALU_CYCLE_1)
	s_or_b32 exec_lo, exec_lo, s6
.LBB145_24:
	s_delay_alu instid0(SALU_CYCLE_1)
	s_or_b32 exec_lo, exec_lo, s3
	s_cbranch_execz .LBB145_26
	s_branch .LBB145_37
.LBB145_25:
                                        ; implicit-def: $vgpr12_vgpr13
                                        ; implicit-def: $vgpr22_vgpr23
                                        ; implicit-def: $vgpr24_vgpr25
                                        ; implicit-def: $vgpr28_vgpr29
                                        ; implicit-def: $vgpr30_vgpr31
                                        ; implicit-def: $vgpr34_vgpr35
                                        ; implicit-def: $vgpr32_vgpr33
                                        ; implicit-def: $vgpr16_vgpr17
.LBB145_26:
	v_mov_b64_e32 v[12:13], 0
	v_mov_b64_e32 v[22:23], 0
	;; [unrolled: 1-line block ×8, first 2 shown]
	s_and_saveexec_b32 s3, s2
	s_cbranch_execz .LBB145_36
; %bb.27:
	v_dual_mov_b32 v13, v1 :: v_dual_bitop2_b32 v12, 4, v0 bitop3:0x54
	v_sub_nc_u64_e32 v[16:17], v[10:11], v[0:1]
	v_not_b32_e32 v23, v37
	v_not_b32_e32 v22, v36
	v_mov_b64_e32 v[32:33], 0
	v_sub_nc_u64_e32 v[12:13], v[12:13], v[10:11]
	v_mov_b64_e32 v[34:35], 0
	v_mov_b64_e32 v[30:31], 0
	v_add_nc_u64_e32 v[16:17], v[16:17], v[22:23]
	v_mov_b64_e32 v[28:29], 0
	v_mov_b64_e32 v[24:25], 0
	;; [unrolled: 1-line block ×3, first 2 shown]
	v_add_nc_u64_e32 v[12:13], v[12:13], v[36:37]
	s_mov_b32 s2, exec_lo
	s_delay_alu instid0(VALU_DEP_1) | instskip(NEXT) | instid1(VALU_DEP_1)
	v_max_i64 v[12:13], v[12:13], v[18:19]
	v_add_nc_u64_e32 v[36:37], v[16:17], v[12:13]
	v_mov_b64_e32 v[16:17], 0
	v_mov_b64_e32 v[12:13], 0
	s_delay_alu instid0(VALU_DEP_3) | instskip(NEXT) | instid1(VALU_DEP_1)
	v_dual_mov_b32 v39, 0 :: v_dual_bitop2_b32 v38, 12, v36 bitop3:0x40
	v_cmpx_ne_u64_e32 12, v[38:39]
	s_cbranch_execz .LBB145_31
; %bb.28:
	v_lshrrev_b32_e32 v1, 2, v36
	v_mov_b64_e32 v[12:13], 0
	v_mov_b64_e32 v[22:23], 0
	;; [unrolled: 1-line block ×4, first 2 shown]
	v_add_nc_u32_e32 v1, 1, v1
	v_mov_b64_e32 v[30:31], 0
	v_mov_b64_e32 v[34:35], 0
	;; [unrolled: 1-line block ×4, first 2 shown]
	v_and_b32_e32 v38, 3, v1
	v_lshl_add_u64 v[40:41], v[14:15], 3, s[8:9]
	s_mov_b32 s6, 0
	s_delay_alu instid0(VALU_DEP_2)
	v_sub_nc_u64_e32 v[38:39], 0, v[38:39]
.LBB145_29:                             ; =>This Inner Loop Header: Depth=1
	global_load_b64 v[50:51], v[40:41], off
	s_clause 0x1
	global_load_b128 v[42:45], v[20:21], off offset:16
	global_load_b128 v[46:49], v[20:21], off
	v_add_nc_u64_e32 v[38:39], 1, v[38:39]
	v_add_nc_u64_e32 v[14:15], 4, v[14:15]
	s_wait_xcnt 0x2
	v_add_nc_u64_e32 v[40:41], 32, v[40:41]
	s_delay_alu instid0(VALU_DEP_3) | instskip(SKIP_3) | instid1(VALU_DEP_1)
	v_cmp_eq_u64_e32 vcc_lo, 0, v[38:39]
	s_or_b32 s6, vcc_lo, s6
	s_wait_loadcnt 0x2
	v_sub_nc_u64_e32 v[50:51], v[50:51], v[10:11]
	v_lshlrev_b64_e32 v[50:51], 6, v[50:51]
	s_wait_kmcnt 0x0
	s_delay_alu instid0(VALU_DEP_1)
	v_add_nc_u64_e32 v[90:91], s[4:5], v[50:51]
	s_clause 0x1
	global_load_b128 v[50:53], v[90:91], off
	global_load_b128 v[54:57], v[90:91], off offset:16
	s_clause 0x3
	global_load_b128 v[58:61], v[20:21], off offset:32
	global_load_b128 v[62:65], v[20:21], off offset:48
	;; [unrolled: 1-line block ×4, first 2 shown]
	s_clause 0x1
	global_load_b128 v[74:77], v[90:91], off offset:32
	global_load_b128 v[78:81], v[90:91], off offset:48
	s_clause 0x1
	global_load_b128 v[82:85], v[20:21], off offset:96
	global_load_b128 v[86:89], v[20:21], off offset:112
	s_wait_xcnt 0x0
	v_add_nc_u64_e32 v[20:21], 0x200, v[20:21]
	s_wait_loadcnt 0x9
	v_fmac_f64_e32 v[22:23], v[46:47], v[50:51]
	v_fmac_f64_e32 v[12:13], 0, v[50:51]
	;; [unrolled: 1-line block ×16, first 2 shown]
	s_wait_loadcnt 0x7
	v_fmac_f64_e32 v[22:23], v[58:59], v[54:55]
	v_fmac_f64_e32 v[12:13], 0, v[54:55]
	;; [unrolled: 1-line block ×4, first 2 shown]
	s_wait_loadcnt 0x6
	v_fmac_f64_e32 v[34:35], v[62:63], v[54:55]
	v_fmac_f64_e32 v[30:31], 0, v[54:55]
	;; [unrolled: 1-line block ×12, first 2 shown]
	s_wait_loadcnt 0x3
	v_fmac_f64_e32 v[22:23], v[70:71], v[74:75]
	v_fmac_f64_e32 v[12:13], 0, v[74:75]
	;; [unrolled: 1-line block ×16, first 2 shown]
	s_wait_loadcnt 0x1
	v_fmac_f64_e32 v[22:23], v[82:83], v[78:79]
	v_fmac_f64_e32 v[12:13], 0, v[78:79]
	v_fmac_f64_e32 v[28:29], v[84:85], v[78:79]
	v_fmac_f64_e32 v[24:25], 0, v[78:79]
	s_wait_loadcnt 0x0
	v_fmac_f64_e32 v[34:35], v[86:87], v[78:79]
	v_fmac_f64_e32 v[30:31], 0, v[78:79]
	;; [unrolled: 1-line block ×12, first 2 shown]
	s_and_not1_b32 exec_lo, exec_lo, s6
	s_cbranch_execnz .LBB145_29
; %bb.30:
	s_or_b32 exec_lo, exec_lo, s6
.LBB145_31:
	s_delay_alu instid0(SALU_CYCLE_1) | instskip(NEXT) | instid1(SALU_CYCLE_1)
	s_or_b32 exec_lo, exec_lo, s2
	s_mov_b32 s2, exec_lo
	v_cmpx_lt_u64_e32 11, v[36:37]
	s_cbranch_execz .LBB145_35
; %bb.32:
	v_lshl_add_u64 v[36:37], v[14:15], 3, s[8:9]
	s_mov_b32 s6, 0
	s_delay_alu instid0(VALU_DEP_1)
	v_add_nc_u64_e32 v[36:37], 64, v[36:37]
.LBB145_33:                             ; =>This Inner Loop Header: Depth=1
	s_clause 0x1
	global_load_b64 v[46:47], v[36:37], off offset:-64
	global_load_b64 v[94:95], v[36:37], off offset:-32
	s_clause 0x1
	global_load_b128 v[38:41], v[20:21], off offset:16
	global_load_b128 v[42:45], v[20:21], off
	s_clause 0x1
	global_load_b64 v[110:111], v[36:37], off
	global_load_b64 v[114:115], v[36:37], off offset:32
	v_add_nc_u64_e32 v[14:15], 16, v[14:15]
	s_wait_xcnt 0x0
	v_add_nc_u64_e32 v[36:37], 0x80, v[36:37]
	s_delay_alu instid0(VALU_DEP_2)
	v_cmp_ge_i64_e32 vcc_lo, v[14:15], v[18:19]
	s_or_b32 s6, vcc_lo, s6
	s_wait_loadcnt 0x5
	v_sub_nc_u64_e32 v[46:47], v[46:47], v[10:11]
	s_wait_loadcnt 0x4
	v_sub_nc_u64_e32 v[94:95], v[94:95], v[10:11]
	s_delay_alu instid0(VALU_DEP_2) | instskip(NEXT) | instid1(VALU_DEP_2)
	v_lshlrev_b64_e32 v[46:47], 6, v[46:47]
	v_lshlrev_b64_e32 v[94:95], 6, v[94:95]
	s_wait_kmcnt 0x0
	s_delay_alu instid0(VALU_DEP_2) | instskip(NEXT) | instid1(VALU_DEP_2)
	v_add_nc_u64_e32 v[96:97], s[4:5], v[46:47]
	v_add_nc_u64_e32 v[112:113], s[4:5], v[94:95]
	global_load_b128 v[46:49], v[96:97], off
	s_clause 0x1
	global_load_b128 v[50:53], v[20:21], off offset:48
	global_load_b128 v[54:57], v[20:21], off offset:32
	global_load_b128 v[58:61], v[96:97], off offset:16
	s_clause 0x1
	global_load_b128 v[62:65], v[20:21], off offset:80
	global_load_b128 v[66:69], v[20:21], off offset:64
	global_load_b128 v[70:73], v[96:97], off offset:32
	;; [unrolled: 4-line block ×3, first 2 shown]
	s_clause 0x1
	global_load_b128 v[86:89], v[20:21], off offset:528
	global_load_b128 v[90:93], v[20:21], off offset:512
	global_load_b128 v[94:97], v[112:113], off
	s_clause 0x1
	global_load_b128 v[98:101], v[20:21], off offset:560
	global_load_b128 v[102:105], v[20:21], off offset:544
	;; [unrolled: 1-line block ×3, first 2 shown]
	s_wait_loadcnt 0xf
	v_fmac_f64_e32 v[22:23], v[42:43], v[46:47]
	v_fmac_f64_e32 v[12:13], 0, v[46:47]
	;; [unrolled: 1-line block ×16, first 2 shown]
	s_clause 0x1
	global_load_b128 v[38:41], v[20:21], off offset:592
	global_load_b128 v[42:45], v[20:21], off offset:576
	;; [unrolled: 1-line block ×3, first 2 shown]
	s_wait_loadcnt 0xf
	v_fmac_f64_e32 v[22:23], v[54:55], v[58:59]
	v_fmac_f64_e32 v[12:13], 0, v[58:59]
	v_fmac_f64_e32 v[28:29], v[56:57], v[58:59]
	v_fmac_f64_e32 v[24:25], 0, v[58:59]
	v_fmac_f64_e32 v[34:35], v[50:51], v[58:59]
	v_fmac_f64_e32 v[30:31], 0, v[58:59]
	v_fmac_f64_e32 v[16:17], v[52:53], v[58:59]
	v_fmac_f64_e32 v[32:33], 0, v[58:59]
	v_fmac_f64_e32 v[22:23], 0x80000000, v[60:61]
	v_fmac_f64_e32 v[12:13], v[54:55], v[60:61]
	v_fmac_f64_e32 v[28:29], 0x80000000, v[60:61]
	v_fmac_f64_e32 v[24:25], v[56:57], v[60:61]
	v_fmac_f64_e32 v[34:35], 0x80000000, v[60:61]
	v_fmac_f64_e32 v[30:31], v[50:51], v[60:61]
	v_fmac_f64_e32 v[16:17], 0x80000000, v[60:61]
	v_fmac_f64_e32 v[32:33], v[52:53], v[60:61]
	s_clause 0x1
	global_load_b128 v[50:53], v[20:21], off offset:624
	global_load_b128 v[54:57], v[20:21], off offset:608
	;; [unrolled: 1-line block ×3, first 2 shown]
	s_wait_loadcnt 0xf
	v_fmac_f64_e32 v[22:23], v[66:67], v[70:71]
	v_fmac_f64_e32 v[12:13], 0, v[70:71]
	;; [unrolled: 1-line block ×8, first 2 shown]
	v_sub_nc_u64_e32 v[70:71], v[110:111], v[10:11]
	s_delay_alu instid0(VALU_DEP_1) | instskip(NEXT) | instid1(VALU_DEP_1)
	v_lshlrev_b64_e32 v[70:71], 6, v[70:71]
	v_add_nc_u64_e32 v[110:111], s[4:5], v[70:71]
	v_fmac_f64_e32 v[22:23], 0x80000000, v[72:73]
	v_fmac_f64_e32 v[12:13], v[66:67], v[72:73]
	;; [unrolled: 1-line block ×8, first 2 shown]
	s_clause 0x1
	global_load_b128 v[62:65], v[20:21], off offset:1040
	global_load_b128 v[66:69], v[20:21], off offset:1024
	global_load_b128 v[70:73], v[110:111], off
	s_wait_loadcnt 0xf
	v_fmac_f64_e32 v[22:23], v[78:79], v[82:83]
	v_fmac_f64_e32 v[12:13], 0, v[82:83]
	v_fmac_f64_e32 v[28:29], v[80:81], v[82:83]
	v_fmac_f64_e32 v[24:25], 0, v[82:83]
	v_fmac_f64_e32 v[34:35], v[74:75], v[82:83]
	v_fmac_f64_e32 v[30:31], 0, v[82:83]
	v_fmac_f64_e32 v[16:17], v[76:77], v[82:83]
	v_fmac_f64_e32 v[32:33], 0, v[82:83]
	v_fmac_f64_e32 v[22:23], 0x80000000, v[84:85]
	v_fmac_f64_e32 v[12:13], v[78:79], v[84:85]
	v_fmac_f64_e32 v[28:29], 0x80000000, v[84:85]
	v_fmac_f64_e32 v[24:25], v[80:81], v[84:85]
	v_fmac_f64_e32 v[34:35], 0x80000000, v[84:85]
	v_fmac_f64_e32 v[30:31], v[74:75], v[84:85]
	v_fmac_f64_e32 v[16:17], 0x80000000, v[84:85]
	v_fmac_f64_e32 v[32:33], v[76:77], v[84:85]
	s_clause 0x1
	global_load_b128 v[74:77], v[20:21], off offset:1072
	global_load_b128 v[78:81], v[20:21], off offset:1056
	global_load_b128 v[82:85], v[110:111], off offset:16
	s_wait_loadcnt 0xf
	v_fmac_f64_e32 v[22:23], v[90:91], v[94:95]
	v_fmac_f64_e32 v[12:13], 0, v[94:95]
	v_fmac_f64_e32 v[28:29], v[92:93], v[94:95]
	v_fmac_f64_e32 v[24:25], 0, v[94:95]
	v_fmac_f64_e32 v[34:35], v[86:87], v[94:95]
	v_fmac_f64_e32 v[30:31], 0, v[94:95]
	v_fmac_f64_e32 v[16:17], v[88:89], v[94:95]
	v_fmac_f64_e32 v[32:33], 0, v[94:95]
	v_fmac_f64_e32 v[22:23], 0x80000000, v[96:97]
	v_fmac_f64_e32 v[12:13], v[90:91], v[96:97]
	v_fmac_f64_e32 v[28:29], 0x80000000, v[96:97]
	v_fmac_f64_e32 v[24:25], v[92:93], v[96:97]
	v_fmac_f64_e32 v[34:35], 0x80000000, v[96:97]
	v_fmac_f64_e32 v[30:31], v[86:87], v[96:97]
	v_fmac_f64_e32 v[16:17], 0x80000000, v[96:97]
	v_fmac_f64_e32 v[32:33], v[88:89], v[96:97]
	s_clause 0x1
	global_load_b128 v[86:89], v[20:21], off offset:1104
	global_load_b128 v[90:93], v[20:21], off offset:1088
	global_load_b128 v[94:97], v[110:111], off offset:32
	;; [unrolled: 21-line block ×3, first 2 shown]
	global_load_b128 v[110:113], v[20:21], off offset:1552
	s_wait_loadcnt 0x10
	v_fmac_f64_e32 v[22:23], v[42:43], v[46:47]
	v_fmac_f64_e32 v[12:13], 0, v[46:47]
	;; [unrolled: 1-line block ×16, first 2 shown]
	v_sub_nc_u64_e32 v[42:43], v[114:115], v[10:11]
	global_load_b128 v[38:41], v[20:21], off offset:1536
	v_lshlrev_b64_e32 v[42:43], 6, v[42:43]
	s_delay_alu instid0(VALU_DEP_1)
	v_add_nc_u64_e32 v[114:115], s[4:5], v[42:43]
	s_clause 0x1
	global_load_b128 v[42:45], v[114:115], off offset:16
	global_load_b128 v[46:49], v[114:115], off
	s_wait_loadcnt 0x10
	v_fmac_f64_e32 v[22:23], v[54:55], v[58:59]
	v_fmac_f64_e32 v[12:13], 0, v[58:59]
	;; [unrolled: 1-line block ×16, first 2 shown]
	s_clause 0x1
	global_load_b128 v[50:53], v[20:21], off offset:1584
	global_load_b128 v[54:57], v[20:21], off offset:1568
	s_wait_loadcnt 0xf
	v_fmac_f64_e32 v[22:23], v[66:67], v[70:71]
	v_fmac_f64_e32 v[12:13], 0, v[70:71]
	;; [unrolled: 1-line block ×16, first 2 shown]
	s_clause 0x1
	global_load_b128 v[58:61], v[20:21], off offset:1616
	global_load_b128 v[62:65], v[20:21], off offset:1600
	s_clause 0x1
	global_load_b128 v[66:69], v[114:115], off offset:48
	global_load_b128 v[70:73], v[114:115], off offset:32
	s_wait_loadcnt 0x10
	v_fmac_f64_e32 v[22:23], v[78:79], v[82:83]
	v_fmac_f64_e32 v[12:13], 0, v[82:83]
	v_fmac_f64_e32 v[28:29], v[80:81], v[82:83]
	v_fmac_f64_e32 v[24:25], 0, v[82:83]
	v_fmac_f64_e32 v[34:35], v[74:75], v[82:83]
	v_fmac_f64_e32 v[30:31], 0, v[82:83]
	v_fmac_f64_e32 v[16:17], v[76:77], v[82:83]
	v_fmac_f64_e32 v[32:33], 0, v[82:83]
	v_fmac_f64_e32 v[22:23], 0x80000000, v[84:85]
	v_fmac_f64_e32 v[12:13], v[78:79], v[84:85]
	v_fmac_f64_e32 v[28:29], 0x80000000, v[84:85]
	v_fmac_f64_e32 v[24:25], v[80:81], v[84:85]
	v_fmac_f64_e32 v[34:35], 0x80000000, v[84:85]
	v_fmac_f64_e32 v[30:31], v[74:75], v[84:85]
	v_fmac_f64_e32 v[16:17], 0x80000000, v[84:85]
	v_fmac_f64_e32 v[32:33], v[76:77], v[84:85]
	s_clause 0x1
	global_load_b128 v[74:77], v[20:21], off offset:1632
	global_load_b128 v[78:81], v[20:21], off offset:1648
	s_wait_xcnt 0x0
	v_add_nc_u64_e32 v[20:21], 0x800, v[20:21]
	s_wait_loadcnt 0xf
	v_fmac_f64_e32 v[22:23], v[90:91], v[94:95]
	v_fmac_f64_e32 v[12:13], 0, v[94:95]
	v_fmac_f64_e32 v[28:29], v[92:93], v[94:95]
	v_fmac_f64_e32 v[24:25], 0, v[94:95]
	v_fmac_f64_e32 v[34:35], v[86:87], v[94:95]
	v_fmac_f64_e32 v[30:31], 0, v[94:95]
	v_fmac_f64_e32 v[16:17], v[88:89], v[94:95]
	v_fmac_f64_e32 v[32:33], 0, v[94:95]
	v_fmac_f64_e32 v[22:23], 0x80000000, v[96:97]
	v_fmac_f64_e32 v[12:13], v[90:91], v[96:97]
	v_fmac_f64_e32 v[28:29], 0x80000000, v[96:97]
	v_fmac_f64_e32 v[24:25], v[92:93], v[96:97]
	v_fmac_f64_e32 v[34:35], 0x80000000, v[96:97]
	v_fmac_f64_e32 v[30:31], v[86:87], v[96:97]
	v_fmac_f64_e32 v[16:17], 0x80000000, v[96:97]
	v_fmac_f64_e32 v[32:33], v[88:89], v[96:97]
	s_wait_loadcnt 0xc
	v_fmac_f64_e32 v[22:23], v[102:103], v[106:107]
	v_fmac_f64_e32 v[12:13], 0, v[106:107]
	v_fmac_f64_e32 v[28:29], v[104:105], v[106:107]
	v_fmac_f64_e32 v[24:25], 0, v[106:107]
	v_fmac_f64_e32 v[34:35], v[98:99], v[106:107]
	v_fmac_f64_e32 v[30:31], 0, v[106:107]
	v_fmac_f64_e32 v[16:17], v[100:101], v[106:107]
	v_fmac_f64_e32 v[32:33], 0, v[106:107]
	v_fmac_f64_e32 v[22:23], 0x80000000, v[108:109]
	v_fmac_f64_e32 v[12:13], v[102:103], v[108:109]
	v_fmac_f64_e32 v[28:29], 0x80000000, v[108:109]
	v_fmac_f64_e32 v[24:25], v[104:105], v[108:109]
	v_fmac_f64_e32 v[34:35], 0x80000000, v[108:109]
	v_fmac_f64_e32 v[30:31], v[98:99], v[108:109]
	v_fmac_f64_e32 v[16:17], 0x80000000, v[108:109]
	v_fmac_f64_e32 v[32:33], v[100:101], v[108:109]
	s_wait_loadcnt 0x8
	v_fmac_f64_e32 v[22:23], v[38:39], v[46:47]
	v_fmac_f64_e32 v[12:13], 0, v[46:47]
	v_fmac_f64_e32 v[28:29], v[40:41], v[46:47]
	v_fmac_f64_e32 v[24:25], 0, v[46:47]
	v_fmac_f64_e32 v[34:35], v[110:111], v[46:47]
	v_fmac_f64_e32 v[30:31], 0, v[46:47]
	v_fmac_f64_e32 v[16:17], v[112:113], v[46:47]
	v_fmac_f64_e32 v[32:33], 0, v[46:47]
	v_fmac_f64_e32 v[22:23], 0x80000000, v[48:49]
	v_fmac_f64_e32 v[12:13], v[38:39], v[48:49]
	v_fmac_f64_e32 v[28:29], 0x80000000, v[48:49]
	v_fmac_f64_e32 v[24:25], v[40:41], v[48:49]
	v_fmac_f64_e32 v[34:35], 0x80000000, v[48:49]
	v_fmac_f64_e32 v[30:31], v[110:111], v[48:49]
	v_fmac_f64_e32 v[16:17], 0x80000000, v[48:49]
	v_fmac_f64_e32 v[32:33], v[112:113], v[48:49]
	s_wait_loadcnt 0x6
	v_fmac_f64_e32 v[22:23], v[54:55], v[42:43]
	v_fmac_f64_e32 v[12:13], 0, v[42:43]
	v_fmac_f64_e32 v[28:29], v[56:57], v[42:43]
	v_fmac_f64_e32 v[24:25], 0, v[42:43]
	v_fmac_f64_e32 v[34:35], v[50:51], v[42:43]
	v_fmac_f64_e32 v[30:31], 0, v[42:43]
	v_fmac_f64_e32 v[16:17], v[52:53], v[42:43]
	v_fmac_f64_e32 v[32:33], 0, v[42:43]
	v_fmac_f64_e32 v[22:23], 0x80000000, v[44:45]
	v_fmac_f64_e32 v[12:13], v[54:55], v[44:45]
	v_fmac_f64_e32 v[28:29], 0x80000000, v[44:45]
	v_fmac_f64_e32 v[24:25], v[56:57], v[44:45]
	v_fmac_f64_e32 v[34:35], 0x80000000, v[44:45]
	v_fmac_f64_e32 v[30:31], v[50:51], v[44:45]
	v_fmac_f64_e32 v[16:17], 0x80000000, v[44:45]
	v_fmac_f64_e32 v[32:33], v[52:53], v[44:45]
	s_wait_loadcnt 0x2
	v_fmac_f64_e32 v[22:23], v[62:63], v[70:71]
	v_fmac_f64_e32 v[12:13], 0, v[70:71]
	v_fmac_f64_e32 v[28:29], v[64:65], v[70:71]
	v_fmac_f64_e32 v[24:25], 0, v[70:71]
	v_fmac_f64_e32 v[34:35], v[58:59], v[70:71]
	v_fmac_f64_e32 v[30:31], 0, v[70:71]
	v_fmac_f64_e32 v[16:17], v[60:61], v[70:71]
	v_fmac_f64_e32 v[32:33], 0, v[70:71]
	v_fmac_f64_e32 v[22:23], 0x80000000, v[72:73]
	v_fmac_f64_e32 v[12:13], v[62:63], v[72:73]
	v_fmac_f64_e32 v[28:29], 0x80000000, v[72:73]
	v_fmac_f64_e32 v[24:25], v[64:65], v[72:73]
	v_fmac_f64_e32 v[34:35], 0x80000000, v[72:73]
	v_fmac_f64_e32 v[30:31], v[58:59], v[72:73]
	v_fmac_f64_e32 v[16:17], 0x80000000, v[72:73]
	v_fmac_f64_e32 v[32:33], v[60:61], v[72:73]
	s_wait_loadcnt 0x1
	v_fmac_f64_e32 v[22:23], v[74:75], v[66:67]
	v_fmac_f64_e32 v[12:13], 0, v[66:67]
	;; [unrolled: 1-line block ×4, first 2 shown]
	s_wait_loadcnt 0x0
	v_fmac_f64_e32 v[34:35], v[78:79], v[66:67]
	v_fmac_f64_e32 v[30:31], 0, v[66:67]
	;; [unrolled: 1-line block ×12, first 2 shown]
	s_and_not1_b32 exec_lo, exec_lo, s6
	s_cbranch_execnz .LBB145_33
; %bb.34:
	s_or_b32 exec_lo, exec_lo, s6
.LBB145_35:
	s_delay_alu instid0(SALU_CYCLE_1)
	s_or_b32 exec_lo, exec_lo, s2
.LBB145_36:
	s_delay_alu instid0(SALU_CYCLE_1)
	s_or_b32 exec_lo, exec_lo, s3
.LBB145_37:
	v_mbcnt_lo_u32_b32 v1, -1, 0
	s_delay_alu instid0(VALU_DEP_1) | instskip(NEXT) | instid1(VALU_DEP_1)
	v_xor_b32_e32 v10, 2, v1
	v_cmp_gt_i32_e32 vcc_lo, 32, v10
	v_cndmask_b32_e32 v10, v1, v10, vcc_lo
	s_delay_alu instid0(VALU_DEP_1)
	v_lshlrev_b32_e32 v36, 2, v10
	ds_bpermute_b32 v20, v36, v24
	ds_bpermute_b32 v21, v36, v25
	s_wait_dscnt 0x0
	v_add_f64_e32 v[24:25], v[24:25], v[20:21]
	ds_bpermute_b32 v10, v36, v22
	ds_bpermute_b32 v11, v36, v23
	;; [unrolled: 1-line block ×14, first 2 shown]
	s_wait_dscnt 0xc
	v_dual_add_f64 v[10:11], v[22:23], v[10:11] :: v_dual_bitop2_b32 v22, 1, v1 bitop3:0x14
	s_wait_dscnt 0xa
	v_add_f64_e32 v[36:37], v[12:13], v[14:15]
	s_delay_alu instid0(VALU_DEP_2)
	v_cmp_gt_i32_e32 vcc_lo, 32, v22
	s_wait_dscnt 0x6
	v_add_f64_e32 v[14:15], v[34:35], v[38:39]
	s_wait_dscnt 0x4
	v_add_f64_e32 v[20:21], v[30:31], v[40:41]
	;; [unrolled: 2-line block ×3, first 2 shown]
	v_cndmask_b32_e32 v1, v1, v22, vcc_lo
	v_add_f64_e32 v[12:13], v[28:29], v[18:19]
	s_wait_dscnt 0x0
	v_add_f64_e32 v[18:19], v[32:33], v[44:45]
	v_cmp_eq_u32_e32 vcc_lo, 3, v0
	v_lshlrev_b32_e32 v1, 2, v1
	ds_bpermute_b32 v40, v1, v24
	ds_bpermute_b32 v41, v1, v25
	;; [unrolled: 1-line block ×16, first 2 shown]
	s_and_b32 exec_lo, exec_lo, vcc_lo
	s_cbranch_execz .LBB145_8
; %bb.38:
	s_wait_dscnt 0xa
	v_add_f64_e32 v[0:1], v[36:37], v[42:43]
	v_add_f64_e32 v[36:37], v[24:25], v[40:41]
	s_wait_dscnt 0x6
	v_add_f64_e32 v[38:39], v[20:21], v[38:39]
	s_wait_dscnt 0x0
	v_add_f64_e32 v[34:35], v[18:19], v[34:35]
	v_add_f64_e32 v[40:41], v[10:11], v[22:23]
	;; [unrolled: 1-line block ×5, first 2 shown]
	v_cmp_eq_f64_e32 vcc_lo, 0, v[2:3]
	v_cmp_eq_f64_e64 s2, 0, v[4:5]
	s_load_b64 s[0:1], s[0:1], 0x68
	v_mul_f64_e64 v[22:23], v[0:1], -v[8:9]
	v_mul_f64_e32 v[24:25], v[6:7], v[0:1]
	v_mul_f64_e64 v[18:19], v[36:37], -v[8:9]
	v_mul_f64_e32 v[20:21], v[6:7], v[36:37]
	;; [unrolled: 2-line block ×4, first 2 shown]
	v_lshlrev_b64_e32 v[0:1], 6, v[26:27]
	s_and_b32 s2, vcc_lo, s2
	v_fmac_f64_e32 v[22:23], v[6:7], v[40:41]
	v_fmac_f64_e32 v[24:25], v[8:9], v[40:41]
	;; [unrolled: 1-line block ×8, first 2 shown]
	s_and_saveexec_b32 s3, s2
	s_delay_alu instid0(SALU_CYCLE_1)
	s_xor_b32 s2, exec_lo, s3
	s_cbranch_execz .LBB145_40
; %bb.39:
	s_wait_kmcnt 0x0
	v_add_nc_u64_e32 v[0:1], s[0:1], v[0:1]
                                        ; implicit-def: $vgpr4_vgpr5
	s_clause 0x3
	global_store_b128 v[0:1], v[22:25], off
	global_store_b128 v[0:1], v[18:21], off offset:16
	global_store_b128 v[0:1], v[14:17], off offset:32
	;; [unrolled: 1-line block ×3, first 2 shown]
                                        ; implicit-def: $vgpr22_vgpr23
                                        ; implicit-def: $vgpr0_vgpr1
                                        ; implicit-def: $vgpr18_vgpr19
                                        ; implicit-def: $vgpr14_vgpr15
                                        ; implicit-def: $vgpr10_vgpr11
.LBB145_40:
	s_wait_xcnt 0x0
	s_and_not1_saveexec_b32 s2, s2
	s_cbranch_execz .LBB145_8
; %bb.41:
	s_wait_kmcnt 0x0
	v_add_nc_u64_e32 v[0:1], s[0:1], v[0:1]
	s_clause 0x3
	global_load_b128 v[6:9], v[0:1], off
	global_load_b128 v[26:29], v[0:1], off offset:16
	global_load_b128 v[30:33], v[0:1], off offset:32
	global_load_b128 v[34:37], v[0:1], off offset:48
	s_wait_loadcnt 0x3
	v_fmac_f64_e32 v[22:23], v[2:3], v[6:7]
	v_fmac_f64_e32 v[24:25], v[4:5], v[6:7]
	s_wait_loadcnt 0x2
	v_fmac_f64_e32 v[18:19], v[2:3], v[26:27]
	v_fmac_f64_e32 v[20:21], v[4:5], v[26:27]
	;; [unrolled: 3-line block ×4, first 2 shown]
	v_fma_f64 v[22:23], -v[4:5], v[8:9], v[22:23]
	v_fmac_f64_e32 v[24:25], v[2:3], v[8:9]
	v_fma_f64 v[18:19], -v[4:5], v[28:29], v[18:19]
	v_fmac_f64_e32 v[20:21], v[2:3], v[28:29]
	;; [unrolled: 2-line block ×4, first 2 shown]
	s_clause 0x3
	global_store_b128 v[0:1], v[22:25], off
	global_store_b128 v[0:1], v[18:21], off offset:16
	global_store_b128 v[0:1], v[14:17], off offset:32
	global_store_b128 v[0:1], v[10:13], off offset:48
	s_sendmsg sendmsg(MSG_DEALLOC_VGPRS)
	s_endpgm
	.section	.rodata,"a",@progbits
	.p2align	6, 0x0
	.amdhsa_kernel _ZN9rocsparseL18bsrxmvn_4x4_kernelILj128ELj4E21rocsparse_complex_numIdElldS2_S2_EEvT3_20rocsparse_direction_NS_24const_host_device_scalarIT1_EES3_PKS3_PKT2_SC_S9_PKT4_PKT5_S7_PT6_21rocsparse_index_base_b
		.amdhsa_group_segment_fixed_size 0
		.amdhsa_private_segment_fixed_size 0
		.amdhsa_kernarg_size 120
		.amdhsa_user_sgpr_count 2
		.amdhsa_user_sgpr_dispatch_ptr 0
		.amdhsa_user_sgpr_queue_ptr 0
		.amdhsa_user_sgpr_kernarg_segment_ptr 1
		.amdhsa_user_sgpr_dispatch_id 0
		.amdhsa_user_sgpr_kernarg_preload_length 0
		.amdhsa_user_sgpr_kernarg_preload_offset 0
		.amdhsa_user_sgpr_private_segment_size 0
		.amdhsa_wavefront_size32 1
		.amdhsa_uses_dynamic_stack 0
		.amdhsa_enable_private_segment 0
		.amdhsa_system_sgpr_workgroup_id_x 1
		.amdhsa_system_sgpr_workgroup_id_y 0
		.amdhsa_system_sgpr_workgroup_id_z 0
		.amdhsa_system_sgpr_workgroup_info 0
		.amdhsa_system_vgpr_workitem_id 0
		.amdhsa_next_free_vgpr 144
		.amdhsa_next_free_sgpr 12
		.amdhsa_named_barrier_count 0
		.amdhsa_reserve_vcc 1
		.amdhsa_float_round_mode_32 0
		.amdhsa_float_round_mode_16_64 0
		.amdhsa_float_denorm_mode_32 3
		.amdhsa_float_denorm_mode_16_64 3
		.amdhsa_fp16_overflow 0
		.amdhsa_memory_ordered 1
		.amdhsa_forward_progress 1
		.amdhsa_inst_pref_size 59
		.amdhsa_round_robin_scheduling 0
		.amdhsa_exception_fp_ieee_invalid_op 0
		.amdhsa_exception_fp_denorm_src 0
		.amdhsa_exception_fp_ieee_div_zero 0
		.amdhsa_exception_fp_ieee_overflow 0
		.amdhsa_exception_fp_ieee_underflow 0
		.amdhsa_exception_fp_ieee_inexact 0
		.amdhsa_exception_int_div_zero 0
	.end_amdhsa_kernel
	.section	.text._ZN9rocsparseL18bsrxmvn_4x4_kernelILj128ELj4E21rocsparse_complex_numIdElldS2_S2_EEvT3_20rocsparse_direction_NS_24const_host_device_scalarIT1_EES3_PKS3_PKT2_SC_S9_PKT4_PKT5_S7_PT6_21rocsparse_index_base_b,"axG",@progbits,_ZN9rocsparseL18bsrxmvn_4x4_kernelILj128ELj4E21rocsparse_complex_numIdElldS2_S2_EEvT3_20rocsparse_direction_NS_24const_host_device_scalarIT1_EES3_PKS3_PKT2_SC_S9_PKT4_PKT5_S7_PT6_21rocsparse_index_base_b,comdat
.Lfunc_end145:
	.size	_ZN9rocsparseL18bsrxmvn_4x4_kernelILj128ELj4E21rocsparse_complex_numIdElldS2_S2_EEvT3_20rocsparse_direction_NS_24const_host_device_scalarIT1_EES3_PKS3_PKT2_SC_S9_PKT4_PKT5_S7_PT6_21rocsparse_index_base_b, .Lfunc_end145-_ZN9rocsparseL18bsrxmvn_4x4_kernelILj128ELj4E21rocsparse_complex_numIdElldS2_S2_EEvT3_20rocsparse_direction_NS_24const_host_device_scalarIT1_EES3_PKS3_PKT2_SC_S9_PKT4_PKT5_S7_PT6_21rocsparse_index_base_b
                                        ; -- End function
	.set _ZN9rocsparseL18bsrxmvn_4x4_kernelILj128ELj4E21rocsparse_complex_numIdElldS2_S2_EEvT3_20rocsparse_direction_NS_24const_host_device_scalarIT1_EES3_PKS3_PKT2_SC_S9_PKT4_PKT5_S7_PT6_21rocsparse_index_base_b.num_vgpr, 144
	.set _ZN9rocsparseL18bsrxmvn_4x4_kernelILj128ELj4E21rocsparse_complex_numIdElldS2_S2_EEvT3_20rocsparse_direction_NS_24const_host_device_scalarIT1_EES3_PKS3_PKT2_SC_S9_PKT4_PKT5_S7_PT6_21rocsparse_index_base_b.num_agpr, 0
	.set _ZN9rocsparseL18bsrxmvn_4x4_kernelILj128ELj4E21rocsparse_complex_numIdElldS2_S2_EEvT3_20rocsparse_direction_NS_24const_host_device_scalarIT1_EES3_PKS3_PKT2_SC_S9_PKT4_PKT5_S7_PT6_21rocsparse_index_base_b.numbered_sgpr, 12
	.set _ZN9rocsparseL18bsrxmvn_4x4_kernelILj128ELj4E21rocsparse_complex_numIdElldS2_S2_EEvT3_20rocsparse_direction_NS_24const_host_device_scalarIT1_EES3_PKS3_PKT2_SC_S9_PKT4_PKT5_S7_PT6_21rocsparse_index_base_b.num_named_barrier, 0
	.set _ZN9rocsparseL18bsrxmvn_4x4_kernelILj128ELj4E21rocsparse_complex_numIdElldS2_S2_EEvT3_20rocsparse_direction_NS_24const_host_device_scalarIT1_EES3_PKS3_PKT2_SC_S9_PKT4_PKT5_S7_PT6_21rocsparse_index_base_b.private_seg_size, 0
	.set _ZN9rocsparseL18bsrxmvn_4x4_kernelILj128ELj4E21rocsparse_complex_numIdElldS2_S2_EEvT3_20rocsparse_direction_NS_24const_host_device_scalarIT1_EES3_PKS3_PKT2_SC_S9_PKT4_PKT5_S7_PT6_21rocsparse_index_base_b.uses_vcc, 1
	.set _ZN9rocsparseL18bsrxmvn_4x4_kernelILj128ELj4E21rocsparse_complex_numIdElldS2_S2_EEvT3_20rocsparse_direction_NS_24const_host_device_scalarIT1_EES3_PKS3_PKT2_SC_S9_PKT4_PKT5_S7_PT6_21rocsparse_index_base_b.uses_flat_scratch, 0
	.set _ZN9rocsparseL18bsrxmvn_4x4_kernelILj128ELj4E21rocsparse_complex_numIdElldS2_S2_EEvT3_20rocsparse_direction_NS_24const_host_device_scalarIT1_EES3_PKS3_PKT2_SC_S9_PKT4_PKT5_S7_PT6_21rocsparse_index_base_b.has_dyn_sized_stack, 0
	.set _ZN9rocsparseL18bsrxmvn_4x4_kernelILj128ELj4E21rocsparse_complex_numIdElldS2_S2_EEvT3_20rocsparse_direction_NS_24const_host_device_scalarIT1_EES3_PKS3_PKT2_SC_S9_PKT4_PKT5_S7_PT6_21rocsparse_index_base_b.has_recursion, 0
	.set _ZN9rocsparseL18bsrxmvn_4x4_kernelILj128ELj4E21rocsparse_complex_numIdElldS2_S2_EEvT3_20rocsparse_direction_NS_24const_host_device_scalarIT1_EES3_PKS3_PKT2_SC_S9_PKT4_PKT5_S7_PT6_21rocsparse_index_base_b.has_indirect_call, 0
	.section	.AMDGPU.csdata,"",@progbits
; Kernel info:
; codeLenInByte = 7464
; TotalNumSgprs: 14
; NumVgprs: 144
; ScratchSize: 0
; MemoryBound: 0
; FloatMode: 240
; IeeeMode: 1
; LDSByteSize: 0 bytes/workgroup (compile time only)
; SGPRBlocks: 0
; VGPRBlocks: 8
; NumSGPRsForWavesPerEU: 14
; NumVGPRsForWavesPerEU: 144
; NamedBarCnt: 0
; Occupancy: 7
; WaveLimiterHint : 1
; COMPUTE_PGM_RSRC2:SCRATCH_EN: 0
; COMPUTE_PGM_RSRC2:USER_SGPR: 2
; COMPUTE_PGM_RSRC2:TRAP_HANDLER: 0
; COMPUTE_PGM_RSRC2:TGID_X_EN: 1
; COMPUTE_PGM_RSRC2:TGID_Y_EN: 0
; COMPUTE_PGM_RSRC2:TGID_Z_EN: 0
; COMPUTE_PGM_RSRC2:TIDIG_COMP_CNT: 0
	.section	.text._ZN9rocsparseL18bsrxmvn_4x4_kernelILj128ELj8E21rocsparse_complex_numIdElldS2_S2_EEvT3_20rocsparse_direction_NS_24const_host_device_scalarIT1_EES3_PKS3_PKT2_SC_S9_PKT4_PKT5_S7_PT6_21rocsparse_index_base_b,"axG",@progbits,_ZN9rocsparseL18bsrxmvn_4x4_kernelILj128ELj8E21rocsparse_complex_numIdElldS2_S2_EEvT3_20rocsparse_direction_NS_24const_host_device_scalarIT1_EES3_PKS3_PKT2_SC_S9_PKT4_PKT5_S7_PT6_21rocsparse_index_base_b,comdat
	.globl	_ZN9rocsparseL18bsrxmvn_4x4_kernelILj128ELj8E21rocsparse_complex_numIdElldS2_S2_EEvT3_20rocsparse_direction_NS_24const_host_device_scalarIT1_EES3_PKS3_PKT2_SC_S9_PKT4_PKT5_S7_PT6_21rocsparse_index_base_b ; -- Begin function _ZN9rocsparseL18bsrxmvn_4x4_kernelILj128ELj8E21rocsparse_complex_numIdElldS2_S2_EEvT3_20rocsparse_direction_NS_24const_host_device_scalarIT1_EES3_PKS3_PKT2_SC_S9_PKT4_PKT5_S7_PT6_21rocsparse_index_base_b
	.p2align	8
	.type	_ZN9rocsparseL18bsrxmvn_4x4_kernelILj128ELj8E21rocsparse_complex_numIdElldS2_S2_EEvT3_20rocsparse_direction_NS_24const_host_device_scalarIT1_EES3_PKS3_PKT2_SC_S9_PKT4_PKT5_S7_PT6_21rocsparse_index_base_b,@function
_ZN9rocsparseL18bsrxmvn_4x4_kernelILj128ELj8E21rocsparse_complex_numIdElldS2_S2_EEvT3_20rocsparse_direction_NS_24const_host_device_scalarIT1_EES3_PKS3_PKT2_SC_S9_PKT4_PKT5_S7_PT6_21rocsparse_index_base_b: ; @_ZN9rocsparseL18bsrxmvn_4x4_kernelILj128ELj8E21rocsparse_complex_numIdElldS2_S2_EEvT3_20rocsparse_direction_NS_24const_host_device_scalarIT1_EES3_PKS3_PKT2_SC_S9_PKT4_PKT5_S7_PT6_21rocsparse_index_base_b
; %bb.0:
	s_clause 0x1
	s_load_b64 s[4:5], s[0:1], 0x70
	s_load_b64 s[2:3], s[0:1], 0x10
	v_mov_b32_e32 v1, 0
	s_add_nc_u64 s[6:7], s[0:1], 16
	s_load_b64 s[8:9], s[0:1], 0x58
	s_wait_kmcnt 0x0
	s_bitcmp1_b32 s5, 0
	s_cselect_b32 s3, s7, s3
	s_cselect_b32 s2, s6, s2
	flat_load_b128 v[6:9], v1, s[2:3]
	s_wait_xcnt 0x0
	s_add_nc_u64 s[2:3], s[0:1], 0x58
	s_delay_alu instid0(SALU_CYCLE_1)
	s_cselect_b32 s3, s3, s9
	s_cselect_b32 s2, s2, s8
	flat_load_b128 v[2:5], v1, s[2:3]
	s_wait_loadcnt_dscnt 0x101
	v_cmp_eq_f64_e32 vcc_lo, 0, v[6:7]
	s_wait_xcnt 0x0
	v_cmp_eq_f64_e64 s2, 0, v[8:9]
	s_and_b32 s5, vcc_lo, s2
	s_mov_b32 s2, -1
	s_and_saveexec_b32 s3, s5
	s_cbranch_execz .LBB146_2
; %bb.1:
	s_wait_loadcnt_dscnt 0x0
	v_cmp_neq_f64_e32 vcc_lo, 1.0, v[2:3]
	v_cmp_neq_f64_e64 s2, 0, v[4:5]
	s_or_b32 s2, vcc_lo, s2
	s_delay_alu instid0(SALU_CYCLE_1)
	s_or_not1_b32 s2, s2, exec_lo
.LBB146_2:
	s_or_b32 exec_lo, exec_lo, s3
	s_and_saveexec_b32 s3, s2
	s_cbranch_execz .LBB146_8
; %bb.3:
	s_load_b64 s[2:3], s[0:1], 0x28
	s_bfe_u32 s5, ttmp6, 0x4000c
	s_and_b32 s6, ttmp6, 15
	s_add_co_i32 s5, s5, 1
	s_getreg_b32 s7, hwreg(HW_REG_IB_STS2, 6, 4)
	s_mul_i32 s5, ttmp9, s5
	v_dual_lshrrev_b32 v1, 3, v0 :: v_dual_mov_b32 v13, 0
	s_add_co_i32 s6, s6, s5
	s_cmp_eq_u32 s7, 0
	s_cselect_b32 s5, ttmp9, s6
	s_mov_b32 s6, 0
	v_lshl_or_b32 v12, s5, 4, v1
	s_wait_kmcnt 0x0
	s_cmp_lg_u64 s[2:3], 0
	s_cbranch_scc0 .LBB146_9
; %bb.4:
	s_load_b64 s[6:7], s[0:1], 0x20
                                        ; implicit-def: $vgpr26_vgpr27
                                        ; implicit-def: $vgpr10_vgpr11
	s_wait_kmcnt 0x0
	v_cmp_gt_i64_e32 vcc_lo, s[6:7], v[12:13]
	s_mov_b32 s7, 0
	s_mov_b32 s6, 0
	s_and_saveexec_b32 s5, vcc_lo
	s_delay_alu instid0(SALU_CYCLE_1)
	s_xor_b32 s8, exec_lo, s5
	s_cbranch_execz .LBB146_6
; %bb.5:
	v_lshl_add_u64 v[10:11], v[12:13], 3, s[2:3]
	s_mov_b32 s5, 0
	s_mov_b32 s6, exec_lo
	global_load_b64 v[10:11], v[10:11], off
	s_wait_loadcnt 0x0
	v_sub_nc_u64_e64 v[26:27], v[10:11], s[4:5]
	v_mov_b64_e32 v[10:11], s[4:5]
.LBB146_6:
	s_or_b32 exec_lo, exec_lo, s8
	s_delay_alu instid0(SALU_CYCLE_1)
	s_and_b32 vcc_lo, exec_lo, s7
	s_cbranch_vccnz .LBB146_10
.LBB146_7:
	s_and_b32 exec_lo, exec_lo, s6
	s_cbranch_execnz .LBB146_13
.LBB146_8:
	s_sendmsg sendmsg(MSG_DEALLOC_VGPRS)
	s_endpgm
.LBB146_9:
                                        ; implicit-def: $vgpr26_vgpr27
                                        ; implicit-def: $vgpr10_vgpr11
	s_cbranch_execz .LBB146_7
.LBB146_10:
	s_load_b64 s[2:3], s[0:1], 0x0
	s_wait_kmcnt 0x0
	v_cmp_gt_i64_e32 vcc_lo, s[2:3], v[12:13]
	s_and_saveexec_b32 s2, vcc_lo
; %bb.11:
	s_mov_b32 s5, 0
	s_or_b32 s6, s6, exec_lo
; %bb.12:
	s_or_b32 exec_lo, exec_lo, s2
	v_mov_b64_e32 v[10:11], s[4:5]
	v_mov_b64_e32 v[26:27], v[12:13]
	s_and_b32 exec_lo, exec_lo, s6
	s_cbranch_execz .LBB146_8
.LBB146_13:
	s_load_b256 s[4:11], s[0:1], 0x30
	s_delay_alu instid0(VALU_DEP_1) | instskip(SKIP_3) | instid1(VALU_DEP_2)
	v_lshlrev_b64_e32 v[12:13], 3, v[26:27]
	v_dual_mov_b32 v1, 0 :: v_dual_bitop2_b32 v0, 7, v0 bitop3:0x40
	s_load_b32 s3, s[0:1], 0x8
	s_wait_kmcnt 0x0
	v_add_nc_u64_e32 v[14:15], s[4:5], v[12:13]
	v_add_nc_u64_e32 v[12:13], s[6:7], v[12:13]
	s_cmp_eq_u64 s[6:7], 0
	s_load_b64 s[4:5], s[0:1], 0x50
	s_cselect_b32 vcc_lo, -1, 0
	s_cmp_eq_u32 s3, 1
	global_load_b64 v[36:37], v[14:15], off
	s_wait_xcnt 0x0
	v_add_nc_u64_e32 v[14:15], 8, v[14:15]
	s_delay_alu instid0(VALU_DEP_1) | instskip(SKIP_3) | instid1(VALU_DEP_1)
	v_dual_cndmask_b32 v13, v13, v15 :: v_dual_cndmask_b32 v12, v12, v14
	global_load_b64 v[12:13], v[12:13], off
	s_wait_loadcnt 0x1
	v_sub_nc_u64_e32 v[14:15], v[36:37], v[10:11]
	v_add_nc_u64_e32 v[30:31], v[14:15], v[0:1]
	s_wait_loadcnt 0x0
	v_sub_nc_u64_e32 v[32:33], v[12:13], v[10:11]
	s_delay_alu instid0(VALU_DEP_2) | instskip(NEXT) | instid1(VALU_DEP_2)
	v_lshlrev_b64_e32 v[14:15], 7, v[30:31]
	v_cmp_lt_i64_e64 s2, v[30:31], v[32:33]
	s_delay_alu instid0(VALU_DEP_2)
	v_add_nc_u64_e32 v[34:35], s[10:11], v[14:15]
	s_cbranch_scc1 .LBB146_25
; %bb.14:
	v_mov_b64_e32 v[12:13], 0
	v_mov_b64_e32 v[16:17], 0
	;; [unrolled: 1-line block ×8, first 2 shown]
	s_and_saveexec_b32 s3, s2
	s_cbranch_execz .LBB146_24
; %bb.15:
	v_dual_mov_b32 v13, v1 :: v_dual_bitop2_b32 v12, 8, v0 bitop3:0x54
	v_sub_nc_u64_e32 v[14:15], v[10:11], v[0:1]
	v_not_b32_e32 v17, v37
	v_not_b32_e32 v16, v36
	v_mov_b64_e32 v[24:25], 0
	v_sub_nc_u64_e32 v[12:13], v[12:13], v[10:11]
	v_mov_b64_e32 v[28:29], 0
	v_mov_b64_e32 v[22:23], 0
	v_add_nc_u64_e32 v[14:15], v[14:15], v[16:17]
	v_mov_b64_e32 v[20:21], 0
	v_mov_b64_e32 v[18:19], 0
	;; [unrolled: 1-line block ×3, first 2 shown]
	v_add_nc_u64_e32 v[12:13], v[12:13], v[36:37]
	v_mov_b64_e32 v[38:39], v[34:35]
	v_mov_b64_e32 v[40:41], v[30:31]
	s_mov_b32 s6, exec_lo
	s_delay_alu instid0(VALU_DEP_3) | instskip(NEXT) | instid1(VALU_DEP_1)
	v_max_i64 v[12:13], v[12:13], v[32:33]
	v_add_nc_u64_e32 v[42:43], v[14:15], v[12:13]
	v_mov_b64_e32 v[14:15], 0
	v_mov_b64_e32 v[12:13], 0
	s_delay_alu instid0(VALU_DEP_3) | instskip(NEXT) | instid1(VALU_DEP_1)
	v_dual_mov_b32 v47, 0 :: v_dual_bitop2_b32 v46, 24, v42 bitop3:0x40
	v_cmpx_ne_u64_e32 24, v[46:47]
	s_cbranch_execz .LBB146_19
; %bb.16:
	v_lshrrev_b32_e32 v12, 3, v42
	v_mov_b64_e32 v[16:17], 0
	v_mov_b64_e32 v[18:19], 0
	;; [unrolled: 1-line block ×4, first 2 shown]
	v_add_nc_u32_e32 v14, 1, v12
	v_mov_b64_e32 v[12:13], 0
	v_mov_b64_e32 v[28:29], 0
	v_mov_b64_e32 v[24:25], 0
	v_mov_b64_e32 v[40:41], v[30:31]
	v_and_b32_e32 v46, 3, v14
	v_mov_b64_e32 v[14:15], 0
	v_mov_b64_e32 v[38:39], v[34:35]
	v_lshl_add_u64 v[44:45], v[30:31], 3, s[8:9]
	s_mov_b32 s7, 0
	v_sub_nc_u64_e32 v[46:47], 0, v[46:47]
.LBB146_17:                             ; =>This Inner Loop Header: Depth=1
	global_load_b64 v[76:77], v[44:45], off
	s_clause 0x6
	global_load_b128 v[48:51], v[38:39], off offset:48
	global_load_b128 v[52:55], v[38:39], off offset:32
	;; [unrolled: 1-line block ×3, first 2 shown]
	global_load_b128 v[60:63], v[38:39], off
	global_load_b128 v[64:67], v[38:39], off offset:112
	global_load_b128 v[68:71], v[38:39], off offset:96
	;; [unrolled: 1-line block ×3, first 2 shown]
	v_add_nc_u64_e32 v[46:47], 1, v[46:47]
	v_add_nc_u64_e32 v[40:41], 8, v[40:41]
	s_wait_xcnt 0x7
	v_add_nc_u64_e32 v[44:45], 64, v[44:45]
	s_delay_alu instid0(VALU_DEP_3) | instskip(SKIP_3) | instid1(VALU_DEP_1)
	v_cmp_eq_u64_e32 vcc_lo, 0, v[46:47]
	s_or_b32 s7, vcc_lo, s7
	s_wait_loadcnt 0x7
	v_sub_nc_u64_e32 v[76:77], v[76:77], v[10:11]
	v_lshlrev_b64_e32 v[76:77], 6, v[76:77]
	s_wait_kmcnt 0x0
	s_delay_alu instid0(VALU_DEP_1)
	v_add_nc_u64_e32 v[96:97], s[4:5], v[76:77]
	s_clause 0x1
	global_load_b128 v[76:79], v[96:97], off
	global_load_b128 v[80:83], v[96:97], off offset:16
	global_load_b128 v[84:87], v[38:39], off offset:80
	s_clause 0x1
	global_load_b128 v[88:91], v[96:97], off offset:32
	global_load_b128 v[92:95], v[96:97], off offset:48
	s_wait_xcnt 0x2
	v_add_nc_u64_e32 v[38:39], 0x400, v[38:39]
	s_wait_loadcnt 0x4
	v_fmac_f64_e32 v[16:17], v[60:61], v[76:77]
	v_fmac_f64_e32 v[12:13], 0, v[76:77]
	v_fmac_f64_e32 v[20:21], v[52:53], v[76:77]
	v_fmac_f64_e32 v[18:19], 0, v[76:77]
	v_fmac_f64_e32 v[28:29], v[72:73], v[76:77]
	v_fmac_f64_e32 v[22:23], 0, v[76:77]
	v_fmac_f64_e32 v[14:15], v[68:69], v[76:77]
	v_fmac_f64_e32 v[24:25], 0, v[76:77]
	v_fmac_f64_e32 v[16:17], 0x80000000, v[78:79]
	v_fmac_f64_e32 v[12:13], v[60:61], v[78:79]
	v_fmac_f64_e32 v[20:21], 0x80000000, v[78:79]
	v_fmac_f64_e32 v[18:19], v[52:53], v[78:79]
	v_fmac_f64_e32 v[28:29], 0x80000000, v[78:79]
	v_fmac_f64_e32 v[22:23], v[72:73], v[78:79]
	v_fmac_f64_e32 v[14:15], 0x80000000, v[78:79]
	v_fmac_f64_e32 v[24:25], v[68:69], v[78:79]
	s_wait_loadcnt 0x3
	v_fmac_f64_e32 v[16:17], v[62:63], v[80:81]
	v_fmac_f64_e32 v[12:13], 0, v[80:81]
	v_fmac_f64_e32 v[20:21], v[54:55], v[80:81]
	v_fmac_f64_e32 v[18:19], 0, v[80:81]
	v_fmac_f64_e32 v[28:29], v[74:75], v[80:81]
	v_fmac_f64_e32 v[22:23], 0, v[80:81]
	v_fmac_f64_e32 v[14:15], v[70:71], v[80:81]
	v_fmac_f64_e32 v[24:25], 0, v[80:81]
	v_fmac_f64_e32 v[16:17], 0x80000000, v[82:83]
	v_fmac_f64_e32 v[12:13], v[62:63], v[82:83]
	v_fmac_f64_e32 v[20:21], 0x80000000, v[82:83]
	v_fmac_f64_e32 v[18:19], v[54:55], v[82:83]
	v_fmac_f64_e32 v[28:29], 0x80000000, v[82:83]
	v_fmac_f64_e32 v[22:23], v[74:75], v[82:83]
	v_fmac_f64_e32 v[14:15], 0x80000000, v[82:83]
	v_fmac_f64_e32 v[24:25], v[70:71], v[82:83]
	s_wait_loadcnt 0x1
	v_fmac_f64_e32 v[16:17], v[56:57], v[88:89]
	v_fmac_f64_e32 v[12:13], 0, v[88:89]
	v_fmac_f64_e32 v[20:21], v[48:49], v[88:89]
	v_fmac_f64_e32 v[18:19], 0, v[88:89]
	v_fmac_f64_e32 v[28:29], v[84:85], v[88:89]
	v_fmac_f64_e32 v[22:23], 0, v[88:89]
	v_fmac_f64_e32 v[14:15], v[64:65], v[88:89]
	v_fmac_f64_e32 v[24:25], 0, v[88:89]
	v_fmac_f64_e32 v[16:17], 0x80000000, v[90:91]
	v_fmac_f64_e32 v[12:13], v[56:57], v[90:91]
	v_fmac_f64_e32 v[20:21], 0x80000000, v[90:91]
	v_fmac_f64_e32 v[18:19], v[48:49], v[90:91]
	v_fmac_f64_e32 v[28:29], 0x80000000, v[90:91]
	v_fmac_f64_e32 v[22:23], v[84:85], v[90:91]
	v_fmac_f64_e32 v[14:15], 0x80000000, v[90:91]
	v_fmac_f64_e32 v[24:25], v[64:65], v[90:91]
	s_wait_loadcnt 0x0
	v_fmac_f64_e32 v[16:17], v[58:59], v[92:93]
	v_fmac_f64_e32 v[12:13], 0, v[92:93]
	v_fmac_f64_e32 v[20:21], v[50:51], v[92:93]
	v_fmac_f64_e32 v[18:19], 0, v[92:93]
	v_fmac_f64_e32 v[28:29], v[86:87], v[92:93]
	v_fmac_f64_e32 v[22:23], 0, v[92:93]
	v_fmac_f64_e32 v[14:15], v[66:67], v[92:93]
	v_fmac_f64_e32 v[24:25], 0, v[92:93]
	v_fmac_f64_e32 v[16:17], 0x80000000, v[94:95]
	v_fmac_f64_e32 v[12:13], v[58:59], v[94:95]
	v_fmac_f64_e32 v[20:21], 0x80000000, v[94:95]
	v_fmac_f64_e32 v[18:19], v[50:51], v[94:95]
	v_fmac_f64_e32 v[28:29], 0x80000000, v[94:95]
	v_fmac_f64_e32 v[22:23], v[86:87], v[94:95]
	v_fmac_f64_e32 v[14:15], 0x80000000, v[94:95]
	v_fmac_f64_e32 v[24:25], v[66:67], v[94:95]
	s_and_not1_b32 exec_lo, exec_lo, s7
	s_cbranch_execnz .LBB146_17
; %bb.18:
	s_or_b32 exec_lo, exec_lo, s7
.LBB146_19:
	s_delay_alu instid0(SALU_CYCLE_1) | instskip(NEXT) | instid1(SALU_CYCLE_1)
	s_or_b32 exec_lo, exec_lo, s6
	s_mov_b32 s6, exec_lo
	v_cmpx_lt_u64_e32 23, v[42:43]
	s_cbranch_execz .LBB146_23
; %bb.20:
	v_lshl_add_u64 v[42:43], v[40:41], 3, s[8:9]
	s_mov_b32 s7, 0
	s_delay_alu instid0(VALU_DEP_1)
	v_add_nc_u64_e32 v[42:43], 0x80, v[42:43]
.LBB146_21:                             ; =>This Inner Loop Header: Depth=1
	global_load_b64 v[124:125], v[42:43], off offset:-128
	s_clause 0xf
	global_load_b128 v[44:47], v[38:39], off offset:48
	global_load_b128 v[48:51], v[38:39], off offset:32
	;; [unrolled: 1-line block ×3, first 2 shown]
	global_load_b128 v[56:59], v[38:39], off
	global_load_b128 v[60:63], v[38:39], off offset:112
	global_load_b128 v[64:67], v[38:39], off offset:96
	;; [unrolled: 1-line block ×12, first 2 shown]
	s_clause 0x2
	global_load_b64 v[136:137], v[42:43], off offset:-64
	global_load_b64 v[138:139], v[42:43], off
	global_load_b64 v[140:141], v[42:43], off offset:64
	s_clause 0x3
	global_load_b128 v[108:111], v[38:39], off offset:2096
	global_load_b128 v[112:115], v[38:39], off offset:2080
	;; [unrolled: 1-line block ×4, first 2 shown]
	v_add_nc_u64_e32 v[40:41], 32, v[40:41]
	s_wait_xcnt 0x4
	v_add_nc_u64_e32 v[42:43], 0x100, v[42:43]
	s_delay_alu instid0(VALU_DEP_2) | instskip(SKIP_3) | instid1(VALU_DEP_1)
	v_cmp_ge_i64_e32 vcc_lo, v[40:41], v[32:33]
	s_or_b32 s7, vcc_lo, s7
	s_wait_loadcnt 0x17
	v_sub_nc_u64_e32 v[124:125], v[124:125], v[10:11]
	v_lshlrev_b64_e32 v[124:125], 6, v[124:125]
	s_wait_kmcnt 0x0
	s_delay_alu instid0(VALU_DEP_1)
	v_add_nc_u64_e32 v[142:143], s[4:5], v[124:125]
	s_clause 0x1
	global_load_b128 v[124:127], v[142:143], off
	global_load_b128 v[128:131], v[142:143], off offset:16
	s_wait_loadcnt 0x1
	v_fmac_f64_e32 v[16:17], v[56:57], v[124:125]
	v_fmac_f64_e32 v[12:13], 0, v[124:125]
	;; [unrolled: 1-line block ×16, first 2 shown]
	s_clause 0x1
	global_load_b128 v[124:127], v[142:143], off offset:32
	global_load_b128 v[132:135], v[142:143], off offset:48
	v_sub_nc_u64_e32 v[48:49], v[136:137], v[10:11]
	s_delay_alu instid0(VALU_DEP_1) | instskip(NEXT) | instid1(VALU_DEP_1)
	v_lshlrev_b64_e32 v[48:49], 6, v[48:49]
	v_add_nc_u64_e32 v[136:137], s[4:5], v[48:49]
	s_wait_loadcnt 0x2
	v_fmac_f64_e32 v[16:17], v[58:59], v[128:129]
	v_fmac_f64_e32 v[12:13], 0, v[128:129]
	;; [unrolled: 1-line block ×12, first 2 shown]
	global_load_b128 v[48:51], v[136:137], off
	v_fmac_f64_e32 v[22:23], v[74:75], v[130:131]
	v_fmac_f64_e32 v[28:29], 0x80000000, v[130:131]
	;; [unrolled: 1-line block ×3, first 2 shown]
	global_load_b128 v[64:67], v[136:137], off offset:16
	v_fmac_f64_e32 v[14:15], 0x80000000, v[130:131]
	global_load_b128 v[128:131], v[136:137], off offset:32
	s_clause 0x1
	global_load_b128 v[56:59], v[38:39], off offset:2160
	global_load_b128 v[72:75], v[38:39], off offset:2144
	s_wait_loadcnt 0x6
	v_fmac_f64_e32 v[12:13], 0, v[124:125]
	v_fmac_f64_e32 v[16:17], v[52:53], v[124:125]
	v_fmac_f64_e32 v[18:19], 0, v[124:125]
	v_fmac_f64_e32 v[22:23], 0, v[124:125]
	v_fmac_f64_e32 v[20:21], v[44:45], v[124:125]
	v_fmac_f64_e32 v[28:29], v[68:69], v[124:125]
	v_fmac_f64_e32 v[14:15], v[60:61], v[124:125]
	v_fmac_f64_e32 v[24:25], 0, v[124:125]
	v_fmac_f64_e32 v[12:13], v[52:53], v[126:127]
	v_fmac_f64_e32 v[16:17], 0x80000000, v[126:127]
	v_fmac_f64_e32 v[18:19], v[44:45], v[126:127]
	v_fmac_f64_e32 v[22:23], v[68:69], v[126:127]
	v_fmac_f64_e32 v[20:21], 0x80000000, v[126:127]
	v_fmac_f64_e32 v[28:29], 0x80000000, v[126:127]
	v_fmac_f64_e32 v[14:15], 0x80000000, v[126:127]
	v_fmac_f64_e32 v[24:25], v[60:61], v[126:127]
	v_sub_nc_u64_e32 v[60:61], v[138:139], v[10:11]
	global_load_b128 v[124:127], v[38:39], off offset:2128
	v_lshlrev_b64_e32 v[60:61], 6, v[60:61]
	s_wait_loadcnt 0x6
	v_fmac_f64_e32 v[12:13], 0, v[132:133]
	v_fmac_f64_e32 v[16:17], v[54:55], v[132:133]
	;; [unrolled: 1-line block ×9, first 2 shown]
	global_load_b128 v[52:55], v[136:137], off offset:48
	s_wait_xcnt 0x0
	v_add_nc_u64_e32 v[136:137], s[4:5], v[60:61]
	v_fmac_f64_e32 v[18:19], v[46:47], v[134:135]
	global_load_b128 v[44:47], v[38:39], off offset:2112
	v_fmac_f64_e32 v[22:23], v[70:71], v[134:135]
	v_fmac_f64_e32 v[16:17], 0x80000000, v[134:135]
	;; [unrolled: 1-line block ×4, first 2 shown]
	global_load_b128 v[68:71], v[136:137], off
	v_fmac_f64_e32 v[14:15], 0x80000000, v[134:135]
	v_fmac_f64_e32 v[24:25], v[62:63], v[134:135]
	global_load_b128 v[60:63], v[136:137], off offset:16
	s_wait_loadcnt 0x9
	v_fmac_f64_e32 v[12:13], 0, v[48:49]
	v_fmac_f64_e32 v[18:19], 0, v[48:49]
	;; [unrolled: 1-line block ×16, first 2 shown]
	global_load_b128 v[48:51], v[136:137], off offset:32
	s_wait_loadcnt 0x9
	v_fmac_f64_e32 v[12:13], 0, v[64:65]
	v_fmac_f64_e32 v[18:19], 0, v[64:65]
	;; [unrolled: 1-line block ×16, first 2 shown]
	global_load_b128 v[64:67], v[136:137], off offset:48
	s_clause 0x3
	global_load_b128 v[80:83], v[38:39], off offset:3120
	global_load_b128 v[88:91], v[38:39], off offset:3104
	;; [unrolled: 1-line block ×4, first 2 shown]
	s_wait_loadcnt 0xd
	v_fmac_f64_e32 v[12:13], 0, v[128:129]
	v_fmac_f64_e32 v[18:19], 0, v[128:129]
	;; [unrolled: 1-line block ×10, first 2 shown]
	v_sub_nc_u64_e32 v[76:77], v[140:141], v[10:11]
	v_fmac_f64_e32 v[22:23], v[100:101], v[130:131]
	v_fmac_f64_e32 v[16:17], 0x80000000, v[130:131]
	;; [unrolled: 1-line block ×6, first 2 shown]
	v_lshlrev_b64_e32 v[76:77], 6, v[76:77]
	s_clause 0x1
	global_load_b128 v[128:131], v[38:39], off offset:3168
	global_load_b128 v[132:135], v[38:39], off offset:3136
	v_add_nc_u64_e32 v[92:93], s[4:5], v[76:77]
	global_load_b128 v[136:139], v[92:93], off
	s_wait_loadcnt 0xc
	v_fmac_f64_e32 v[16:17], v[86:87], v[52:53]
	v_fmac_f64_e32 v[12:13], 0, v[52:53]
	;; [unrolled: 1-line block ×16, first 2 shown]
	global_load_b128 v[52:55], v[92:93], off offset:16
	s_wait_loadcnt 0xb
	v_fmac_f64_e32 v[16:17], v[120:121], v[68:69]
	v_fmac_f64_e32 v[12:13], 0, v[68:69]
	;; [unrolled: 1-line block ×16, first 2 shown]
	s_clause 0x1
	global_load_b128 v[68:71], v[38:39], off offset:3184
	global_load_b128 v[76:79], v[38:39], off offset:3152
	;; [unrolled: 1-line block ×3, first 2 shown]
	s_wait_xcnt 0x1
	v_add_nc_u64_e32 v[38:39], 0x1000, v[38:39]
	s_wait_loadcnt 0xd
	v_fmac_f64_e32 v[16:17], v[122:123], v[60:61]
	v_fmac_f64_e32 v[12:13], 0, v[60:61]
	;; [unrolled: 1-line block ×16, first 2 shown]
	global_load_b128 v[44:47], v[92:93], off offset:48
	s_wait_loadcnt 0xd
	v_fmac_f64_e32 v[16:17], v[116:117], v[48:49]
	v_fmac_f64_e32 v[12:13], 0, v[48:49]
	v_fmac_f64_e32 v[20:21], v[108:109], v[48:49]
	v_fmac_f64_e32 v[18:19], 0, v[48:49]
	v_fmac_f64_e32 v[28:29], v[124:125], v[48:49]
	v_fmac_f64_e32 v[22:23], 0, v[48:49]
	v_fmac_f64_e32 v[14:15], v[56:57], v[48:49]
	v_fmac_f64_e32 v[24:25], 0, v[48:49]
	v_fmac_f64_e32 v[16:17], 0x80000000, v[50:51]
	v_fmac_f64_e32 v[12:13], v[116:117], v[50:51]
	v_fmac_f64_e32 v[20:21], 0x80000000, v[50:51]
	v_fmac_f64_e32 v[18:19], v[108:109], v[50:51]
	v_fmac_f64_e32 v[28:29], 0x80000000, v[50:51]
	v_fmac_f64_e32 v[22:23], v[124:125], v[50:51]
	v_fmac_f64_e32 v[14:15], 0x80000000, v[50:51]
	v_fmac_f64_e32 v[24:25], v[56:57], v[50:51]
	s_wait_loadcnt 0xc
	v_fmac_f64_e32 v[16:17], v[118:119], v[64:65]
	v_fmac_f64_e32 v[12:13], 0, v[64:65]
	v_fmac_f64_e32 v[20:21], v[110:111], v[64:65]
	v_fmac_f64_e32 v[18:19], 0, v[64:65]
	v_fmac_f64_e32 v[28:29], v[126:127], v[64:65]
	v_fmac_f64_e32 v[22:23], 0, v[64:65]
	v_fmac_f64_e32 v[14:15], v[58:59], v[64:65]
	v_fmac_f64_e32 v[24:25], 0, v[64:65]
	v_fmac_f64_e32 v[16:17], 0x80000000, v[66:67]
	v_fmac_f64_e32 v[12:13], v[118:119], v[66:67]
	v_fmac_f64_e32 v[20:21], 0x80000000, v[66:67]
	v_fmac_f64_e32 v[18:19], v[110:111], v[66:67]
	v_fmac_f64_e32 v[28:29], 0x80000000, v[66:67]
	v_fmac_f64_e32 v[22:23], v[126:127], v[66:67]
	v_fmac_f64_e32 v[14:15], 0x80000000, v[66:67]
	v_fmac_f64_e32 v[24:25], v[58:59], v[66:67]
	;; [unrolled: 17-line block ×6, first 2 shown]
	s_and_not1_b32 exec_lo, exec_lo, s7
	s_cbranch_execnz .LBB146_21
; %bb.22:
	s_or_b32 exec_lo, exec_lo, s7
.LBB146_23:
	s_delay_alu instid0(SALU_CYCLE_1)
	s_or_b32 exec_lo, exec_lo, s6
.LBB146_24:
	s_delay_alu instid0(SALU_CYCLE_1)
	s_or_b32 exec_lo, exec_lo, s3
	s_cbranch_execz .LBB146_26
	s_branch .LBB146_37
.LBB146_25:
                                        ; implicit-def: $vgpr12_vgpr13
                                        ; implicit-def: $vgpr16_vgpr17
                                        ; implicit-def: $vgpr18_vgpr19
                                        ; implicit-def: $vgpr20_vgpr21
                                        ; implicit-def: $vgpr22_vgpr23
                                        ; implicit-def: $vgpr28_vgpr29
                                        ; implicit-def: $vgpr24_vgpr25
                                        ; implicit-def: $vgpr14_vgpr15
.LBB146_26:
	v_mov_b64_e32 v[12:13], 0
	v_mov_b64_e32 v[16:17], 0
	;; [unrolled: 1-line block ×8, first 2 shown]
	s_and_saveexec_b32 s3, s2
	s_cbranch_execz .LBB146_36
; %bb.27:
	v_dual_mov_b32 v13, v1 :: v_dual_bitop2_b32 v12, 8, v0 bitop3:0x54
	v_sub_nc_u64_e32 v[14:15], v[10:11], v[0:1]
	v_not_b32_e32 v17, v37
	v_not_b32_e32 v16, v36
	v_mov_b64_e32 v[24:25], 0
	v_sub_nc_u64_e32 v[12:13], v[12:13], v[10:11]
	v_mov_b64_e32 v[28:29], 0
	v_mov_b64_e32 v[22:23], 0
	v_add_nc_u64_e32 v[14:15], v[14:15], v[16:17]
	v_mov_b64_e32 v[20:21], 0
	v_mov_b64_e32 v[18:19], 0
	;; [unrolled: 1-line block ×3, first 2 shown]
	v_add_nc_u64_e32 v[12:13], v[12:13], v[36:37]
	s_mov_b32 s2, exec_lo
	s_delay_alu instid0(VALU_DEP_1) | instskip(NEXT) | instid1(VALU_DEP_1)
	v_max_i64 v[12:13], v[12:13], v[32:33]
	v_add_nc_u64_e32 v[36:37], v[14:15], v[12:13]
	v_mov_b64_e32 v[14:15], 0
	v_mov_b64_e32 v[12:13], 0
	s_delay_alu instid0(VALU_DEP_3) | instskip(NEXT) | instid1(VALU_DEP_1)
	v_dual_mov_b32 v39, 0 :: v_dual_bitop2_b32 v38, 24, v36 bitop3:0x40
	v_cmpx_ne_u64_e32 24, v[38:39]
	s_cbranch_execz .LBB146_31
; %bb.28:
	v_lshrrev_b32_e32 v1, 3, v36
	v_mov_b64_e32 v[12:13], 0
	v_mov_b64_e32 v[16:17], 0
	;; [unrolled: 1-line block ×4, first 2 shown]
	v_add_nc_u32_e32 v1, 1, v1
	v_mov_b64_e32 v[22:23], 0
	v_mov_b64_e32 v[28:29], 0
	;; [unrolled: 1-line block ×4, first 2 shown]
	v_and_b32_e32 v38, 3, v1
	v_lshl_add_u64 v[40:41], v[30:31], 3, s[8:9]
	s_mov_b32 s6, 0
	s_delay_alu instid0(VALU_DEP_2)
	v_sub_nc_u64_e32 v[38:39], 0, v[38:39]
.LBB146_29:                             ; =>This Inner Loop Header: Depth=1
	global_load_b64 v[50:51], v[40:41], off
	s_clause 0x1
	global_load_b128 v[42:45], v[34:35], off offset:16
	global_load_b128 v[46:49], v[34:35], off
	v_add_nc_u64_e32 v[38:39], 1, v[38:39]
	v_add_nc_u64_e32 v[30:31], 8, v[30:31]
	s_wait_xcnt 0x2
	v_add_nc_u64_e32 v[40:41], 64, v[40:41]
	s_delay_alu instid0(VALU_DEP_3) | instskip(SKIP_3) | instid1(VALU_DEP_1)
	v_cmp_eq_u64_e32 vcc_lo, 0, v[38:39]
	s_or_b32 s6, vcc_lo, s6
	s_wait_loadcnt 0x2
	v_sub_nc_u64_e32 v[50:51], v[50:51], v[10:11]
	v_lshlrev_b64_e32 v[50:51], 6, v[50:51]
	s_wait_kmcnt 0x0
	s_delay_alu instid0(VALU_DEP_1)
	v_add_nc_u64_e32 v[90:91], s[4:5], v[50:51]
	s_clause 0x1
	global_load_b128 v[50:53], v[90:91], off
	global_load_b128 v[54:57], v[90:91], off offset:16
	s_clause 0x3
	global_load_b128 v[58:61], v[34:35], off offset:32
	global_load_b128 v[62:65], v[34:35], off offset:48
	;; [unrolled: 1-line block ×4, first 2 shown]
	s_clause 0x1
	global_load_b128 v[74:77], v[90:91], off offset:32
	global_load_b128 v[78:81], v[90:91], off offset:48
	s_clause 0x1
	global_load_b128 v[82:85], v[34:35], off offset:96
	global_load_b128 v[86:89], v[34:35], off offset:112
	s_wait_xcnt 0x0
	v_add_nc_u64_e32 v[34:35], 0x400, v[34:35]
	s_wait_loadcnt 0x9
	v_fmac_f64_e32 v[16:17], v[46:47], v[50:51]
	v_fmac_f64_e32 v[12:13], 0, v[50:51]
	;; [unrolled: 1-line block ×16, first 2 shown]
	s_wait_loadcnt 0x7
	v_fmac_f64_e32 v[16:17], v[58:59], v[54:55]
	v_fmac_f64_e32 v[12:13], 0, v[54:55]
	;; [unrolled: 1-line block ×4, first 2 shown]
	s_wait_loadcnt 0x6
	v_fmac_f64_e32 v[28:29], v[62:63], v[54:55]
	v_fmac_f64_e32 v[22:23], 0, v[54:55]
	;; [unrolled: 1-line block ×12, first 2 shown]
	s_wait_loadcnt 0x3
	v_fmac_f64_e32 v[16:17], v[70:71], v[74:75]
	v_fmac_f64_e32 v[12:13], 0, v[74:75]
	;; [unrolled: 1-line block ×16, first 2 shown]
	s_wait_loadcnt 0x1
	v_fmac_f64_e32 v[16:17], v[82:83], v[78:79]
	v_fmac_f64_e32 v[12:13], 0, v[78:79]
	;; [unrolled: 1-line block ×4, first 2 shown]
	s_wait_loadcnt 0x0
	v_fmac_f64_e32 v[28:29], v[86:87], v[78:79]
	v_fmac_f64_e32 v[22:23], 0, v[78:79]
	;; [unrolled: 1-line block ×12, first 2 shown]
	s_and_not1_b32 exec_lo, exec_lo, s6
	s_cbranch_execnz .LBB146_29
; %bb.30:
	s_or_b32 exec_lo, exec_lo, s6
.LBB146_31:
	s_delay_alu instid0(SALU_CYCLE_1) | instskip(NEXT) | instid1(SALU_CYCLE_1)
	s_or_b32 exec_lo, exec_lo, s2
	s_mov_b32 s2, exec_lo
	v_cmpx_lt_u64_e32 23, v[36:37]
	s_cbranch_execz .LBB146_35
; %bb.32:
	v_lshl_add_u64 v[36:37], v[30:31], 3, s[8:9]
	s_mov_b32 s6, 0
	s_delay_alu instid0(VALU_DEP_1)
	v_add_nc_u64_e32 v[36:37], 0x80, v[36:37]
.LBB146_33:                             ; =>This Inner Loop Header: Depth=1
	s_clause 0x1
	global_load_b64 v[46:47], v[36:37], off offset:-128
	global_load_b64 v[94:95], v[36:37], off offset:-64
	s_clause 0x1
	global_load_b128 v[38:41], v[34:35], off offset:16
	global_load_b128 v[42:45], v[34:35], off
	s_clause 0x1
	global_load_b64 v[110:111], v[36:37], off
	global_load_b64 v[114:115], v[36:37], off offset:64
	v_add_nc_u64_e32 v[30:31], 32, v[30:31]
	s_wait_xcnt 0x0
	v_add_nc_u64_e32 v[36:37], 0x100, v[36:37]
	s_delay_alu instid0(VALU_DEP_2)
	v_cmp_ge_i64_e32 vcc_lo, v[30:31], v[32:33]
	s_or_b32 s6, vcc_lo, s6
	s_wait_loadcnt 0x5
	v_sub_nc_u64_e32 v[46:47], v[46:47], v[10:11]
	s_wait_loadcnt 0x4
	v_sub_nc_u64_e32 v[94:95], v[94:95], v[10:11]
	s_delay_alu instid0(VALU_DEP_2) | instskip(NEXT) | instid1(VALU_DEP_2)
	v_lshlrev_b64_e32 v[46:47], 6, v[46:47]
	v_lshlrev_b64_e32 v[94:95], 6, v[94:95]
	s_wait_kmcnt 0x0
	s_delay_alu instid0(VALU_DEP_2) | instskip(NEXT) | instid1(VALU_DEP_2)
	v_add_nc_u64_e32 v[96:97], s[4:5], v[46:47]
	v_add_nc_u64_e32 v[112:113], s[4:5], v[94:95]
	global_load_b128 v[46:49], v[96:97], off
	s_clause 0x1
	global_load_b128 v[50:53], v[34:35], off offset:48
	global_load_b128 v[54:57], v[34:35], off offset:32
	global_load_b128 v[58:61], v[96:97], off offset:16
	s_clause 0x1
	global_load_b128 v[62:65], v[34:35], off offset:80
	global_load_b128 v[66:69], v[34:35], off offset:64
	global_load_b128 v[70:73], v[96:97], off offset:32
	;; [unrolled: 4-line block ×3, first 2 shown]
	s_clause 0x1
	global_load_b128 v[86:89], v[34:35], off offset:1040
	global_load_b128 v[90:93], v[34:35], off offset:1024
	global_load_b128 v[94:97], v[112:113], off
	s_clause 0x1
	global_load_b128 v[98:101], v[34:35], off offset:1072
	global_load_b128 v[102:105], v[34:35], off offset:1056
	;; [unrolled: 1-line block ×3, first 2 shown]
	s_wait_loadcnt 0xf
	v_fmac_f64_e32 v[16:17], v[42:43], v[46:47]
	v_fmac_f64_e32 v[12:13], 0, v[46:47]
	;; [unrolled: 1-line block ×16, first 2 shown]
	s_clause 0x1
	global_load_b128 v[38:41], v[34:35], off offset:1104
	global_load_b128 v[42:45], v[34:35], off offset:1088
	;; [unrolled: 1-line block ×3, first 2 shown]
	s_wait_loadcnt 0xf
	v_fmac_f64_e32 v[16:17], v[54:55], v[58:59]
	v_fmac_f64_e32 v[12:13], 0, v[58:59]
	;; [unrolled: 1-line block ×16, first 2 shown]
	s_clause 0x1
	global_load_b128 v[50:53], v[34:35], off offset:1136
	global_load_b128 v[54:57], v[34:35], off offset:1120
	;; [unrolled: 1-line block ×3, first 2 shown]
	s_wait_loadcnt 0xf
	v_fmac_f64_e32 v[16:17], v[66:67], v[70:71]
	v_fmac_f64_e32 v[12:13], 0, v[70:71]
	;; [unrolled: 1-line block ×8, first 2 shown]
	v_sub_nc_u64_e32 v[70:71], v[110:111], v[10:11]
	s_delay_alu instid0(VALU_DEP_1) | instskip(NEXT) | instid1(VALU_DEP_1)
	v_lshlrev_b64_e32 v[70:71], 6, v[70:71]
	v_add_nc_u64_e32 v[110:111], s[4:5], v[70:71]
	v_fmac_f64_e32 v[16:17], 0x80000000, v[72:73]
	v_fmac_f64_e32 v[12:13], v[66:67], v[72:73]
	;; [unrolled: 1-line block ×8, first 2 shown]
	s_clause 0x1
	global_load_b128 v[62:65], v[34:35], off offset:2064
	global_load_b128 v[66:69], v[34:35], off offset:2048
	global_load_b128 v[70:73], v[110:111], off
	s_wait_loadcnt 0xf
	v_fmac_f64_e32 v[16:17], v[78:79], v[82:83]
	v_fmac_f64_e32 v[12:13], 0, v[82:83]
	v_fmac_f64_e32 v[20:21], v[80:81], v[82:83]
	v_fmac_f64_e32 v[18:19], 0, v[82:83]
	v_fmac_f64_e32 v[28:29], v[74:75], v[82:83]
	v_fmac_f64_e32 v[22:23], 0, v[82:83]
	v_fmac_f64_e32 v[14:15], v[76:77], v[82:83]
	v_fmac_f64_e32 v[24:25], 0, v[82:83]
	v_fmac_f64_e32 v[16:17], 0x80000000, v[84:85]
	v_fmac_f64_e32 v[12:13], v[78:79], v[84:85]
	v_fmac_f64_e32 v[20:21], 0x80000000, v[84:85]
	v_fmac_f64_e32 v[18:19], v[80:81], v[84:85]
	v_fmac_f64_e32 v[28:29], 0x80000000, v[84:85]
	v_fmac_f64_e32 v[22:23], v[74:75], v[84:85]
	v_fmac_f64_e32 v[14:15], 0x80000000, v[84:85]
	v_fmac_f64_e32 v[24:25], v[76:77], v[84:85]
	s_clause 0x1
	global_load_b128 v[74:77], v[34:35], off offset:2096
	global_load_b128 v[78:81], v[34:35], off offset:2080
	global_load_b128 v[82:85], v[110:111], off offset:16
	s_wait_loadcnt 0xf
	v_fmac_f64_e32 v[16:17], v[90:91], v[94:95]
	v_fmac_f64_e32 v[12:13], 0, v[94:95]
	v_fmac_f64_e32 v[20:21], v[92:93], v[94:95]
	v_fmac_f64_e32 v[18:19], 0, v[94:95]
	v_fmac_f64_e32 v[28:29], v[86:87], v[94:95]
	v_fmac_f64_e32 v[22:23], 0, v[94:95]
	v_fmac_f64_e32 v[14:15], v[88:89], v[94:95]
	v_fmac_f64_e32 v[24:25], 0, v[94:95]
	v_fmac_f64_e32 v[16:17], 0x80000000, v[96:97]
	v_fmac_f64_e32 v[12:13], v[90:91], v[96:97]
	v_fmac_f64_e32 v[20:21], 0x80000000, v[96:97]
	v_fmac_f64_e32 v[18:19], v[92:93], v[96:97]
	v_fmac_f64_e32 v[28:29], 0x80000000, v[96:97]
	v_fmac_f64_e32 v[22:23], v[86:87], v[96:97]
	v_fmac_f64_e32 v[14:15], 0x80000000, v[96:97]
	v_fmac_f64_e32 v[24:25], v[88:89], v[96:97]
	s_clause 0x1
	global_load_b128 v[86:89], v[34:35], off offset:2128
	global_load_b128 v[90:93], v[34:35], off offset:2112
	global_load_b128 v[94:97], v[110:111], off offset:32
	s_wait_loadcnt 0xf
	v_fmac_f64_e32 v[16:17], v[102:103], v[106:107]
	v_fmac_f64_e32 v[12:13], 0, v[106:107]
	v_fmac_f64_e32 v[20:21], v[104:105], v[106:107]
	v_fmac_f64_e32 v[18:19], 0, v[106:107]
	v_fmac_f64_e32 v[28:29], v[98:99], v[106:107]
	v_fmac_f64_e32 v[22:23], 0, v[106:107]
	v_fmac_f64_e32 v[14:15], v[100:101], v[106:107]
	v_fmac_f64_e32 v[24:25], 0, v[106:107]
	v_fmac_f64_e32 v[16:17], 0x80000000, v[108:109]
	v_fmac_f64_e32 v[12:13], v[102:103], v[108:109]
	v_fmac_f64_e32 v[20:21], 0x80000000, v[108:109]
	v_fmac_f64_e32 v[18:19], v[104:105], v[108:109]
	v_fmac_f64_e32 v[28:29], 0x80000000, v[108:109]
	v_fmac_f64_e32 v[22:23], v[98:99], v[108:109]
	v_fmac_f64_e32 v[14:15], 0x80000000, v[108:109]
	v_fmac_f64_e32 v[24:25], v[100:101], v[108:109]
	s_clause 0x1
	global_load_b128 v[98:101], v[34:35], off offset:2160
	global_load_b128 v[102:105], v[34:35], off offset:2144
	global_load_b128 v[106:109], v[110:111], off offset:48
	global_load_b128 v[110:113], v[34:35], off offset:3088
	s_wait_loadcnt 0x10
	v_fmac_f64_e32 v[16:17], v[42:43], v[46:47]
	v_fmac_f64_e32 v[12:13], 0, v[46:47]
	;; [unrolled: 1-line block ×16, first 2 shown]
	v_sub_nc_u64_e32 v[42:43], v[114:115], v[10:11]
	global_load_b128 v[38:41], v[34:35], off offset:3072
	v_lshlrev_b64_e32 v[42:43], 6, v[42:43]
	s_delay_alu instid0(VALU_DEP_1)
	v_add_nc_u64_e32 v[114:115], s[4:5], v[42:43]
	s_clause 0x1
	global_load_b128 v[42:45], v[114:115], off offset:16
	global_load_b128 v[46:49], v[114:115], off
	s_wait_loadcnt 0x10
	v_fmac_f64_e32 v[16:17], v[54:55], v[58:59]
	v_fmac_f64_e32 v[12:13], 0, v[58:59]
	;; [unrolled: 1-line block ×16, first 2 shown]
	s_clause 0x1
	global_load_b128 v[50:53], v[34:35], off offset:3120
	global_load_b128 v[54:57], v[34:35], off offset:3104
	s_wait_loadcnt 0xf
	v_fmac_f64_e32 v[16:17], v[66:67], v[70:71]
	v_fmac_f64_e32 v[12:13], 0, v[70:71]
	;; [unrolled: 1-line block ×16, first 2 shown]
	s_clause 0x1
	global_load_b128 v[58:61], v[34:35], off offset:3152
	global_load_b128 v[62:65], v[34:35], off offset:3136
	s_clause 0x1
	global_load_b128 v[66:69], v[114:115], off offset:48
	global_load_b128 v[70:73], v[114:115], off offset:32
	s_wait_loadcnt 0x10
	v_fmac_f64_e32 v[16:17], v[78:79], v[82:83]
	v_fmac_f64_e32 v[12:13], 0, v[82:83]
	;; [unrolled: 1-line block ×16, first 2 shown]
	s_clause 0x1
	global_load_b128 v[74:77], v[34:35], off offset:3168
	global_load_b128 v[78:81], v[34:35], off offset:3184
	s_wait_xcnt 0x0
	v_add_nc_u64_e32 v[34:35], 0x1000, v[34:35]
	s_wait_loadcnt 0xf
	v_fmac_f64_e32 v[16:17], v[90:91], v[94:95]
	v_fmac_f64_e32 v[12:13], 0, v[94:95]
	v_fmac_f64_e32 v[20:21], v[92:93], v[94:95]
	v_fmac_f64_e32 v[18:19], 0, v[94:95]
	v_fmac_f64_e32 v[28:29], v[86:87], v[94:95]
	v_fmac_f64_e32 v[22:23], 0, v[94:95]
	v_fmac_f64_e32 v[14:15], v[88:89], v[94:95]
	v_fmac_f64_e32 v[24:25], 0, v[94:95]
	v_fmac_f64_e32 v[16:17], 0x80000000, v[96:97]
	v_fmac_f64_e32 v[12:13], v[90:91], v[96:97]
	v_fmac_f64_e32 v[20:21], 0x80000000, v[96:97]
	v_fmac_f64_e32 v[18:19], v[92:93], v[96:97]
	v_fmac_f64_e32 v[28:29], 0x80000000, v[96:97]
	v_fmac_f64_e32 v[22:23], v[86:87], v[96:97]
	v_fmac_f64_e32 v[14:15], 0x80000000, v[96:97]
	v_fmac_f64_e32 v[24:25], v[88:89], v[96:97]
	s_wait_loadcnt 0xc
	v_fmac_f64_e32 v[16:17], v[102:103], v[106:107]
	v_fmac_f64_e32 v[12:13], 0, v[106:107]
	v_fmac_f64_e32 v[20:21], v[104:105], v[106:107]
	v_fmac_f64_e32 v[18:19], 0, v[106:107]
	v_fmac_f64_e32 v[28:29], v[98:99], v[106:107]
	v_fmac_f64_e32 v[22:23], 0, v[106:107]
	v_fmac_f64_e32 v[14:15], v[100:101], v[106:107]
	v_fmac_f64_e32 v[24:25], 0, v[106:107]
	v_fmac_f64_e32 v[16:17], 0x80000000, v[108:109]
	v_fmac_f64_e32 v[12:13], v[102:103], v[108:109]
	v_fmac_f64_e32 v[20:21], 0x80000000, v[108:109]
	v_fmac_f64_e32 v[18:19], v[104:105], v[108:109]
	v_fmac_f64_e32 v[28:29], 0x80000000, v[108:109]
	v_fmac_f64_e32 v[22:23], v[98:99], v[108:109]
	v_fmac_f64_e32 v[14:15], 0x80000000, v[108:109]
	v_fmac_f64_e32 v[24:25], v[100:101], v[108:109]
	;; [unrolled: 17-line block ×5, first 2 shown]
	s_wait_loadcnt 0x1
	v_fmac_f64_e32 v[16:17], v[74:75], v[66:67]
	v_fmac_f64_e32 v[12:13], 0, v[66:67]
	;; [unrolled: 1-line block ×4, first 2 shown]
	s_wait_loadcnt 0x0
	v_fmac_f64_e32 v[28:29], v[78:79], v[66:67]
	v_fmac_f64_e32 v[22:23], 0, v[66:67]
	;; [unrolled: 1-line block ×12, first 2 shown]
	s_and_not1_b32 exec_lo, exec_lo, s6
	s_cbranch_execnz .LBB146_33
; %bb.34:
	s_or_b32 exec_lo, exec_lo, s6
.LBB146_35:
	s_delay_alu instid0(SALU_CYCLE_1)
	s_or_b32 exec_lo, exec_lo, s2
.LBB146_36:
	s_delay_alu instid0(SALU_CYCLE_1)
	s_or_b32 exec_lo, exec_lo, s3
.LBB146_37:
	v_mbcnt_lo_u32_b32 v1, -1, 0
	s_delay_alu instid0(VALU_DEP_1) | instskip(NEXT) | instid1(VALU_DEP_1)
	v_xor_b32_e32 v10, 4, v1
	v_cmp_gt_i32_e32 vcc_lo, 32, v10
	v_cndmask_b32_e32 v10, v1, v10, vcc_lo
	s_delay_alu instid0(VALU_DEP_1)
	v_lshlrev_b32_e32 v43, 2, v10
	ds_bpermute_b32 v10, v43, v16
	ds_bpermute_b32 v11, v43, v17
	;; [unrolled: 1-line block ×4, first 2 shown]
	s_wait_dscnt 0x2
	v_add_f64_e32 v[10:11], v[16:17], v[10:11]
	s_wait_dscnt 0x0
	v_add_f64_e32 v[16:17], v[20:21], v[32:33]
	ds_bpermute_b32 v36, v43, v28
	ds_bpermute_b32 v37, v43, v29
	;; [unrolled: 1-line block ×12, first 2 shown]
	s_wait_dscnt 0xa
	v_add_f64_e32 v[20:21], v[28:29], v[36:37]
	s_wait_dscnt 0x8
	v_add_f64_e32 v[22:23], v[22:23], v[38:39]
	;; [unrolled: 2-line block ×3, first 2 shown]
	s_wait_dscnt 0x4
	v_dual_add_f64 v[12:13], v[12:13], v[30:31] :: v_dual_bitop2_b32 v14, 2, v1 bitop3:0x14
	s_wait_dscnt 0x2
	v_add_f64_e32 v[18:19], v[18:19], v[34:35]
	s_delay_alu instid0(VALU_DEP_2) | instskip(SKIP_3) | instid1(VALU_DEP_1)
	v_cmp_gt_i32_e32 vcc_lo, 32, v14
	s_wait_dscnt 0x0
	v_add_f64_e32 v[32:33], v[24:25], v[42:43]
	v_cndmask_b32_e32 v14, v1, v14, vcc_lo
	v_lshlrev_b32_e32 v30, 2, v14
	ds_bpermute_b32 v14, v30, v10
	ds_bpermute_b32 v15, v30, v11
	;; [unrolled: 1-line block ×14, first 2 shown]
	s_wait_dscnt 0xc
	v_add_f64_e32 v[10:11], v[10:11], v[14:15]
	s_wait_dscnt 0x8
	v_add_f64_e32 v[14:15], v[20:21], v[38:39]
	;; [unrolled: 2-line block ×3, first 2 shown]
	v_xor_b32_e32 v22, 1, v1
	ds_bpermute_b32 v36, v30, v18
	ds_bpermute_b32 v37, v30, v19
	s_wait_dscnt 0x4
	v_add_f64_e32 v[30:31], v[12:13], v[24:25]
	v_add_f64_e32 v[12:13], v[16:17], v[34:35]
	;; [unrolled: 1-line block ×3, first 2 shown]
	v_cmp_gt_i32_e32 vcc_lo, 32, v22
	v_cndmask_b32_e32 v1, v1, v22, vcc_lo
	v_cmp_eq_u32_e32 vcc_lo, 7, v0
	s_delay_alu instid0(VALU_DEP_2)
	v_lshlrev_b32_e32 v1, 2, v1
	s_wait_dscnt 0x0
	v_add_f64_e32 v[24:25], v[18:19], v[36:37]
	v_add_f64_e32 v[18:19], v[32:33], v[44:45]
	ds_bpermute_b32 v22, v1, v10
	ds_bpermute_b32 v23, v1, v11
	;; [unrolled: 1-line block ×16, first 2 shown]
	s_and_b32 exec_lo, exec_lo, vcc_lo
	s_cbranch_execz .LBB146_8
; %bb.38:
	s_wait_dscnt 0x8
	v_add_f64_e32 v[0:1], v[30:31], v[42:43]
	s_wait_dscnt 0x2
	v_add_f64_e32 v[30:31], v[24:25], v[40:41]
	v_add_f64_e32 v[38:39], v[20:21], v[38:39]
	s_wait_dscnt 0x0
	v_add_f64_e32 v[36:37], v[18:19], v[36:37]
	v_add_f64_e32 v[40:41], v[10:11], v[22:23]
	;; [unrolled: 1-line block ×5, first 2 shown]
	v_cmp_eq_f64_e32 vcc_lo, 0, v[2:3]
	v_cmp_eq_f64_e64 s2, 0, v[4:5]
	s_load_b64 s[0:1], s[0:1], 0x68
	v_mul_f64_e64 v[22:23], v[0:1], -v[8:9]
	v_mul_f64_e32 v[24:25], v[6:7], v[0:1]
	v_mul_f64_e64 v[18:19], v[30:31], -v[8:9]
	v_mul_f64_e32 v[20:21], v[6:7], v[30:31]
	;; [unrolled: 2-line block ×4, first 2 shown]
	v_lshlrev_b64_e32 v[0:1], 6, v[26:27]
	s_and_b32 s2, vcc_lo, s2
	v_fmac_f64_e32 v[22:23], v[6:7], v[40:41]
	v_fmac_f64_e32 v[24:25], v[8:9], v[40:41]
	;; [unrolled: 1-line block ×8, first 2 shown]
	s_and_saveexec_b32 s3, s2
	s_delay_alu instid0(SALU_CYCLE_1)
	s_xor_b32 s2, exec_lo, s3
	s_cbranch_execz .LBB146_40
; %bb.39:
	s_wait_kmcnt 0x0
	v_add_nc_u64_e32 v[0:1], s[0:1], v[0:1]
                                        ; implicit-def: $vgpr4_vgpr5
	s_clause 0x3
	global_store_b128 v[0:1], v[22:25], off
	global_store_b128 v[0:1], v[18:21], off offset:16
	global_store_b128 v[0:1], v[14:17], off offset:32
	;; [unrolled: 1-line block ×3, first 2 shown]
                                        ; implicit-def: $vgpr22_vgpr23
                                        ; implicit-def: $vgpr0_vgpr1
                                        ; implicit-def: $vgpr18_vgpr19
                                        ; implicit-def: $vgpr14_vgpr15
                                        ; implicit-def: $vgpr10_vgpr11
.LBB146_40:
	s_wait_xcnt 0x0
	s_and_not1_saveexec_b32 s2, s2
	s_cbranch_execz .LBB146_8
; %bb.41:
	s_wait_kmcnt 0x0
	v_add_nc_u64_e32 v[0:1], s[0:1], v[0:1]
	s_clause 0x3
	global_load_b128 v[6:9], v[0:1], off
	global_load_b128 v[26:29], v[0:1], off offset:16
	global_load_b128 v[30:33], v[0:1], off offset:32
	;; [unrolled: 1-line block ×3, first 2 shown]
	s_wait_loadcnt 0x3
	v_fmac_f64_e32 v[22:23], v[2:3], v[6:7]
	v_fmac_f64_e32 v[24:25], v[4:5], v[6:7]
	s_wait_loadcnt 0x2
	v_fmac_f64_e32 v[18:19], v[2:3], v[26:27]
	v_fmac_f64_e32 v[20:21], v[4:5], v[26:27]
	s_wait_loadcnt 0x1
	v_fmac_f64_e32 v[14:15], v[2:3], v[30:31]
	v_fmac_f64_e32 v[16:17], v[4:5], v[30:31]
	s_wait_loadcnt 0x0
	v_fmac_f64_e32 v[10:11], v[2:3], v[34:35]
	v_fmac_f64_e32 v[12:13], v[4:5], v[34:35]
	v_fma_f64 v[22:23], -v[4:5], v[8:9], v[22:23]
	v_fmac_f64_e32 v[24:25], v[2:3], v[8:9]
	v_fma_f64 v[18:19], -v[4:5], v[28:29], v[18:19]
	v_fmac_f64_e32 v[20:21], v[2:3], v[28:29]
	;; [unrolled: 2-line block ×4, first 2 shown]
	s_clause 0x3
	global_store_b128 v[0:1], v[22:25], off
	global_store_b128 v[0:1], v[18:21], off offset:16
	global_store_b128 v[0:1], v[14:17], off offset:32
	;; [unrolled: 1-line block ×3, first 2 shown]
	s_sendmsg sendmsg(MSG_DEALLOC_VGPRS)
	s_endpgm
	.section	.rodata,"a",@progbits
	.p2align	6, 0x0
	.amdhsa_kernel _ZN9rocsparseL18bsrxmvn_4x4_kernelILj128ELj8E21rocsparse_complex_numIdElldS2_S2_EEvT3_20rocsparse_direction_NS_24const_host_device_scalarIT1_EES3_PKS3_PKT2_SC_S9_PKT4_PKT5_S7_PT6_21rocsparse_index_base_b
		.amdhsa_group_segment_fixed_size 0
		.amdhsa_private_segment_fixed_size 0
		.amdhsa_kernarg_size 120
		.amdhsa_user_sgpr_count 2
		.amdhsa_user_sgpr_dispatch_ptr 0
		.amdhsa_user_sgpr_queue_ptr 0
		.amdhsa_user_sgpr_kernarg_segment_ptr 1
		.amdhsa_user_sgpr_dispatch_id 0
		.amdhsa_user_sgpr_kernarg_preload_length 0
		.amdhsa_user_sgpr_kernarg_preload_offset 0
		.amdhsa_user_sgpr_private_segment_size 0
		.amdhsa_wavefront_size32 1
		.amdhsa_uses_dynamic_stack 0
		.amdhsa_enable_private_segment 0
		.amdhsa_system_sgpr_workgroup_id_x 1
		.amdhsa_system_sgpr_workgroup_id_y 0
		.amdhsa_system_sgpr_workgroup_id_z 0
		.amdhsa_system_sgpr_workgroup_info 0
		.amdhsa_system_vgpr_workitem_id 0
		.amdhsa_next_free_vgpr 144
		.amdhsa_next_free_sgpr 12
		.amdhsa_named_barrier_count 0
		.amdhsa_reserve_vcc 1
		.amdhsa_float_round_mode_32 0
		.amdhsa_float_round_mode_16_64 0
		.amdhsa_float_denorm_mode_32 3
		.amdhsa_float_denorm_mode_16_64 3
		.amdhsa_fp16_overflow 0
		.amdhsa_memory_ordered 1
		.amdhsa_forward_progress 1
		.amdhsa_inst_pref_size 60
		.amdhsa_round_robin_scheduling 0
		.amdhsa_exception_fp_ieee_invalid_op 0
		.amdhsa_exception_fp_denorm_src 0
		.amdhsa_exception_fp_ieee_div_zero 0
		.amdhsa_exception_fp_ieee_overflow 0
		.amdhsa_exception_fp_ieee_underflow 0
		.amdhsa_exception_fp_ieee_inexact 0
		.amdhsa_exception_int_div_zero 0
	.end_amdhsa_kernel
	.section	.text._ZN9rocsparseL18bsrxmvn_4x4_kernelILj128ELj8E21rocsparse_complex_numIdElldS2_S2_EEvT3_20rocsparse_direction_NS_24const_host_device_scalarIT1_EES3_PKS3_PKT2_SC_S9_PKT4_PKT5_S7_PT6_21rocsparse_index_base_b,"axG",@progbits,_ZN9rocsparseL18bsrxmvn_4x4_kernelILj128ELj8E21rocsparse_complex_numIdElldS2_S2_EEvT3_20rocsparse_direction_NS_24const_host_device_scalarIT1_EES3_PKS3_PKT2_SC_S9_PKT4_PKT5_S7_PT6_21rocsparse_index_base_b,comdat
.Lfunc_end146:
	.size	_ZN9rocsparseL18bsrxmvn_4x4_kernelILj128ELj8E21rocsparse_complex_numIdElldS2_S2_EEvT3_20rocsparse_direction_NS_24const_host_device_scalarIT1_EES3_PKS3_PKT2_SC_S9_PKT4_PKT5_S7_PT6_21rocsparse_index_base_b, .Lfunc_end146-_ZN9rocsparseL18bsrxmvn_4x4_kernelILj128ELj8E21rocsparse_complex_numIdElldS2_S2_EEvT3_20rocsparse_direction_NS_24const_host_device_scalarIT1_EES3_PKS3_PKT2_SC_S9_PKT4_PKT5_S7_PT6_21rocsparse_index_base_b
                                        ; -- End function
	.set _ZN9rocsparseL18bsrxmvn_4x4_kernelILj128ELj8E21rocsparse_complex_numIdElldS2_S2_EEvT3_20rocsparse_direction_NS_24const_host_device_scalarIT1_EES3_PKS3_PKT2_SC_S9_PKT4_PKT5_S7_PT6_21rocsparse_index_base_b.num_vgpr, 144
	.set _ZN9rocsparseL18bsrxmvn_4x4_kernelILj128ELj8E21rocsparse_complex_numIdElldS2_S2_EEvT3_20rocsparse_direction_NS_24const_host_device_scalarIT1_EES3_PKS3_PKT2_SC_S9_PKT4_PKT5_S7_PT6_21rocsparse_index_base_b.num_agpr, 0
	.set _ZN9rocsparseL18bsrxmvn_4x4_kernelILj128ELj8E21rocsparse_complex_numIdElldS2_S2_EEvT3_20rocsparse_direction_NS_24const_host_device_scalarIT1_EES3_PKS3_PKT2_SC_S9_PKT4_PKT5_S7_PT6_21rocsparse_index_base_b.numbered_sgpr, 12
	.set _ZN9rocsparseL18bsrxmvn_4x4_kernelILj128ELj8E21rocsparse_complex_numIdElldS2_S2_EEvT3_20rocsparse_direction_NS_24const_host_device_scalarIT1_EES3_PKS3_PKT2_SC_S9_PKT4_PKT5_S7_PT6_21rocsparse_index_base_b.num_named_barrier, 0
	.set _ZN9rocsparseL18bsrxmvn_4x4_kernelILj128ELj8E21rocsparse_complex_numIdElldS2_S2_EEvT3_20rocsparse_direction_NS_24const_host_device_scalarIT1_EES3_PKS3_PKT2_SC_S9_PKT4_PKT5_S7_PT6_21rocsparse_index_base_b.private_seg_size, 0
	.set _ZN9rocsparseL18bsrxmvn_4x4_kernelILj128ELj8E21rocsparse_complex_numIdElldS2_S2_EEvT3_20rocsparse_direction_NS_24const_host_device_scalarIT1_EES3_PKS3_PKT2_SC_S9_PKT4_PKT5_S7_PT6_21rocsparse_index_base_b.uses_vcc, 1
	.set _ZN9rocsparseL18bsrxmvn_4x4_kernelILj128ELj8E21rocsparse_complex_numIdElldS2_S2_EEvT3_20rocsparse_direction_NS_24const_host_device_scalarIT1_EES3_PKS3_PKT2_SC_S9_PKT4_PKT5_S7_PT6_21rocsparse_index_base_b.uses_flat_scratch, 0
	.set _ZN9rocsparseL18bsrxmvn_4x4_kernelILj128ELj8E21rocsparse_complex_numIdElldS2_S2_EEvT3_20rocsparse_direction_NS_24const_host_device_scalarIT1_EES3_PKS3_PKT2_SC_S9_PKT4_PKT5_S7_PT6_21rocsparse_index_base_b.has_dyn_sized_stack, 0
	.set _ZN9rocsparseL18bsrxmvn_4x4_kernelILj128ELj8E21rocsparse_complex_numIdElldS2_S2_EEvT3_20rocsparse_direction_NS_24const_host_device_scalarIT1_EES3_PKS3_PKT2_SC_S9_PKT4_PKT5_S7_PT6_21rocsparse_index_base_b.has_recursion, 0
	.set _ZN9rocsparseL18bsrxmvn_4x4_kernelILj128ELj8E21rocsparse_complex_numIdElldS2_S2_EEvT3_20rocsparse_direction_NS_24const_host_device_scalarIT1_EES3_PKS3_PKT2_SC_S9_PKT4_PKT5_S7_PT6_21rocsparse_index_base_b.has_indirect_call, 0
	.section	.AMDGPU.csdata,"",@progbits
; Kernel info:
; codeLenInByte = 7676
; TotalNumSgprs: 14
; NumVgprs: 144
; ScratchSize: 0
; MemoryBound: 0
; FloatMode: 240
; IeeeMode: 1
; LDSByteSize: 0 bytes/workgroup (compile time only)
; SGPRBlocks: 0
; VGPRBlocks: 8
; NumSGPRsForWavesPerEU: 14
; NumVGPRsForWavesPerEU: 144
; NamedBarCnt: 0
; Occupancy: 7
; WaveLimiterHint : 1
; COMPUTE_PGM_RSRC2:SCRATCH_EN: 0
; COMPUTE_PGM_RSRC2:USER_SGPR: 2
; COMPUTE_PGM_RSRC2:TRAP_HANDLER: 0
; COMPUTE_PGM_RSRC2:TGID_X_EN: 1
; COMPUTE_PGM_RSRC2:TGID_Y_EN: 0
; COMPUTE_PGM_RSRC2:TGID_Z_EN: 0
; COMPUTE_PGM_RSRC2:TIDIG_COMP_CNT: 0
	.section	.text._ZN9rocsparseL18bsrxmvn_4x4_kernelILj128ELj16E21rocsparse_complex_numIdElldS2_S2_EEvT3_20rocsparse_direction_NS_24const_host_device_scalarIT1_EES3_PKS3_PKT2_SC_S9_PKT4_PKT5_S7_PT6_21rocsparse_index_base_b,"axG",@progbits,_ZN9rocsparseL18bsrxmvn_4x4_kernelILj128ELj16E21rocsparse_complex_numIdElldS2_S2_EEvT3_20rocsparse_direction_NS_24const_host_device_scalarIT1_EES3_PKS3_PKT2_SC_S9_PKT4_PKT5_S7_PT6_21rocsparse_index_base_b,comdat
	.globl	_ZN9rocsparseL18bsrxmvn_4x4_kernelILj128ELj16E21rocsparse_complex_numIdElldS2_S2_EEvT3_20rocsparse_direction_NS_24const_host_device_scalarIT1_EES3_PKS3_PKT2_SC_S9_PKT4_PKT5_S7_PT6_21rocsparse_index_base_b ; -- Begin function _ZN9rocsparseL18bsrxmvn_4x4_kernelILj128ELj16E21rocsparse_complex_numIdElldS2_S2_EEvT3_20rocsparse_direction_NS_24const_host_device_scalarIT1_EES3_PKS3_PKT2_SC_S9_PKT4_PKT5_S7_PT6_21rocsparse_index_base_b
	.p2align	8
	.type	_ZN9rocsparseL18bsrxmvn_4x4_kernelILj128ELj16E21rocsparse_complex_numIdElldS2_S2_EEvT3_20rocsparse_direction_NS_24const_host_device_scalarIT1_EES3_PKS3_PKT2_SC_S9_PKT4_PKT5_S7_PT6_21rocsparse_index_base_b,@function
_ZN9rocsparseL18bsrxmvn_4x4_kernelILj128ELj16E21rocsparse_complex_numIdElldS2_S2_EEvT3_20rocsparse_direction_NS_24const_host_device_scalarIT1_EES3_PKS3_PKT2_SC_S9_PKT4_PKT5_S7_PT6_21rocsparse_index_base_b: ; @_ZN9rocsparseL18bsrxmvn_4x4_kernelILj128ELj16E21rocsparse_complex_numIdElldS2_S2_EEvT3_20rocsparse_direction_NS_24const_host_device_scalarIT1_EES3_PKS3_PKT2_SC_S9_PKT4_PKT5_S7_PT6_21rocsparse_index_base_b
; %bb.0:
	s_clause 0x1
	s_load_b64 s[4:5], s[0:1], 0x70
	s_load_b64 s[2:3], s[0:1], 0x10
	v_mov_b32_e32 v1, 0
	s_add_nc_u64 s[6:7], s[0:1], 16
	s_load_b64 s[8:9], s[0:1], 0x58
	s_wait_kmcnt 0x0
	s_bitcmp1_b32 s5, 0
	s_cselect_b32 s3, s7, s3
	s_cselect_b32 s2, s6, s2
	flat_load_b128 v[6:9], v1, s[2:3]
	s_wait_xcnt 0x0
	s_add_nc_u64 s[2:3], s[0:1], 0x58
	s_delay_alu instid0(SALU_CYCLE_1)
	s_cselect_b32 s3, s3, s9
	s_cselect_b32 s2, s2, s8
	flat_load_b128 v[2:5], v1, s[2:3]
	s_wait_loadcnt_dscnt 0x101
	v_cmp_eq_f64_e32 vcc_lo, 0, v[6:7]
	s_wait_xcnt 0x0
	v_cmp_eq_f64_e64 s2, 0, v[8:9]
	s_and_b32 s5, vcc_lo, s2
	s_mov_b32 s2, -1
	s_and_saveexec_b32 s3, s5
	s_cbranch_execz .LBB147_2
; %bb.1:
	s_wait_loadcnt_dscnt 0x0
	v_cmp_neq_f64_e32 vcc_lo, 1.0, v[2:3]
	v_cmp_neq_f64_e64 s2, 0, v[4:5]
	s_or_b32 s2, vcc_lo, s2
	s_delay_alu instid0(SALU_CYCLE_1)
	s_or_not1_b32 s2, s2, exec_lo
.LBB147_2:
	s_or_b32 exec_lo, exec_lo, s3
	s_and_saveexec_b32 s3, s2
	s_cbranch_execz .LBB147_8
; %bb.3:
	s_load_b64 s[2:3], s[0:1], 0x28
	s_bfe_u32 s5, ttmp6, 0x4000c
	s_and_b32 s6, ttmp6, 15
	s_add_co_i32 s5, s5, 1
	s_getreg_b32 s7, hwreg(HW_REG_IB_STS2, 6, 4)
	s_mul_i32 s5, ttmp9, s5
	v_dual_lshrrev_b32 v1, 4, v0 :: v_dual_mov_b32 v11, 0
	s_add_co_i32 s6, s6, s5
	s_cmp_eq_u32 s7, 0
	s_cselect_b32 s5, ttmp9, s6
	s_mov_b32 s6, 0
	v_lshl_or_b32 v10, s5, 3, v1
	s_wait_kmcnt 0x0
	s_cmp_lg_u64 s[2:3], 0
	s_cbranch_scc0 .LBB147_9
; %bb.4:
	s_load_b64 s[6:7], s[0:1], 0x20
                                        ; implicit-def: $vgpr26_vgpr27
                                        ; implicit-def: $vgpr12_vgpr13
	s_wait_kmcnt 0x0
	v_cmp_gt_i64_e32 vcc_lo, s[6:7], v[10:11]
	s_mov_b32 s7, 0
	s_mov_b32 s6, 0
	s_and_saveexec_b32 s5, vcc_lo
	s_delay_alu instid0(SALU_CYCLE_1)
	s_xor_b32 s8, exec_lo, s5
	s_cbranch_execz .LBB147_6
; %bb.5:
	v_lshl_add_u64 v[12:13], v[10:11], 3, s[2:3]
	s_mov_b32 s5, 0
	s_mov_b32 s6, exec_lo
	global_load_b64 v[12:13], v[12:13], off
	s_wait_loadcnt 0x0
	v_sub_nc_u64_e64 v[26:27], v[12:13], s[4:5]
	v_mov_b64_e32 v[12:13], s[4:5]
.LBB147_6:
	s_or_b32 exec_lo, exec_lo, s8
	s_delay_alu instid0(SALU_CYCLE_1)
	s_and_b32 vcc_lo, exec_lo, s7
	s_cbranch_vccnz .LBB147_10
.LBB147_7:
	s_and_b32 exec_lo, exec_lo, s6
	s_cbranch_execnz .LBB147_13
.LBB147_8:
	s_sendmsg sendmsg(MSG_DEALLOC_VGPRS)
	s_endpgm
.LBB147_9:
                                        ; implicit-def: $vgpr26_vgpr27
                                        ; implicit-def: $vgpr12_vgpr13
	s_cbranch_execz .LBB147_7
.LBB147_10:
	s_load_b64 s[2:3], s[0:1], 0x0
	s_wait_kmcnt 0x0
	v_cmp_gt_i64_e32 vcc_lo, s[2:3], v[10:11]
	s_and_saveexec_b32 s2, vcc_lo
; %bb.11:
	s_mov_b32 s5, 0
	s_or_b32 s6, s6, exec_lo
; %bb.12:
	s_or_b32 exec_lo, exec_lo, s2
	v_mov_b64_e32 v[12:13], s[4:5]
	v_mov_b64_e32 v[26:27], v[10:11]
	s_and_b32 exec_lo, exec_lo, s6
	s_cbranch_execz .LBB147_8
.LBB147_13:
	s_load_b256 s[4:11], s[0:1], 0x30
	s_delay_alu instid0(VALU_DEP_1) | instskip(SKIP_3) | instid1(VALU_DEP_2)
	v_lshlrev_b64_e32 v[10:11], 3, v[26:27]
	v_dual_mov_b32 v1, 0 :: v_dual_bitop2_b32 v0, 15, v0 bitop3:0x40
	s_load_b32 s3, s[0:1], 0x8
	s_wait_kmcnt 0x0
	v_add_nc_u64_e32 v[14:15], s[4:5], v[10:11]
	v_add_nc_u64_e32 v[10:11], s[6:7], v[10:11]
	s_cmp_eq_u64 s[6:7], 0
	s_load_b64 s[4:5], s[0:1], 0x50
	s_cselect_b32 vcc_lo, -1, 0
	s_cmp_eq_u32 s3, 1
	global_load_b64 v[36:37], v[14:15], off
	s_wait_xcnt 0x0
	v_add_nc_u64_e32 v[14:15], 8, v[14:15]
	s_delay_alu instid0(VALU_DEP_1) | instskip(SKIP_3) | instid1(VALU_DEP_1)
	v_dual_cndmask_b32 v11, v11, v15 :: v_dual_cndmask_b32 v10, v10, v14
	global_load_b64 v[10:11], v[10:11], off
	s_wait_loadcnt 0x1
	v_sub_nc_u64_e32 v[14:15], v[36:37], v[12:13]
	v_add_nc_u64_e32 v[30:31], v[14:15], v[0:1]
	s_wait_loadcnt 0x0
	v_sub_nc_u64_e32 v[32:33], v[10:11], v[12:13]
	s_delay_alu instid0(VALU_DEP_2) | instskip(NEXT) | instid1(VALU_DEP_2)
	v_lshlrev_b64_e32 v[14:15], 7, v[30:31]
	v_cmp_lt_i64_e64 s2, v[30:31], v[32:33]
	s_delay_alu instid0(VALU_DEP_2)
	v_add_nc_u64_e32 v[34:35], s[10:11], v[14:15]
	s_cbranch_scc1 .LBB147_25
; %bb.14:
	v_mov_b64_e32 v[10:11], 0
	v_mov_b64_e32 v[16:17], 0
	;; [unrolled: 1-line block ×8, first 2 shown]
	s_and_saveexec_b32 s3, s2
	s_cbranch_execz .LBB147_24
; %bb.15:
	v_dual_mov_b32 v11, v1 :: v_dual_bitop2_b32 v10, 16, v0 bitop3:0x54
	v_sub_nc_u64_e32 v[14:15], v[12:13], v[0:1]
	v_not_b32_e32 v17, v37
	v_not_b32_e32 v16, v36
	v_mov_b64_e32 v[24:25], 0
	v_sub_nc_u64_e32 v[10:11], v[10:11], v[12:13]
	v_mov_b64_e32 v[28:29], 0
	v_mov_b64_e32 v[22:23], 0
	v_add_nc_u64_e32 v[14:15], v[14:15], v[16:17]
	v_mov_b64_e32 v[20:21], 0
	v_mov_b64_e32 v[18:19], 0
	;; [unrolled: 1-line block ×3, first 2 shown]
	v_add_nc_u64_e32 v[10:11], v[10:11], v[36:37]
	v_mov_b64_e32 v[38:39], v[34:35]
	v_mov_b64_e32 v[40:41], v[30:31]
	s_mov_b32 s6, exec_lo
	s_delay_alu instid0(VALU_DEP_3) | instskip(NEXT) | instid1(VALU_DEP_1)
	v_max_i64 v[10:11], v[10:11], v[32:33]
	v_add_nc_u64_e32 v[42:43], v[14:15], v[10:11]
	v_mov_b64_e32 v[14:15], 0
	v_mov_b64_e32 v[10:11], 0
	s_delay_alu instid0(VALU_DEP_3) | instskip(NEXT) | instid1(VALU_DEP_1)
	v_dual_mov_b32 v47, 0 :: v_dual_bitop2_b32 v46, 48, v42 bitop3:0x40
	v_cmpx_ne_u64_e32 48, v[46:47]
	s_cbranch_execz .LBB147_19
; %bb.16:
	v_lshrrev_b32_e32 v10, 4, v42
	v_mov_b64_e32 v[16:17], 0
	v_mov_b64_e32 v[18:19], 0
	;; [unrolled: 1-line block ×4, first 2 shown]
	v_add_nc_u32_e32 v14, 1, v10
	v_mov_b64_e32 v[10:11], 0
	v_mov_b64_e32 v[28:29], 0
	v_mov_b64_e32 v[24:25], 0
	v_mov_b64_e32 v[40:41], v[30:31]
	v_and_b32_e32 v46, 3, v14
	v_mov_b64_e32 v[14:15], 0
	v_mov_b64_e32 v[38:39], v[34:35]
	v_lshl_add_u64 v[44:45], v[30:31], 3, s[8:9]
	s_mov_b32 s7, 0
	v_sub_nc_u64_e32 v[46:47], 0, v[46:47]
.LBB147_17:                             ; =>This Inner Loop Header: Depth=1
	global_load_b64 v[76:77], v[44:45], off
	s_clause 0x6
	global_load_b128 v[48:51], v[38:39], off offset:48
	global_load_b128 v[52:55], v[38:39], off offset:32
	;; [unrolled: 1-line block ×3, first 2 shown]
	global_load_b128 v[60:63], v[38:39], off
	global_load_b128 v[64:67], v[38:39], off offset:112
	global_load_b128 v[68:71], v[38:39], off offset:96
	;; [unrolled: 1-line block ×3, first 2 shown]
	v_add_nc_u64_e32 v[46:47], 1, v[46:47]
	v_add_nc_u64_e32 v[40:41], 16, v[40:41]
	s_wait_xcnt 0x7
	v_add_nc_u64_e32 v[44:45], 0x80, v[44:45]
	s_delay_alu instid0(VALU_DEP_3) | instskip(SKIP_3) | instid1(VALU_DEP_1)
	v_cmp_eq_u64_e32 vcc_lo, 0, v[46:47]
	s_or_b32 s7, vcc_lo, s7
	s_wait_loadcnt 0x7
	v_sub_nc_u64_e32 v[76:77], v[76:77], v[12:13]
	v_lshlrev_b64_e32 v[76:77], 6, v[76:77]
	s_wait_kmcnt 0x0
	s_delay_alu instid0(VALU_DEP_1)
	v_add_nc_u64_e32 v[96:97], s[4:5], v[76:77]
	s_clause 0x1
	global_load_b128 v[76:79], v[96:97], off
	global_load_b128 v[80:83], v[96:97], off offset:16
	global_load_b128 v[84:87], v[38:39], off offset:80
	s_clause 0x1
	global_load_b128 v[88:91], v[96:97], off offset:32
	global_load_b128 v[92:95], v[96:97], off offset:48
	s_wait_xcnt 0x2
	v_add_nc_u64_e32 v[38:39], 0x800, v[38:39]
	s_wait_loadcnt 0x4
	v_fmac_f64_e32 v[16:17], v[60:61], v[76:77]
	v_fmac_f64_e32 v[10:11], 0, v[76:77]
	v_fmac_f64_e32 v[20:21], v[52:53], v[76:77]
	v_fmac_f64_e32 v[18:19], 0, v[76:77]
	v_fmac_f64_e32 v[28:29], v[72:73], v[76:77]
	v_fmac_f64_e32 v[22:23], 0, v[76:77]
	v_fmac_f64_e32 v[14:15], v[68:69], v[76:77]
	v_fmac_f64_e32 v[24:25], 0, v[76:77]
	v_fmac_f64_e32 v[16:17], 0x80000000, v[78:79]
	v_fmac_f64_e32 v[10:11], v[60:61], v[78:79]
	v_fmac_f64_e32 v[20:21], 0x80000000, v[78:79]
	v_fmac_f64_e32 v[18:19], v[52:53], v[78:79]
	v_fmac_f64_e32 v[28:29], 0x80000000, v[78:79]
	v_fmac_f64_e32 v[22:23], v[72:73], v[78:79]
	v_fmac_f64_e32 v[14:15], 0x80000000, v[78:79]
	v_fmac_f64_e32 v[24:25], v[68:69], v[78:79]
	s_wait_loadcnt 0x3
	v_fmac_f64_e32 v[16:17], v[62:63], v[80:81]
	v_fmac_f64_e32 v[10:11], 0, v[80:81]
	v_fmac_f64_e32 v[20:21], v[54:55], v[80:81]
	v_fmac_f64_e32 v[18:19], 0, v[80:81]
	v_fmac_f64_e32 v[28:29], v[74:75], v[80:81]
	v_fmac_f64_e32 v[22:23], 0, v[80:81]
	v_fmac_f64_e32 v[14:15], v[70:71], v[80:81]
	v_fmac_f64_e32 v[24:25], 0, v[80:81]
	v_fmac_f64_e32 v[16:17], 0x80000000, v[82:83]
	v_fmac_f64_e32 v[10:11], v[62:63], v[82:83]
	v_fmac_f64_e32 v[20:21], 0x80000000, v[82:83]
	v_fmac_f64_e32 v[18:19], v[54:55], v[82:83]
	v_fmac_f64_e32 v[28:29], 0x80000000, v[82:83]
	v_fmac_f64_e32 v[22:23], v[74:75], v[82:83]
	v_fmac_f64_e32 v[14:15], 0x80000000, v[82:83]
	v_fmac_f64_e32 v[24:25], v[70:71], v[82:83]
	;; [unrolled: 17-line block ×4, first 2 shown]
	s_and_not1_b32 exec_lo, exec_lo, s7
	s_cbranch_execnz .LBB147_17
; %bb.18:
	s_or_b32 exec_lo, exec_lo, s7
.LBB147_19:
	s_delay_alu instid0(SALU_CYCLE_1) | instskip(NEXT) | instid1(SALU_CYCLE_1)
	s_or_b32 exec_lo, exec_lo, s6
	s_mov_b32 s6, exec_lo
	v_cmpx_lt_u64_e32 47, v[42:43]
	s_cbranch_execz .LBB147_23
; %bb.20:
	v_lshl_add_u64 v[42:43], v[40:41], 3, s[8:9]
	s_mov_b32 s7, 0
	s_delay_alu instid0(VALU_DEP_1)
	v_add_nc_u64_e32 v[42:43], 0x100, v[42:43]
.LBB147_21:                             ; =>This Inner Loop Header: Depth=1
	global_load_b64 v[124:125], v[42:43], off offset:-256
	s_clause 0xf
	global_load_b128 v[44:47], v[38:39], off offset:48
	global_load_b128 v[48:51], v[38:39], off offset:32
	global_load_b128 v[52:55], v[38:39], off offset:16
	global_load_b128 v[56:59], v[38:39], off
	global_load_b128 v[60:63], v[38:39], off offset:112
	global_load_b128 v[64:67], v[38:39], off offset:96
	;; [unrolled: 1-line block ×12, first 2 shown]
	s_clause 0x2
	global_load_b64 v[136:137], v[42:43], off offset:-128
	global_load_b64 v[138:139], v[42:43], off
	global_load_b64 v[140:141], v[42:43], off offset:128
	s_clause 0x3
	global_load_b128 v[108:111], v[38:39], off offset:4144
	global_load_b128 v[112:115], v[38:39], off offset:4128
	global_load_b128 v[116:119], v[38:39], off offset:4112
	global_load_b128 v[120:123], v[38:39], off offset:4096
	v_add_nc_u64_e32 v[40:41], 64, v[40:41]
	s_wait_xcnt 0x4
	v_add_nc_u64_e32 v[42:43], 0x200, v[42:43]
	s_delay_alu instid0(VALU_DEP_2) | instskip(SKIP_3) | instid1(VALU_DEP_1)
	v_cmp_ge_i64_e32 vcc_lo, v[40:41], v[32:33]
	s_or_b32 s7, vcc_lo, s7
	s_wait_loadcnt 0x17
	v_sub_nc_u64_e32 v[124:125], v[124:125], v[12:13]
	v_lshlrev_b64_e32 v[124:125], 6, v[124:125]
	s_wait_kmcnt 0x0
	s_delay_alu instid0(VALU_DEP_1)
	v_add_nc_u64_e32 v[142:143], s[4:5], v[124:125]
	s_clause 0x1
	global_load_b128 v[124:127], v[142:143], off
	global_load_b128 v[128:131], v[142:143], off offset:16
	s_wait_loadcnt 0x1
	v_fmac_f64_e32 v[16:17], v[56:57], v[124:125]
	v_fmac_f64_e32 v[10:11], 0, v[124:125]
	;; [unrolled: 1-line block ×16, first 2 shown]
	s_clause 0x1
	global_load_b128 v[124:127], v[142:143], off offset:32
	global_load_b128 v[132:135], v[142:143], off offset:48
	v_sub_nc_u64_e32 v[48:49], v[136:137], v[12:13]
	s_delay_alu instid0(VALU_DEP_1) | instskip(NEXT) | instid1(VALU_DEP_1)
	v_lshlrev_b64_e32 v[48:49], 6, v[48:49]
	v_add_nc_u64_e32 v[136:137], s[4:5], v[48:49]
	s_wait_loadcnt 0x2
	v_fmac_f64_e32 v[16:17], v[58:59], v[128:129]
	v_fmac_f64_e32 v[10:11], 0, v[128:129]
	;; [unrolled: 1-line block ×12, first 2 shown]
	global_load_b128 v[48:51], v[136:137], off
	v_fmac_f64_e32 v[22:23], v[74:75], v[130:131]
	v_fmac_f64_e32 v[28:29], 0x80000000, v[130:131]
	;; [unrolled: 1-line block ×3, first 2 shown]
	global_load_b128 v[64:67], v[136:137], off offset:16
	v_fmac_f64_e32 v[14:15], 0x80000000, v[130:131]
	global_load_b128 v[128:131], v[136:137], off offset:32
	s_clause 0x1
	global_load_b128 v[56:59], v[38:39], off offset:4208
	global_load_b128 v[72:75], v[38:39], off offset:4192
	s_wait_loadcnt 0x6
	v_fmac_f64_e32 v[10:11], 0, v[124:125]
	v_fmac_f64_e32 v[16:17], v[52:53], v[124:125]
	;; [unrolled: 1-line block ×16, first 2 shown]
	v_sub_nc_u64_e32 v[60:61], v[138:139], v[12:13]
	global_load_b128 v[124:127], v[38:39], off offset:4176
	v_lshlrev_b64_e32 v[60:61], 6, v[60:61]
	s_wait_loadcnt 0x6
	v_fmac_f64_e32 v[10:11], 0, v[132:133]
	v_fmac_f64_e32 v[16:17], v[54:55], v[132:133]
	;; [unrolled: 1-line block ×9, first 2 shown]
	global_load_b128 v[52:55], v[136:137], off offset:48
	s_wait_xcnt 0x0
	v_add_nc_u64_e32 v[136:137], s[4:5], v[60:61]
	v_fmac_f64_e32 v[18:19], v[46:47], v[134:135]
	global_load_b128 v[44:47], v[38:39], off offset:4160
	v_fmac_f64_e32 v[22:23], v[70:71], v[134:135]
	v_fmac_f64_e32 v[16:17], 0x80000000, v[134:135]
	v_fmac_f64_e32 v[20:21], 0x80000000, v[134:135]
	v_fmac_f64_e32 v[28:29], 0x80000000, v[134:135]
	global_load_b128 v[68:71], v[136:137], off
	v_fmac_f64_e32 v[14:15], 0x80000000, v[134:135]
	v_fmac_f64_e32 v[24:25], v[62:63], v[134:135]
	global_load_b128 v[60:63], v[136:137], off offset:16
	s_wait_loadcnt 0x9
	v_fmac_f64_e32 v[10:11], 0, v[48:49]
	v_fmac_f64_e32 v[18:19], 0, v[48:49]
	;; [unrolled: 1-line block ×16, first 2 shown]
	global_load_b128 v[48:51], v[136:137], off offset:32
	s_wait_loadcnt 0x9
	v_fmac_f64_e32 v[10:11], 0, v[64:65]
	v_fmac_f64_e32 v[18:19], 0, v[64:65]
	;; [unrolled: 1-line block ×16, first 2 shown]
	global_load_b128 v[64:67], v[136:137], off offset:48
	s_clause 0x3
	global_load_b128 v[80:83], v[38:39], off offset:6192
	global_load_b128 v[88:91], v[38:39], off offset:6176
	;; [unrolled: 1-line block ×4, first 2 shown]
	s_wait_loadcnt 0xd
	v_fmac_f64_e32 v[10:11], 0, v[128:129]
	v_fmac_f64_e32 v[18:19], 0, v[128:129]
	;; [unrolled: 1-line block ×10, first 2 shown]
	v_sub_nc_u64_e32 v[76:77], v[140:141], v[12:13]
	v_fmac_f64_e32 v[22:23], v[100:101], v[130:131]
	v_fmac_f64_e32 v[16:17], 0x80000000, v[130:131]
	;; [unrolled: 1-line block ×6, first 2 shown]
	v_lshlrev_b64_e32 v[76:77], 6, v[76:77]
	s_clause 0x1
	global_load_b128 v[128:131], v[38:39], off offset:6240
	global_load_b128 v[132:135], v[38:39], off offset:6208
	v_add_nc_u64_e32 v[92:93], s[4:5], v[76:77]
	global_load_b128 v[136:139], v[92:93], off
	s_wait_loadcnt 0xc
	v_fmac_f64_e32 v[16:17], v[86:87], v[52:53]
	v_fmac_f64_e32 v[10:11], 0, v[52:53]
	;; [unrolled: 1-line block ×16, first 2 shown]
	global_load_b128 v[52:55], v[92:93], off offset:16
	s_wait_loadcnt 0xb
	v_fmac_f64_e32 v[16:17], v[120:121], v[68:69]
	v_fmac_f64_e32 v[10:11], 0, v[68:69]
	;; [unrolled: 1-line block ×16, first 2 shown]
	s_clause 0x1
	global_load_b128 v[68:71], v[38:39], off offset:6256
	global_load_b128 v[76:79], v[38:39], off offset:6224
	;; [unrolled: 1-line block ×3, first 2 shown]
	s_wait_xcnt 0x1
	v_add_nc_u64_e32 v[38:39], 0x2000, v[38:39]
	s_wait_loadcnt 0xd
	v_fmac_f64_e32 v[16:17], v[122:123], v[60:61]
	v_fmac_f64_e32 v[10:11], 0, v[60:61]
	;; [unrolled: 1-line block ×16, first 2 shown]
	global_load_b128 v[44:47], v[92:93], off offset:48
	s_wait_loadcnt 0xd
	v_fmac_f64_e32 v[16:17], v[116:117], v[48:49]
	v_fmac_f64_e32 v[10:11], 0, v[48:49]
	v_fmac_f64_e32 v[20:21], v[108:109], v[48:49]
	v_fmac_f64_e32 v[18:19], 0, v[48:49]
	v_fmac_f64_e32 v[28:29], v[124:125], v[48:49]
	v_fmac_f64_e32 v[22:23], 0, v[48:49]
	v_fmac_f64_e32 v[14:15], v[56:57], v[48:49]
	v_fmac_f64_e32 v[24:25], 0, v[48:49]
	v_fmac_f64_e32 v[16:17], 0x80000000, v[50:51]
	v_fmac_f64_e32 v[10:11], v[116:117], v[50:51]
	v_fmac_f64_e32 v[20:21], 0x80000000, v[50:51]
	v_fmac_f64_e32 v[18:19], v[108:109], v[50:51]
	v_fmac_f64_e32 v[28:29], 0x80000000, v[50:51]
	v_fmac_f64_e32 v[22:23], v[124:125], v[50:51]
	v_fmac_f64_e32 v[14:15], 0x80000000, v[50:51]
	v_fmac_f64_e32 v[24:25], v[56:57], v[50:51]
	s_wait_loadcnt 0xc
	v_fmac_f64_e32 v[16:17], v[118:119], v[64:65]
	v_fmac_f64_e32 v[10:11], 0, v[64:65]
	v_fmac_f64_e32 v[20:21], v[110:111], v[64:65]
	v_fmac_f64_e32 v[18:19], 0, v[64:65]
	v_fmac_f64_e32 v[28:29], v[126:127], v[64:65]
	v_fmac_f64_e32 v[22:23], 0, v[64:65]
	v_fmac_f64_e32 v[14:15], v[58:59], v[64:65]
	v_fmac_f64_e32 v[24:25], 0, v[64:65]
	v_fmac_f64_e32 v[16:17], 0x80000000, v[66:67]
	v_fmac_f64_e32 v[10:11], v[118:119], v[66:67]
	v_fmac_f64_e32 v[20:21], 0x80000000, v[66:67]
	v_fmac_f64_e32 v[18:19], v[110:111], v[66:67]
	v_fmac_f64_e32 v[28:29], 0x80000000, v[66:67]
	v_fmac_f64_e32 v[22:23], v[126:127], v[66:67]
	v_fmac_f64_e32 v[14:15], 0x80000000, v[66:67]
	v_fmac_f64_e32 v[24:25], v[58:59], v[66:67]
	;; [unrolled: 17-line block ×6, first 2 shown]
	s_and_not1_b32 exec_lo, exec_lo, s7
	s_cbranch_execnz .LBB147_21
; %bb.22:
	s_or_b32 exec_lo, exec_lo, s7
.LBB147_23:
	s_delay_alu instid0(SALU_CYCLE_1)
	s_or_b32 exec_lo, exec_lo, s6
.LBB147_24:
	s_delay_alu instid0(SALU_CYCLE_1)
	s_or_b32 exec_lo, exec_lo, s3
	s_cbranch_execz .LBB147_26
	s_branch .LBB147_37
.LBB147_25:
                                        ; implicit-def: $vgpr10_vgpr11
                                        ; implicit-def: $vgpr16_vgpr17
                                        ; implicit-def: $vgpr18_vgpr19
                                        ; implicit-def: $vgpr20_vgpr21
                                        ; implicit-def: $vgpr22_vgpr23
                                        ; implicit-def: $vgpr28_vgpr29
                                        ; implicit-def: $vgpr24_vgpr25
                                        ; implicit-def: $vgpr14_vgpr15
.LBB147_26:
	v_mov_b64_e32 v[10:11], 0
	v_mov_b64_e32 v[16:17], 0
	;; [unrolled: 1-line block ×8, first 2 shown]
	s_and_saveexec_b32 s3, s2
	s_cbranch_execz .LBB147_36
; %bb.27:
	v_dual_mov_b32 v11, v1 :: v_dual_bitop2_b32 v10, 16, v0 bitop3:0x54
	v_sub_nc_u64_e32 v[14:15], v[12:13], v[0:1]
	v_not_b32_e32 v17, v37
	v_not_b32_e32 v16, v36
	v_mov_b64_e32 v[24:25], 0
	v_sub_nc_u64_e32 v[10:11], v[10:11], v[12:13]
	v_mov_b64_e32 v[28:29], 0
	v_mov_b64_e32 v[22:23], 0
	v_add_nc_u64_e32 v[14:15], v[14:15], v[16:17]
	v_mov_b64_e32 v[20:21], 0
	v_mov_b64_e32 v[18:19], 0
	v_mov_b64_e32 v[16:17], 0
	v_add_nc_u64_e32 v[10:11], v[10:11], v[36:37]
	s_mov_b32 s2, exec_lo
	s_delay_alu instid0(VALU_DEP_1) | instskip(NEXT) | instid1(VALU_DEP_1)
	v_max_i64 v[10:11], v[10:11], v[32:33]
	v_add_nc_u64_e32 v[36:37], v[14:15], v[10:11]
	v_mov_b64_e32 v[14:15], 0
	v_mov_b64_e32 v[10:11], 0
	s_delay_alu instid0(VALU_DEP_3) | instskip(NEXT) | instid1(VALU_DEP_1)
	v_dual_mov_b32 v39, 0 :: v_dual_bitop2_b32 v38, 48, v36 bitop3:0x40
	v_cmpx_ne_u64_e32 48, v[38:39]
	s_cbranch_execz .LBB147_31
; %bb.28:
	v_lshrrev_b32_e32 v1, 4, v36
	v_mov_b64_e32 v[10:11], 0
	v_mov_b64_e32 v[16:17], 0
	;; [unrolled: 1-line block ×4, first 2 shown]
	v_add_nc_u32_e32 v1, 1, v1
	v_mov_b64_e32 v[22:23], 0
	v_mov_b64_e32 v[28:29], 0
	v_mov_b64_e32 v[24:25], 0
	v_mov_b64_e32 v[14:15], 0
	v_and_b32_e32 v38, 3, v1
	v_lshl_add_u64 v[40:41], v[30:31], 3, s[8:9]
	s_mov_b32 s6, 0
	s_delay_alu instid0(VALU_DEP_2)
	v_sub_nc_u64_e32 v[38:39], 0, v[38:39]
.LBB147_29:                             ; =>This Inner Loop Header: Depth=1
	global_load_b64 v[50:51], v[40:41], off
	s_clause 0x1
	global_load_b128 v[42:45], v[34:35], off offset:16
	global_load_b128 v[46:49], v[34:35], off
	v_add_nc_u64_e32 v[38:39], 1, v[38:39]
	v_add_nc_u64_e32 v[30:31], 16, v[30:31]
	s_wait_xcnt 0x2
	v_add_nc_u64_e32 v[40:41], 0x80, v[40:41]
	s_delay_alu instid0(VALU_DEP_3) | instskip(SKIP_3) | instid1(VALU_DEP_1)
	v_cmp_eq_u64_e32 vcc_lo, 0, v[38:39]
	s_or_b32 s6, vcc_lo, s6
	s_wait_loadcnt 0x2
	v_sub_nc_u64_e32 v[50:51], v[50:51], v[12:13]
	v_lshlrev_b64_e32 v[50:51], 6, v[50:51]
	s_wait_kmcnt 0x0
	s_delay_alu instid0(VALU_DEP_1)
	v_add_nc_u64_e32 v[90:91], s[4:5], v[50:51]
	s_clause 0x1
	global_load_b128 v[50:53], v[90:91], off
	global_load_b128 v[54:57], v[90:91], off offset:16
	s_clause 0x3
	global_load_b128 v[58:61], v[34:35], off offset:32
	global_load_b128 v[62:65], v[34:35], off offset:48
	;; [unrolled: 1-line block ×4, first 2 shown]
	s_clause 0x1
	global_load_b128 v[74:77], v[90:91], off offset:32
	global_load_b128 v[78:81], v[90:91], off offset:48
	s_clause 0x1
	global_load_b128 v[82:85], v[34:35], off offset:96
	global_load_b128 v[86:89], v[34:35], off offset:112
	s_wait_xcnt 0x0
	v_add_nc_u64_e32 v[34:35], 0x800, v[34:35]
	s_wait_loadcnt 0x9
	v_fmac_f64_e32 v[16:17], v[46:47], v[50:51]
	v_fmac_f64_e32 v[10:11], 0, v[50:51]
	;; [unrolled: 1-line block ×16, first 2 shown]
	s_wait_loadcnt 0x7
	v_fmac_f64_e32 v[16:17], v[58:59], v[54:55]
	v_fmac_f64_e32 v[10:11], 0, v[54:55]
	;; [unrolled: 1-line block ×4, first 2 shown]
	s_wait_loadcnt 0x6
	v_fmac_f64_e32 v[28:29], v[62:63], v[54:55]
	v_fmac_f64_e32 v[22:23], 0, v[54:55]
	v_fmac_f64_e32 v[14:15], v[64:65], v[54:55]
	v_fmac_f64_e32 v[24:25], 0, v[54:55]
	v_fmac_f64_e32 v[16:17], 0x80000000, v[56:57]
	v_fmac_f64_e32 v[10:11], v[58:59], v[56:57]
	v_fmac_f64_e32 v[20:21], 0x80000000, v[56:57]
	v_fmac_f64_e32 v[18:19], v[60:61], v[56:57]
	v_fmac_f64_e32 v[28:29], 0x80000000, v[56:57]
	v_fmac_f64_e32 v[22:23], v[62:63], v[56:57]
	v_fmac_f64_e32 v[14:15], 0x80000000, v[56:57]
	v_fmac_f64_e32 v[24:25], v[64:65], v[56:57]
	s_wait_loadcnt 0x3
	v_fmac_f64_e32 v[16:17], v[70:71], v[74:75]
	v_fmac_f64_e32 v[10:11], 0, v[74:75]
	;; [unrolled: 1-line block ×16, first 2 shown]
	s_wait_loadcnt 0x1
	v_fmac_f64_e32 v[16:17], v[82:83], v[78:79]
	v_fmac_f64_e32 v[10:11], 0, v[78:79]
	;; [unrolled: 1-line block ×4, first 2 shown]
	s_wait_loadcnt 0x0
	v_fmac_f64_e32 v[28:29], v[86:87], v[78:79]
	v_fmac_f64_e32 v[22:23], 0, v[78:79]
	;; [unrolled: 1-line block ×12, first 2 shown]
	s_and_not1_b32 exec_lo, exec_lo, s6
	s_cbranch_execnz .LBB147_29
; %bb.30:
	s_or_b32 exec_lo, exec_lo, s6
.LBB147_31:
	s_delay_alu instid0(SALU_CYCLE_1) | instskip(NEXT) | instid1(SALU_CYCLE_1)
	s_or_b32 exec_lo, exec_lo, s2
	s_mov_b32 s2, exec_lo
	v_cmpx_lt_u64_e32 47, v[36:37]
	s_cbranch_execz .LBB147_35
; %bb.32:
	v_lshl_add_u64 v[36:37], v[30:31], 3, s[8:9]
	s_mov_b32 s6, 0
	s_delay_alu instid0(VALU_DEP_1)
	v_add_nc_u64_e32 v[36:37], 0x100, v[36:37]
.LBB147_33:                             ; =>This Inner Loop Header: Depth=1
	s_clause 0x1
	global_load_b64 v[46:47], v[36:37], off offset:-256
	global_load_b64 v[94:95], v[36:37], off offset:-128
	s_clause 0x1
	global_load_b128 v[38:41], v[34:35], off offset:16
	global_load_b128 v[42:45], v[34:35], off
	s_clause 0x1
	global_load_b64 v[110:111], v[36:37], off
	global_load_b64 v[114:115], v[36:37], off offset:128
	v_add_nc_u64_e32 v[30:31], 64, v[30:31]
	s_wait_xcnt 0x0
	v_add_nc_u64_e32 v[36:37], 0x200, v[36:37]
	s_delay_alu instid0(VALU_DEP_2)
	v_cmp_ge_i64_e32 vcc_lo, v[30:31], v[32:33]
	s_or_b32 s6, vcc_lo, s6
	s_wait_loadcnt 0x5
	v_sub_nc_u64_e32 v[46:47], v[46:47], v[12:13]
	s_wait_loadcnt 0x4
	v_sub_nc_u64_e32 v[94:95], v[94:95], v[12:13]
	s_delay_alu instid0(VALU_DEP_2) | instskip(NEXT) | instid1(VALU_DEP_2)
	v_lshlrev_b64_e32 v[46:47], 6, v[46:47]
	v_lshlrev_b64_e32 v[94:95], 6, v[94:95]
	s_wait_kmcnt 0x0
	s_delay_alu instid0(VALU_DEP_2) | instskip(NEXT) | instid1(VALU_DEP_2)
	v_add_nc_u64_e32 v[96:97], s[4:5], v[46:47]
	v_add_nc_u64_e32 v[112:113], s[4:5], v[94:95]
	global_load_b128 v[46:49], v[96:97], off
	s_clause 0x1
	global_load_b128 v[50:53], v[34:35], off offset:48
	global_load_b128 v[54:57], v[34:35], off offset:32
	global_load_b128 v[58:61], v[96:97], off offset:16
	s_clause 0x1
	global_load_b128 v[62:65], v[34:35], off offset:80
	global_load_b128 v[66:69], v[34:35], off offset:64
	global_load_b128 v[70:73], v[96:97], off offset:32
	;; [unrolled: 4-line block ×3, first 2 shown]
	s_clause 0x1
	global_load_b128 v[86:89], v[34:35], off offset:2064
	global_load_b128 v[90:93], v[34:35], off offset:2048
	global_load_b128 v[94:97], v[112:113], off
	s_clause 0x1
	global_load_b128 v[98:101], v[34:35], off offset:2096
	global_load_b128 v[102:105], v[34:35], off offset:2080
	;; [unrolled: 1-line block ×3, first 2 shown]
	s_wait_loadcnt 0xf
	v_fmac_f64_e32 v[16:17], v[42:43], v[46:47]
	v_fmac_f64_e32 v[10:11], 0, v[46:47]
	;; [unrolled: 1-line block ×16, first 2 shown]
	s_clause 0x1
	global_load_b128 v[38:41], v[34:35], off offset:2128
	global_load_b128 v[42:45], v[34:35], off offset:2112
	;; [unrolled: 1-line block ×3, first 2 shown]
	s_wait_loadcnt 0xf
	v_fmac_f64_e32 v[16:17], v[54:55], v[58:59]
	v_fmac_f64_e32 v[10:11], 0, v[58:59]
	v_fmac_f64_e32 v[20:21], v[56:57], v[58:59]
	v_fmac_f64_e32 v[18:19], 0, v[58:59]
	v_fmac_f64_e32 v[28:29], v[50:51], v[58:59]
	v_fmac_f64_e32 v[22:23], 0, v[58:59]
	v_fmac_f64_e32 v[14:15], v[52:53], v[58:59]
	v_fmac_f64_e32 v[24:25], 0, v[58:59]
	v_fmac_f64_e32 v[16:17], 0x80000000, v[60:61]
	v_fmac_f64_e32 v[10:11], v[54:55], v[60:61]
	v_fmac_f64_e32 v[20:21], 0x80000000, v[60:61]
	v_fmac_f64_e32 v[18:19], v[56:57], v[60:61]
	v_fmac_f64_e32 v[28:29], 0x80000000, v[60:61]
	v_fmac_f64_e32 v[22:23], v[50:51], v[60:61]
	v_fmac_f64_e32 v[14:15], 0x80000000, v[60:61]
	v_fmac_f64_e32 v[24:25], v[52:53], v[60:61]
	s_clause 0x1
	global_load_b128 v[50:53], v[34:35], off offset:2160
	global_load_b128 v[54:57], v[34:35], off offset:2144
	;; [unrolled: 1-line block ×3, first 2 shown]
	s_wait_loadcnt 0xf
	v_fmac_f64_e32 v[16:17], v[66:67], v[70:71]
	v_fmac_f64_e32 v[10:11], 0, v[70:71]
	;; [unrolled: 1-line block ×8, first 2 shown]
	v_sub_nc_u64_e32 v[70:71], v[110:111], v[12:13]
	s_delay_alu instid0(VALU_DEP_1) | instskip(NEXT) | instid1(VALU_DEP_1)
	v_lshlrev_b64_e32 v[70:71], 6, v[70:71]
	v_add_nc_u64_e32 v[110:111], s[4:5], v[70:71]
	v_fmac_f64_e32 v[16:17], 0x80000000, v[72:73]
	v_fmac_f64_e32 v[10:11], v[66:67], v[72:73]
	;; [unrolled: 1-line block ×8, first 2 shown]
	s_clause 0x1
	global_load_b128 v[62:65], v[34:35], off offset:4112
	global_load_b128 v[66:69], v[34:35], off offset:4096
	global_load_b128 v[70:73], v[110:111], off
	s_wait_loadcnt 0xf
	v_fmac_f64_e32 v[16:17], v[78:79], v[82:83]
	v_fmac_f64_e32 v[10:11], 0, v[82:83]
	v_fmac_f64_e32 v[20:21], v[80:81], v[82:83]
	v_fmac_f64_e32 v[18:19], 0, v[82:83]
	v_fmac_f64_e32 v[28:29], v[74:75], v[82:83]
	v_fmac_f64_e32 v[22:23], 0, v[82:83]
	v_fmac_f64_e32 v[14:15], v[76:77], v[82:83]
	v_fmac_f64_e32 v[24:25], 0, v[82:83]
	v_fmac_f64_e32 v[16:17], 0x80000000, v[84:85]
	v_fmac_f64_e32 v[10:11], v[78:79], v[84:85]
	v_fmac_f64_e32 v[20:21], 0x80000000, v[84:85]
	v_fmac_f64_e32 v[18:19], v[80:81], v[84:85]
	v_fmac_f64_e32 v[28:29], 0x80000000, v[84:85]
	v_fmac_f64_e32 v[22:23], v[74:75], v[84:85]
	v_fmac_f64_e32 v[14:15], 0x80000000, v[84:85]
	v_fmac_f64_e32 v[24:25], v[76:77], v[84:85]
	s_clause 0x1
	global_load_b128 v[74:77], v[34:35], off offset:4144
	global_load_b128 v[78:81], v[34:35], off offset:4128
	global_load_b128 v[82:85], v[110:111], off offset:16
	s_wait_loadcnt 0xf
	v_fmac_f64_e32 v[16:17], v[90:91], v[94:95]
	v_fmac_f64_e32 v[10:11], 0, v[94:95]
	v_fmac_f64_e32 v[20:21], v[92:93], v[94:95]
	v_fmac_f64_e32 v[18:19], 0, v[94:95]
	v_fmac_f64_e32 v[28:29], v[86:87], v[94:95]
	v_fmac_f64_e32 v[22:23], 0, v[94:95]
	v_fmac_f64_e32 v[14:15], v[88:89], v[94:95]
	v_fmac_f64_e32 v[24:25], 0, v[94:95]
	v_fmac_f64_e32 v[16:17], 0x80000000, v[96:97]
	v_fmac_f64_e32 v[10:11], v[90:91], v[96:97]
	v_fmac_f64_e32 v[20:21], 0x80000000, v[96:97]
	v_fmac_f64_e32 v[18:19], v[92:93], v[96:97]
	v_fmac_f64_e32 v[28:29], 0x80000000, v[96:97]
	v_fmac_f64_e32 v[22:23], v[86:87], v[96:97]
	v_fmac_f64_e32 v[14:15], 0x80000000, v[96:97]
	v_fmac_f64_e32 v[24:25], v[88:89], v[96:97]
	s_clause 0x1
	global_load_b128 v[86:89], v[34:35], off offset:4176
	global_load_b128 v[90:93], v[34:35], off offset:4160
	global_load_b128 v[94:97], v[110:111], off offset:32
	;; [unrolled: 21-line block ×3, first 2 shown]
	global_load_b128 v[110:113], v[34:35], off offset:6160
	s_wait_loadcnt 0x10
	v_fmac_f64_e32 v[16:17], v[42:43], v[46:47]
	v_fmac_f64_e32 v[10:11], 0, v[46:47]
	;; [unrolled: 1-line block ×16, first 2 shown]
	v_sub_nc_u64_e32 v[42:43], v[114:115], v[12:13]
	global_load_b128 v[38:41], v[34:35], off offset:6144
	v_lshlrev_b64_e32 v[42:43], 6, v[42:43]
	s_delay_alu instid0(VALU_DEP_1)
	v_add_nc_u64_e32 v[114:115], s[4:5], v[42:43]
	s_clause 0x1
	global_load_b128 v[42:45], v[114:115], off offset:16
	global_load_b128 v[46:49], v[114:115], off
	s_wait_loadcnt 0x10
	v_fmac_f64_e32 v[16:17], v[54:55], v[58:59]
	v_fmac_f64_e32 v[10:11], 0, v[58:59]
	;; [unrolled: 1-line block ×16, first 2 shown]
	s_clause 0x1
	global_load_b128 v[50:53], v[34:35], off offset:6192
	global_load_b128 v[54:57], v[34:35], off offset:6176
	s_wait_loadcnt 0xf
	v_fmac_f64_e32 v[16:17], v[66:67], v[70:71]
	v_fmac_f64_e32 v[10:11], 0, v[70:71]
	;; [unrolled: 1-line block ×16, first 2 shown]
	s_clause 0x1
	global_load_b128 v[58:61], v[34:35], off offset:6224
	global_load_b128 v[62:65], v[34:35], off offset:6208
	s_clause 0x1
	global_load_b128 v[66:69], v[114:115], off offset:48
	global_load_b128 v[70:73], v[114:115], off offset:32
	s_wait_loadcnt 0x10
	v_fmac_f64_e32 v[16:17], v[78:79], v[82:83]
	v_fmac_f64_e32 v[10:11], 0, v[82:83]
	;; [unrolled: 1-line block ×16, first 2 shown]
	s_clause 0x1
	global_load_b128 v[74:77], v[34:35], off offset:6240
	global_load_b128 v[78:81], v[34:35], off offset:6256
	s_wait_xcnt 0x0
	v_add_nc_u64_e32 v[34:35], 0x2000, v[34:35]
	s_wait_loadcnt 0xf
	v_fmac_f64_e32 v[16:17], v[90:91], v[94:95]
	v_fmac_f64_e32 v[10:11], 0, v[94:95]
	v_fmac_f64_e32 v[20:21], v[92:93], v[94:95]
	v_fmac_f64_e32 v[18:19], 0, v[94:95]
	v_fmac_f64_e32 v[28:29], v[86:87], v[94:95]
	v_fmac_f64_e32 v[22:23], 0, v[94:95]
	v_fmac_f64_e32 v[14:15], v[88:89], v[94:95]
	v_fmac_f64_e32 v[24:25], 0, v[94:95]
	v_fmac_f64_e32 v[16:17], 0x80000000, v[96:97]
	v_fmac_f64_e32 v[10:11], v[90:91], v[96:97]
	v_fmac_f64_e32 v[20:21], 0x80000000, v[96:97]
	v_fmac_f64_e32 v[18:19], v[92:93], v[96:97]
	v_fmac_f64_e32 v[28:29], 0x80000000, v[96:97]
	v_fmac_f64_e32 v[22:23], v[86:87], v[96:97]
	v_fmac_f64_e32 v[14:15], 0x80000000, v[96:97]
	v_fmac_f64_e32 v[24:25], v[88:89], v[96:97]
	s_wait_loadcnt 0xc
	v_fmac_f64_e32 v[16:17], v[102:103], v[106:107]
	v_fmac_f64_e32 v[10:11], 0, v[106:107]
	v_fmac_f64_e32 v[20:21], v[104:105], v[106:107]
	v_fmac_f64_e32 v[18:19], 0, v[106:107]
	v_fmac_f64_e32 v[28:29], v[98:99], v[106:107]
	v_fmac_f64_e32 v[22:23], 0, v[106:107]
	v_fmac_f64_e32 v[14:15], v[100:101], v[106:107]
	v_fmac_f64_e32 v[24:25], 0, v[106:107]
	v_fmac_f64_e32 v[16:17], 0x80000000, v[108:109]
	v_fmac_f64_e32 v[10:11], v[102:103], v[108:109]
	v_fmac_f64_e32 v[20:21], 0x80000000, v[108:109]
	v_fmac_f64_e32 v[18:19], v[104:105], v[108:109]
	v_fmac_f64_e32 v[28:29], 0x80000000, v[108:109]
	v_fmac_f64_e32 v[22:23], v[98:99], v[108:109]
	v_fmac_f64_e32 v[14:15], 0x80000000, v[108:109]
	v_fmac_f64_e32 v[24:25], v[100:101], v[108:109]
	;; [unrolled: 17-line block ×5, first 2 shown]
	s_wait_loadcnt 0x1
	v_fmac_f64_e32 v[16:17], v[74:75], v[66:67]
	v_fmac_f64_e32 v[10:11], 0, v[66:67]
	;; [unrolled: 1-line block ×4, first 2 shown]
	s_wait_loadcnt 0x0
	v_fmac_f64_e32 v[28:29], v[78:79], v[66:67]
	v_fmac_f64_e32 v[22:23], 0, v[66:67]
	;; [unrolled: 1-line block ×12, first 2 shown]
	s_and_not1_b32 exec_lo, exec_lo, s6
	s_cbranch_execnz .LBB147_33
; %bb.34:
	s_or_b32 exec_lo, exec_lo, s6
.LBB147_35:
	s_delay_alu instid0(SALU_CYCLE_1)
	s_or_b32 exec_lo, exec_lo, s2
.LBB147_36:
	s_delay_alu instid0(SALU_CYCLE_1)
	s_or_b32 exec_lo, exec_lo, s3
.LBB147_37:
	v_mbcnt_lo_u32_b32 v1, -1, 0
	s_delay_alu instid0(VALU_DEP_1) | instskip(NEXT) | instid1(VALU_DEP_1)
	v_xor_b32_e32 v12, 8, v1
	v_cmp_gt_i32_e32 vcc_lo, 32, v12
	v_cndmask_b32_e32 v12, v1, v12, vcc_lo
	s_delay_alu instid0(VALU_DEP_1)
	v_lshlrev_b32_e32 v43, 2, v12
	ds_bpermute_b32 v38, v43, v22
	ds_bpermute_b32 v39, v43, v23
	s_wait_dscnt 0x0
	v_add_f64_e32 v[22:23], v[22:23], v[38:39]
	ds_bpermute_b32 v12, v43, v16
	ds_bpermute_b32 v13, v43, v17
	;; [unrolled: 1-line block ×14, first 2 shown]
	s_wait_dscnt 0xc
	v_add_f64_e32 v[12:13], v[16:17], v[12:13]
	s_wait_dscnt 0xa
	v_add_f64_e32 v[10:11], v[10:11], v[30:31]
	;; [unrolled: 2-line block ×5, first 2 shown]
	s_wait_dscnt 0x0
	v_dual_add_f64 v[24:25], v[24:25], v[42:43] :: v_dual_bitop2_b32 v28, 4, v1 bitop3:0x14
	s_delay_alu instid0(VALU_DEP_1) | instskip(SKIP_1) | instid1(VALU_DEP_1)
	v_cmp_gt_i32_e32 vcc_lo, 32, v28
	v_cndmask_b32_e32 v28, v1, v28, vcc_lo
	v_lshlrev_b32_e32 v43, 2, v28
	ds_bpermute_b32 v28, v43, v12
	ds_bpermute_b32 v29, v43, v13
	;; [unrolled: 1-line block ×4, first 2 shown]
	s_wait_dscnt 0x2
	v_add_f64_e32 v[12:13], v[12:13], v[28:29]
	s_wait_dscnt 0x0
	v_add_f64_e32 v[28:29], v[10:11], v[30:31]
	ds_bpermute_b32 v38, v43, v22
	ds_bpermute_b32 v39, v43, v23
	ds_bpermute_b32 v36, v43, v20
	ds_bpermute_b32 v37, v43, v21
	ds_bpermute_b32 v32, v43, v16
	ds_bpermute_b32 v33, v43, v17
	ds_bpermute_b32 v34, v43, v18
	ds_bpermute_b32 v35, v43, v19
	ds_bpermute_b32 v42, v43, v24
	v_xor_b32_e32 v10, 2, v1
	s_delay_alu instid0(VALU_DEP_1) | instskip(SKIP_4) | instid1(VALU_DEP_2)
	v_cmp_gt_i32_e32 vcc_lo, 32, v10
	v_dual_add_f64 v[14:15], v[14:15], v[40:41] :: v_dual_cndmask_b32 v10, v1, v10, vcc_lo
	s_wait_dscnt 0x7
	v_add_f64_e32 v[22:23], v[22:23], v[38:39]
	s_wait_dscnt 0x5
	v_dual_add_f64 v[20:21], v[20:21], v[36:37] :: v_dual_lshlrev_b32 v30, 2, v10
	s_wait_dscnt 0x3
	v_add_f64_e32 v[16:17], v[16:17], v[32:33]
	s_wait_dscnt 0x1
	v_add_f64_e32 v[18:19], v[18:19], v[34:35]
	ds_bpermute_b32 v10, v30, v12
	ds_bpermute_b32 v11, v30, v13
	;; [unrolled: 1-line block ×9, first 2 shown]
	s_wait_dscnt 0x5
	v_add_f64_e32 v[32:33], v[14:15], v[40:41]
	s_wait_dscnt 0x4
	v_add_f64_e32 v[34:35], v[24:25], v[42:43]
	ds_bpermute_b32 v14, v30, v28
	ds_bpermute_b32 v15, v30, v29
	;; [unrolled: 1-line block ×10, first 2 shown]
	s_wait_dscnt 0x8
	v_add_f64_e32 v[30:31], v[28:29], v[14:15]
	v_add_f64_e32 v[14:15], v[20:21], v[38:39]
	s_wait_dscnt 0x6
	v_add_f64_e32 v[20:21], v[22:23], v[40:41]
	v_xor_b32_e32 v22, 1, v1
	s_delay_alu instid0(VALU_DEP_1)
	v_cmp_gt_i32_e32 vcc_lo, 32, v22
	v_cndmask_b32_e32 v1, v1, v22, vcc_lo
	v_add_f64_e32 v[10:11], v[12:13], v[10:11]
	s_wait_dscnt 0x4
	v_add_f64_e32 v[12:13], v[16:17], v[24:25]
	v_add_f64_e32 v[24:25], v[18:19], v[36:37]
	v_cmp_eq_u32_e32 vcc_lo, 15, v0
	s_wait_dscnt 0x2
	v_add_f64_e32 v[16:17], v[32:33], v[42:43]
	s_wait_dscnt 0x0
	v_add_f64_e32 v[18:19], v[34:35], v[44:45]
	v_lshlrev_b32_e32 v1, 2, v1
	ds_bpermute_b32 v42, v1, v30
	ds_bpermute_b32 v43, v1, v31
	;; [unrolled: 1-line block ×16, first 2 shown]
	s_and_b32 exec_lo, exec_lo, vcc_lo
	s_cbranch_execz .LBB147_8
; %bb.38:
	s_wait_dscnt 0xe
	v_add_f64_e32 v[0:1], v[30:31], v[42:43]
	s_wait_dscnt 0x4
	v_add_f64_e32 v[30:31], v[24:25], v[40:41]
	v_add_f64_e32 v[38:39], v[20:21], v[38:39]
	s_wait_dscnt 0x0
	v_add_f64_e32 v[36:37], v[18:19], v[36:37]
	v_add_f64_e32 v[40:41], v[10:11], v[22:23]
	;; [unrolled: 1-line block ×5, first 2 shown]
	v_cmp_eq_f64_e32 vcc_lo, 0, v[2:3]
	v_cmp_eq_f64_e64 s2, 0, v[4:5]
	s_load_b64 s[0:1], s[0:1], 0x68
	v_mul_f64_e64 v[22:23], v[0:1], -v[8:9]
	v_mul_f64_e32 v[24:25], v[6:7], v[0:1]
	v_mul_f64_e64 v[18:19], v[30:31], -v[8:9]
	v_mul_f64_e32 v[20:21], v[6:7], v[30:31]
	;; [unrolled: 2-line block ×4, first 2 shown]
	v_lshlrev_b64_e32 v[0:1], 6, v[26:27]
	s_and_b32 s2, vcc_lo, s2
	v_fmac_f64_e32 v[22:23], v[6:7], v[40:41]
	v_fmac_f64_e32 v[24:25], v[8:9], v[40:41]
	;; [unrolled: 1-line block ×8, first 2 shown]
	s_and_saveexec_b32 s3, s2
	s_delay_alu instid0(SALU_CYCLE_1)
	s_xor_b32 s2, exec_lo, s3
	s_cbranch_execz .LBB147_40
; %bb.39:
	s_wait_kmcnt 0x0
	v_add_nc_u64_e32 v[0:1], s[0:1], v[0:1]
                                        ; implicit-def: $vgpr4_vgpr5
	s_clause 0x3
	global_store_b128 v[0:1], v[22:25], off
	global_store_b128 v[0:1], v[18:21], off offset:16
	global_store_b128 v[0:1], v[14:17], off offset:32
	;; [unrolled: 1-line block ×3, first 2 shown]
                                        ; implicit-def: $vgpr22_vgpr23
                                        ; implicit-def: $vgpr0_vgpr1
                                        ; implicit-def: $vgpr18_vgpr19
                                        ; implicit-def: $vgpr14_vgpr15
                                        ; implicit-def: $vgpr10_vgpr11
.LBB147_40:
	s_wait_xcnt 0x0
	s_and_not1_saveexec_b32 s2, s2
	s_cbranch_execz .LBB147_8
; %bb.41:
	s_wait_kmcnt 0x0
	v_add_nc_u64_e32 v[0:1], s[0:1], v[0:1]
	s_clause 0x3
	global_load_b128 v[6:9], v[0:1], off
	global_load_b128 v[26:29], v[0:1], off offset:16
	global_load_b128 v[30:33], v[0:1], off offset:32
	;; [unrolled: 1-line block ×3, first 2 shown]
	s_wait_loadcnt 0x3
	v_fmac_f64_e32 v[22:23], v[2:3], v[6:7]
	v_fmac_f64_e32 v[24:25], v[4:5], v[6:7]
	s_wait_loadcnt 0x2
	v_fmac_f64_e32 v[18:19], v[2:3], v[26:27]
	v_fmac_f64_e32 v[20:21], v[4:5], v[26:27]
	;; [unrolled: 3-line block ×4, first 2 shown]
	v_fma_f64 v[22:23], -v[4:5], v[8:9], v[22:23]
	v_fmac_f64_e32 v[24:25], v[2:3], v[8:9]
	v_fma_f64 v[18:19], -v[4:5], v[28:29], v[18:19]
	v_fmac_f64_e32 v[20:21], v[2:3], v[28:29]
	;; [unrolled: 2-line block ×4, first 2 shown]
	s_clause 0x3
	global_store_b128 v[0:1], v[22:25], off
	global_store_b128 v[0:1], v[18:21], off offset:16
	global_store_b128 v[0:1], v[14:17], off offset:32
	;; [unrolled: 1-line block ×3, first 2 shown]
	s_sendmsg sendmsg(MSG_DEALLOC_VGPRS)
	s_endpgm
	.section	.rodata,"a",@progbits
	.p2align	6, 0x0
	.amdhsa_kernel _ZN9rocsparseL18bsrxmvn_4x4_kernelILj128ELj16E21rocsparse_complex_numIdElldS2_S2_EEvT3_20rocsparse_direction_NS_24const_host_device_scalarIT1_EES3_PKS3_PKT2_SC_S9_PKT4_PKT5_S7_PT6_21rocsparse_index_base_b
		.amdhsa_group_segment_fixed_size 0
		.amdhsa_private_segment_fixed_size 0
		.amdhsa_kernarg_size 120
		.amdhsa_user_sgpr_count 2
		.amdhsa_user_sgpr_dispatch_ptr 0
		.amdhsa_user_sgpr_queue_ptr 0
		.amdhsa_user_sgpr_kernarg_segment_ptr 1
		.amdhsa_user_sgpr_dispatch_id 0
		.amdhsa_user_sgpr_kernarg_preload_length 0
		.amdhsa_user_sgpr_kernarg_preload_offset 0
		.amdhsa_user_sgpr_private_segment_size 0
		.amdhsa_wavefront_size32 1
		.amdhsa_uses_dynamic_stack 0
		.amdhsa_enable_private_segment 0
		.amdhsa_system_sgpr_workgroup_id_x 1
		.amdhsa_system_sgpr_workgroup_id_y 0
		.amdhsa_system_sgpr_workgroup_id_z 0
		.amdhsa_system_sgpr_workgroup_info 0
		.amdhsa_system_vgpr_workitem_id 0
		.amdhsa_next_free_vgpr 144
		.amdhsa_next_free_sgpr 12
		.amdhsa_named_barrier_count 0
		.amdhsa_reserve_vcc 1
		.amdhsa_float_round_mode_32 0
		.amdhsa_float_round_mode_16_64 0
		.amdhsa_float_denorm_mode_32 3
		.amdhsa_float_denorm_mode_16_64 3
		.amdhsa_fp16_overflow 0
		.amdhsa_memory_ordered 1
		.amdhsa_forward_progress 1
		.amdhsa_inst_pref_size 62
		.amdhsa_round_robin_scheduling 0
		.amdhsa_exception_fp_ieee_invalid_op 0
		.amdhsa_exception_fp_denorm_src 0
		.amdhsa_exception_fp_ieee_div_zero 0
		.amdhsa_exception_fp_ieee_overflow 0
		.amdhsa_exception_fp_ieee_underflow 0
		.amdhsa_exception_fp_ieee_inexact 0
		.amdhsa_exception_int_div_zero 0
	.end_amdhsa_kernel
	.section	.text._ZN9rocsparseL18bsrxmvn_4x4_kernelILj128ELj16E21rocsparse_complex_numIdElldS2_S2_EEvT3_20rocsparse_direction_NS_24const_host_device_scalarIT1_EES3_PKS3_PKT2_SC_S9_PKT4_PKT5_S7_PT6_21rocsparse_index_base_b,"axG",@progbits,_ZN9rocsparseL18bsrxmvn_4x4_kernelILj128ELj16E21rocsparse_complex_numIdElldS2_S2_EEvT3_20rocsparse_direction_NS_24const_host_device_scalarIT1_EES3_PKS3_PKT2_SC_S9_PKT4_PKT5_S7_PT6_21rocsparse_index_base_b,comdat
.Lfunc_end147:
	.size	_ZN9rocsparseL18bsrxmvn_4x4_kernelILj128ELj16E21rocsparse_complex_numIdElldS2_S2_EEvT3_20rocsparse_direction_NS_24const_host_device_scalarIT1_EES3_PKS3_PKT2_SC_S9_PKT4_PKT5_S7_PT6_21rocsparse_index_base_b, .Lfunc_end147-_ZN9rocsparseL18bsrxmvn_4x4_kernelILj128ELj16E21rocsparse_complex_numIdElldS2_S2_EEvT3_20rocsparse_direction_NS_24const_host_device_scalarIT1_EES3_PKS3_PKT2_SC_S9_PKT4_PKT5_S7_PT6_21rocsparse_index_base_b
                                        ; -- End function
	.set _ZN9rocsparseL18bsrxmvn_4x4_kernelILj128ELj16E21rocsparse_complex_numIdElldS2_S2_EEvT3_20rocsparse_direction_NS_24const_host_device_scalarIT1_EES3_PKS3_PKT2_SC_S9_PKT4_PKT5_S7_PT6_21rocsparse_index_base_b.num_vgpr, 144
	.set _ZN9rocsparseL18bsrxmvn_4x4_kernelILj128ELj16E21rocsparse_complex_numIdElldS2_S2_EEvT3_20rocsparse_direction_NS_24const_host_device_scalarIT1_EES3_PKS3_PKT2_SC_S9_PKT4_PKT5_S7_PT6_21rocsparse_index_base_b.num_agpr, 0
	.set _ZN9rocsparseL18bsrxmvn_4x4_kernelILj128ELj16E21rocsparse_complex_numIdElldS2_S2_EEvT3_20rocsparse_direction_NS_24const_host_device_scalarIT1_EES3_PKS3_PKT2_SC_S9_PKT4_PKT5_S7_PT6_21rocsparse_index_base_b.numbered_sgpr, 12
	.set _ZN9rocsparseL18bsrxmvn_4x4_kernelILj128ELj16E21rocsparse_complex_numIdElldS2_S2_EEvT3_20rocsparse_direction_NS_24const_host_device_scalarIT1_EES3_PKS3_PKT2_SC_S9_PKT4_PKT5_S7_PT6_21rocsparse_index_base_b.num_named_barrier, 0
	.set _ZN9rocsparseL18bsrxmvn_4x4_kernelILj128ELj16E21rocsparse_complex_numIdElldS2_S2_EEvT3_20rocsparse_direction_NS_24const_host_device_scalarIT1_EES3_PKS3_PKT2_SC_S9_PKT4_PKT5_S7_PT6_21rocsparse_index_base_b.private_seg_size, 0
	.set _ZN9rocsparseL18bsrxmvn_4x4_kernelILj128ELj16E21rocsparse_complex_numIdElldS2_S2_EEvT3_20rocsparse_direction_NS_24const_host_device_scalarIT1_EES3_PKS3_PKT2_SC_S9_PKT4_PKT5_S7_PT6_21rocsparse_index_base_b.uses_vcc, 1
	.set _ZN9rocsparseL18bsrxmvn_4x4_kernelILj128ELj16E21rocsparse_complex_numIdElldS2_S2_EEvT3_20rocsparse_direction_NS_24const_host_device_scalarIT1_EES3_PKS3_PKT2_SC_S9_PKT4_PKT5_S7_PT6_21rocsparse_index_base_b.uses_flat_scratch, 0
	.set _ZN9rocsparseL18bsrxmvn_4x4_kernelILj128ELj16E21rocsparse_complex_numIdElldS2_S2_EEvT3_20rocsparse_direction_NS_24const_host_device_scalarIT1_EES3_PKS3_PKT2_SC_S9_PKT4_PKT5_S7_PT6_21rocsparse_index_base_b.has_dyn_sized_stack, 0
	.set _ZN9rocsparseL18bsrxmvn_4x4_kernelILj128ELj16E21rocsparse_complex_numIdElldS2_S2_EEvT3_20rocsparse_direction_NS_24const_host_device_scalarIT1_EES3_PKS3_PKT2_SC_S9_PKT4_PKT5_S7_PT6_21rocsparse_index_base_b.has_recursion, 0
	.set _ZN9rocsparseL18bsrxmvn_4x4_kernelILj128ELj16E21rocsparse_complex_numIdElldS2_S2_EEvT3_20rocsparse_direction_NS_24const_host_device_scalarIT1_EES3_PKS3_PKT2_SC_S9_PKT4_PKT5_S7_PT6_21rocsparse_index_base_b.has_indirect_call, 0
	.section	.AMDGPU.csdata,"",@progbits
; Kernel info:
; codeLenInByte = 7900
; TotalNumSgprs: 14
; NumVgprs: 144
; ScratchSize: 0
; MemoryBound: 0
; FloatMode: 240
; IeeeMode: 1
; LDSByteSize: 0 bytes/workgroup (compile time only)
; SGPRBlocks: 0
; VGPRBlocks: 8
; NumSGPRsForWavesPerEU: 14
; NumVGPRsForWavesPerEU: 144
; NamedBarCnt: 0
; Occupancy: 7
; WaveLimiterHint : 1
; COMPUTE_PGM_RSRC2:SCRATCH_EN: 0
; COMPUTE_PGM_RSRC2:USER_SGPR: 2
; COMPUTE_PGM_RSRC2:TRAP_HANDLER: 0
; COMPUTE_PGM_RSRC2:TGID_X_EN: 1
; COMPUTE_PGM_RSRC2:TGID_Y_EN: 0
; COMPUTE_PGM_RSRC2:TGID_Z_EN: 0
; COMPUTE_PGM_RSRC2:TIDIG_COMP_CNT: 0
	.section	.text._ZN9rocsparseL18bsrxmvn_4x4_kernelILj128ELj32E21rocsparse_complex_numIdElldS2_S2_EEvT3_20rocsparse_direction_NS_24const_host_device_scalarIT1_EES3_PKS3_PKT2_SC_S9_PKT4_PKT5_S7_PT6_21rocsparse_index_base_b,"axG",@progbits,_ZN9rocsparseL18bsrxmvn_4x4_kernelILj128ELj32E21rocsparse_complex_numIdElldS2_S2_EEvT3_20rocsparse_direction_NS_24const_host_device_scalarIT1_EES3_PKS3_PKT2_SC_S9_PKT4_PKT5_S7_PT6_21rocsparse_index_base_b,comdat
	.globl	_ZN9rocsparseL18bsrxmvn_4x4_kernelILj128ELj32E21rocsparse_complex_numIdElldS2_S2_EEvT3_20rocsparse_direction_NS_24const_host_device_scalarIT1_EES3_PKS3_PKT2_SC_S9_PKT4_PKT5_S7_PT6_21rocsparse_index_base_b ; -- Begin function _ZN9rocsparseL18bsrxmvn_4x4_kernelILj128ELj32E21rocsparse_complex_numIdElldS2_S2_EEvT3_20rocsparse_direction_NS_24const_host_device_scalarIT1_EES3_PKS3_PKT2_SC_S9_PKT4_PKT5_S7_PT6_21rocsparse_index_base_b
	.p2align	8
	.type	_ZN9rocsparseL18bsrxmvn_4x4_kernelILj128ELj32E21rocsparse_complex_numIdElldS2_S2_EEvT3_20rocsparse_direction_NS_24const_host_device_scalarIT1_EES3_PKS3_PKT2_SC_S9_PKT4_PKT5_S7_PT6_21rocsparse_index_base_b,@function
_ZN9rocsparseL18bsrxmvn_4x4_kernelILj128ELj32E21rocsparse_complex_numIdElldS2_S2_EEvT3_20rocsparse_direction_NS_24const_host_device_scalarIT1_EES3_PKS3_PKT2_SC_S9_PKT4_PKT5_S7_PT6_21rocsparse_index_base_b: ; @_ZN9rocsparseL18bsrxmvn_4x4_kernelILj128ELj32E21rocsparse_complex_numIdElldS2_S2_EEvT3_20rocsparse_direction_NS_24const_host_device_scalarIT1_EES3_PKS3_PKT2_SC_S9_PKT4_PKT5_S7_PT6_21rocsparse_index_base_b
; %bb.0:
	s_clause 0x1
	s_load_b64 s[4:5], s[0:1], 0x70
	s_load_b64 s[2:3], s[0:1], 0x10
	v_mov_b32_e32 v1, 0
	s_add_nc_u64 s[6:7], s[0:1], 16
	s_load_b64 s[8:9], s[0:1], 0x58
	s_wait_kmcnt 0x0
	s_bitcmp1_b32 s5, 0
	s_cselect_b32 s3, s7, s3
	s_cselect_b32 s2, s6, s2
	flat_load_b128 v[6:9], v1, s[2:3]
	s_wait_xcnt 0x0
	s_add_nc_u64 s[2:3], s[0:1], 0x58
	s_delay_alu instid0(SALU_CYCLE_1)
	s_cselect_b32 s3, s3, s9
	s_cselect_b32 s2, s2, s8
	flat_load_b128 v[2:5], v1, s[2:3]
	s_wait_loadcnt_dscnt 0x101
	v_cmp_eq_f64_e32 vcc_lo, 0, v[6:7]
	s_wait_xcnt 0x0
	v_cmp_eq_f64_e64 s2, 0, v[8:9]
	s_and_b32 s5, vcc_lo, s2
	s_mov_b32 s2, -1
	s_and_saveexec_b32 s3, s5
	s_cbranch_execz .LBB148_2
; %bb.1:
	s_wait_loadcnt_dscnt 0x0
	v_cmp_neq_f64_e32 vcc_lo, 1.0, v[2:3]
	v_cmp_neq_f64_e64 s2, 0, v[4:5]
	s_or_b32 s2, vcc_lo, s2
	s_delay_alu instid0(SALU_CYCLE_1)
	s_or_not1_b32 s2, s2, exec_lo
.LBB148_2:
	s_or_b32 exec_lo, exec_lo, s3
	s_and_saveexec_b32 s3, s2
	s_cbranch_execz .LBB148_8
; %bb.3:
	s_load_b64 s[2:3], s[0:1], 0x28
	s_bfe_u32 s5, ttmp6, 0x4000c
	s_and_b32 s6, ttmp6, 15
	s_add_co_i32 s5, s5, 1
	s_getreg_b32 s7, hwreg(HW_REG_IB_STS2, 6, 4)
	s_mul_i32 s5, ttmp9, s5
	v_dual_lshrrev_b32 v1, 5, v0 :: v_dual_mov_b32 v11, 0
	s_add_co_i32 s6, s6, s5
	s_cmp_eq_u32 s7, 0
	s_cselect_b32 s5, ttmp9, s6
	s_mov_b32 s6, 0
	v_lshl_or_b32 v10, s5, 2, v1
	s_wait_kmcnt 0x0
	s_cmp_lg_u64 s[2:3], 0
	s_cbranch_scc0 .LBB148_9
; %bb.4:
	s_load_b64 s[6:7], s[0:1], 0x20
                                        ; implicit-def: $vgpr26_vgpr27
                                        ; implicit-def: $vgpr28_vgpr29
	s_wait_kmcnt 0x0
	v_cmp_gt_i64_e32 vcc_lo, s[6:7], v[10:11]
	s_mov_b32 s7, 0
	s_mov_b32 s6, 0
	s_and_saveexec_b32 s5, vcc_lo
	s_delay_alu instid0(SALU_CYCLE_1)
	s_xor_b32 s8, exec_lo, s5
	s_cbranch_execz .LBB148_6
; %bb.5:
	v_lshl_add_u64 v[12:13], v[10:11], 3, s[2:3]
	s_mov_b32 s5, 0
	s_mov_b32 s6, exec_lo
	v_mov_b64_e32 v[28:29], s[4:5]
	global_load_b64 v[12:13], v[12:13], off
	s_wait_loadcnt 0x0
	v_sub_nc_u64_e64 v[26:27], v[12:13], s[4:5]
.LBB148_6:
	s_or_b32 exec_lo, exec_lo, s8
	s_delay_alu instid0(SALU_CYCLE_1)
	s_and_b32 vcc_lo, exec_lo, s7
	s_cbranch_vccnz .LBB148_10
.LBB148_7:
	s_and_b32 exec_lo, exec_lo, s6
	s_cbranch_execnz .LBB148_13
.LBB148_8:
	s_sendmsg sendmsg(MSG_DEALLOC_VGPRS)
	s_endpgm
.LBB148_9:
                                        ; implicit-def: $vgpr26_vgpr27
                                        ; implicit-def: $vgpr28_vgpr29
	s_cbranch_execz .LBB148_7
.LBB148_10:
	s_load_b64 s[2:3], s[0:1], 0x0
	s_wait_kmcnt 0x0
	v_cmp_gt_i64_e32 vcc_lo, s[2:3], v[10:11]
	s_and_saveexec_b32 s2, vcc_lo
; %bb.11:
	s_mov_b32 s5, 0
	s_or_b32 s6, s6, exec_lo
; %bb.12:
	s_or_b32 exec_lo, exec_lo, s2
	v_mov_b64_e32 v[28:29], s[4:5]
	v_mov_b64_e32 v[26:27], v[10:11]
	s_and_b32 exec_lo, exec_lo, s6
	s_cbranch_execz .LBB148_8
.LBB148_13:
	s_load_b256 s[4:11], s[0:1], 0x30
	s_delay_alu instid0(VALU_DEP_1) | instskip(SKIP_3) | instid1(VALU_DEP_2)
	v_lshlrev_b64_e32 v[10:11], 3, v[26:27]
	v_dual_mov_b32 v1, 0 :: v_dual_bitop2_b32 v0, 31, v0 bitop3:0x40
	s_load_b32 s3, s[0:1], 0x8
	s_wait_kmcnt 0x0
	v_add_nc_u64_e32 v[12:13], s[4:5], v[10:11]
	v_add_nc_u64_e32 v[10:11], s[6:7], v[10:11]
	s_cmp_eq_u64 s[6:7], 0
	s_load_b64 s[4:5], s[0:1], 0x50
	s_cselect_b32 vcc_lo, -1, 0
	s_cmp_eq_u32 s3, 1
	global_load_b64 v[36:37], v[12:13], off
	s_wait_xcnt 0x0
	v_add_nc_u64_e32 v[12:13], 8, v[12:13]
	s_delay_alu instid0(VALU_DEP_1) | instskip(SKIP_3) | instid1(VALU_DEP_1)
	v_dual_cndmask_b32 v11, v11, v13 :: v_dual_cndmask_b32 v10, v10, v12
	global_load_b64 v[10:11], v[10:11], off
	s_wait_loadcnt 0x1
	v_sub_nc_u64_e32 v[12:13], v[36:37], v[28:29]
	v_add_nc_u64_e32 v[30:31], v[12:13], v[0:1]
	s_wait_loadcnt 0x0
	v_sub_nc_u64_e32 v[32:33], v[10:11], v[28:29]
	s_delay_alu instid0(VALU_DEP_2) | instskip(NEXT) | instid1(VALU_DEP_2)
	v_lshlrev_b64_e32 v[12:13], 7, v[30:31]
	v_cmp_lt_i64_e64 s2, v[30:31], v[32:33]
	s_delay_alu instid0(VALU_DEP_2)
	v_add_nc_u64_e32 v[34:35], s[10:11], v[12:13]
	s_cbranch_scc1 .LBB148_25
; %bb.14:
	v_mov_b64_e32 v[10:11], 0
	v_mov_b64_e32 v[14:15], 0
	;; [unrolled: 1-line block ×8, first 2 shown]
	s_and_saveexec_b32 s3, s2
	s_cbranch_execz .LBB148_24
; %bb.15:
	v_dual_mov_b32 v11, v1 :: v_dual_bitop2_b32 v10, 32, v0 bitop3:0x54
	v_sub_nc_u64_e32 v[12:13], v[28:29], v[0:1]
	v_not_b32_e32 v15, v37
	v_not_b32_e32 v14, v36
	v_mov_b64_e32 v[22:23], 0
	v_sub_nc_u64_e32 v[10:11], v[10:11], v[28:29]
	v_mov_b64_e32 v[24:25], 0
	v_mov_b64_e32 v[20:21], 0
	v_add_nc_u64_e32 v[12:13], v[12:13], v[14:15]
	v_mov_b64_e32 v[18:19], 0
	v_mov_b64_e32 v[16:17], 0
	;; [unrolled: 1-line block ×3, first 2 shown]
	v_add_nc_u64_e32 v[10:11], v[10:11], v[36:37]
	v_mov_b64_e32 v[38:39], v[34:35]
	v_mov_b64_e32 v[40:41], v[30:31]
	v_mov_b32_e32 v47, 0
	s_mov_b32 s6, exec_lo
	s_delay_alu instid0(VALU_DEP_4) | instskip(NEXT) | instid1(VALU_DEP_1)
	v_max_i64 v[10:11], v[10:11], v[32:33]
	v_add_nc_u64_e32 v[42:43], v[12:13], v[10:11]
	v_mov_b64_e32 v[12:13], 0
	v_mov_b64_e32 v[10:11], 0
	s_delay_alu instid0(VALU_DEP_3) | instskip(NEXT) | instid1(VALU_DEP_1)
	v_and_b32_e32 v46, 0x60, v42
	v_cmpx_ne_u64_e32 0x60, v[46:47]
	s_cbranch_execz .LBB148_19
; %bb.16:
	v_lshrrev_b32_e32 v10, 5, v42
	v_mov_b64_e32 v[14:15], 0
	v_mov_b64_e32 v[16:17], 0
	;; [unrolled: 1-line block ×4, first 2 shown]
	v_add_nc_u32_e32 v12, 1, v10
	v_mov_b64_e32 v[10:11], 0
	v_mov_b64_e32 v[24:25], 0
	;; [unrolled: 1-line block ×4, first 2 shown]
	v_and_b32_e32 v46, 3, v12
	v_mov_b64_e32 v[12:13], 0
	v_mov_b64_e32 v[38:39], v[34:35]
	v_lshl_add_u64 v[44:45], v[30:31], 3, s[8:9]
	s_mov_b32 s7, 0
	v_sub_nc_u64_e32 v[46:47], 0, v[46:47]
.LBB148_17:                             ; =>This Inner Loop Header: Depth=1
	global_load_b64 v[76:77], v[44:45], off
	s_clause 0x6
	global_load_b128 v[48:51], v[38:39], off offset:48
	global_load_b128 v[52:55], v[38:39], off offset:32
	;; [unrolled: 1-line block ×3, first 2 shown]
	global_load_b128 v[60:63], v[38:39], off
	global_load_b128 v[64:67], v[38:39], off offset:112
	global_load_b128 v[68:71], v[38:39], off offset:96
	;; [unrolled: 1-line block ×3, first 2 shown]
	v_add_nc_u64_e32 v[46:47], 1, v[46:47]
	v_add_nc_u64_e32 v[40:41], 32, v[40:41]
	s_wait_xcnt 0x7
	v_add_nc_u64_e32 v[44:45], 0x100, v[44:45]
	s_delay_alu instid0(VALU_DEP_3) | instskip(SKIP_3) | instid1(VALU_DEP_1)
	v_cmp_eq_u64_e32 vcc_lo, 0, v[46:47]
	s_or_b32 s7, vcc_lo, s7
	s_wait_loadcnt 0x7
	v_sub_nc_u64_e32 v[76:77], v[76:77], v[28:29]
	v_lshlrev_b64_e32 v[76:77], 6, v[76:77]
	s_wait_kmcnt 0x0
	s_delay_alu instid0(VALU_DEP_1)
	v_add_nc_u64_e32 v[96:97], s[4:5], v[76:77]
	s_clause 0x1
	global_load_b128 v[76:79], v[96:97], off
	global_load_b128 v[80:83], v[96:97], off offset:16
	global_load_b128 v[84:87], v[38:39], off offset:80
	s_clause 0x1
	global_load_b128 v[88:91], v[96:97], off offset:32
	global_load_b128 v[92:95], v[96:97], off offset:48
	s_wait_xcnt 0x2
	v_add_nc_u64_e32 v[38:39], 0x1000, v[38:39]
	s_wait_loadcnt 0x4
	v_fmac_f64_e32 v[14:15], v[60:61], v[76:77]
	v_fmac_f64_e32 v[10:11], 0, v[76:77]
	v_fmac_f64_e32 v[18:19], v[52:53], v[76:77]
	v_fmac_f64_e32 v[16:17], 0, v[76:77]
	v_fmac_f64_e32 v[24:25], v[72:73], v[76:77]
	v_fmac_f64_e32 v[20:21], 0, v[76:77]
	v_fmac_f64_e32 v[12:13], v[68:69], v[76:77]
	v_fmac_f64_e32 v[22:23], 0, v[76:77]
	v_fmac_f64_e32 v[14:15], 0x80000000, v[78:79]
	v_fmac_f64_e32 v[10:11], v[60:61], v[78:79]
	v_fmac_f64_e32 v[18:19], 0x80000000, v[78:79]
	v_fmac_f64_e32 v[16:17], v[52:53], v[78:79]
	v_fmac_f64_e32 v[24:25], 0x80000000, v[78:79]
	v_fmac_f64_e32 v[20:21], v[72:73], v[78:79]
	v_fmac_f64_e32 v[12:13], 0x80000000, v[78:79]
	v_fmac_f64_e32 v[22:23], v[68:69], v[78:79]
	s_wait_loadcnt 0x3
	v_fmac_f64_e32 v[14:15], v[62:63], v[80:81]
	v_fmac_f64_e32 v[10:11], 0, v[80:81]
	v_fmac_f64_e32 v[18:19], v[54:55], v[80:81]
	v_fmac_f64_e32 v[16:17], 0, v[80:81]
	v_fmac_f64_e32 v[24:25], v[74:75], v[80:81]
	v_fmac_f64_e32 v[20:21], 0, v[80:81]
	v_fmac_f64_e32 v[12:13], v[70:71], v[80:81]
	v_fmac_f64_e32 v[22:23], 0, v[80:81]
	v_fmac_f64_e32 v[14:15], 0x80000000, v[82:83]
	v_fmac_f64_e32 v[10:11], v[62:63], v[82:83]
	v_fmac_f64_e32 v[18:19], 0x80000000, v[82:83]
	v_fmac_f64_e32 v[16:17], v[54:55], v[82:83]
	v_fmac_f64_e32 v[24:25], 0x80000000, v[82:83]
	v_fmac_f64_e32 v[20:21], v[74:75], v[82:83]
	v_fmac_f64_e32 v[12:13], 0x80000000, v[82:83]
	v_fmac_f64_e32 v[22:23], v[70:71], v[82:83]
	s_wait_loadcnt 0x1
	v_fmac_f64_e32 v[14:15], v[56:57], v[88:89]
	v_fmac_f64_e32 v[10:11], 0, v[88:89]
	v_fmac_f64_e32 v[18:19], v[48:49], v[88:89]
	v_fmac_f64_e32 v[16:17], 0, v[88:89]
	v_fmac_f64_e32 v[24:25], v[84:85], v[88:89]
	v_fmac_f64_e32 v[20:21], 0, v[88:89]
	v_fmac_f64_e32 v[12:13], v[64:65], v[88:89]
	v_fmac_f64_e32 v[22:23], 0, v[88:89]
	v_fmac_f64_e32 v[14:15], 0x80000000, v[90:91]
	v_fmac_f64_e32 v[10:11], v[56:57], v[90:91]
	v_fmac_f64_e32 v[18:19], 0x80000000, v[90:91]
	v_fmac_f64_e32 v[16:17], v[48:49], v[90:91]
	v_fmac_f64_e32 v[24:25], 0x80000000, v[90:91]
	v_fmac_f64_e32 v[20:21], v[84:85], v[90:91]
	v_fmac_f64_e32 v[12:13], 0x80000000, v[90:91]
	v_fmac_f64_e32 v[22:23], v[64:65], v[90:91]
	s_wait_loadcnt 0x0
	v_fmac_f64_e32 v[14:15], v[58:59], v[92:93]
	v_fmac_f64_e32 v[10:11], 0, v[92:93]
	v_fmac_f64_e32 v[18:19], v[50:51], v[92:93]
	v_fmac_f64_e32 v[16:17], 0, v[92:93]
	v_fmac_f64_e32 v[24:25], v[86:87], v[92:93]
	v_fmac_f64_e32 v[20:21], 0, v[92:93]
	v_fmac_f64_e32 v[12:13], v[66:67], v[92:93]
	v_fmac_f64_e32 v[22:23], 0, v[92:93]
	v_fmac_f64_e32 v[14:15], 0x80000000, v[94:95]
	v_fmac_f64_e32 v[10:11], v[58:59], v[94:95]
	v_fmac_f64_e32 v[18:19], 0x80000000, v[94:95]
	v_fmac_f64_e32 v[16:17], v[50:51], v[94:95]
	v_fmac_f64_e32 v[24:25], 0x80000000, v[94:95]
	v_fmac_f64_e32 v[20:21], v[86:87], v[94:95]
	v_fmac_f64_e32 v[12:13], 0x80000000, v[94:95]
	v_fmac_f64_e32 v[22:23], v[66:67], v[94:95]
	s_and_not1_b32 exec_lo, exec_lo, s7
	s_cbranch_execnz .LBB148_17
; %bb.18:
	s_or_b32 exec_lo, exec_lo, s7
.LBB148_19:
	s_delay_alu instid0(SALU_CYCLE_1) | instskip(NEXT) | instid1(SALU_CYCLE_1)
	s_or_b32 exec_lo, exec_lo, s6
	s_mov_b32 s6, exec_lo
	v_cmpx_lt_u64_e32 0x5f, v[42:43]
	s_cbranch_execz .LBB148_23
; %bb.20:
	v_lshl_add_u64 v[42:43], v[40:41], 3, s[8:9]
	s_mov_b32 s7, 0
	s_delay_alu instid0(VALU_DEP_1)
	v_add_nc_u64_e32 v[42:43], 0x200, v[42:43]
.LBB148_21:                             ; =>This Inner Loop Header: Depth=1
	global_load_b64 v[124:125], v[42:43], off offset:-512
	s_clause 0xf
	global_load_b128 v[44:47], v[38:39], off offset:48
	global_load_b128 v[48:51], v[38:39], off offset:32
	;; [unrolled: 1-line block ×3, first 2 shown]
	global_load_b128 v[56:59], v[38:39], off
	global_load_b128 v[60:63], v[38:39], off offset:112
	global_load_b128 v[64:67], v[38:39], off offset:96
	;; [unrolled: 1-line block ×12, first 2 shown]
	s_clause 0x2
	global_load_b64 v[136:137], v[42:43], off offset:-256
	global_load_b64 v[138:139], v[42:43], off
	global_load_b64 v[140:141], v[42:43], off offset:256
	s_clause 0x3
	global_load_b128 v[108:111], v[38:39], off offset:8240
	global_load_b128 v[112:115], v[38:39], off offset:8224
	;; [unrolled: 1-line block ×4, first 2 shown]
	v_add_nc_u64_e32 v[40:41], 0x80, v[40:41]
	s_wait_xcnt 0x4
	v_add_nc_u64_e32 v[42:43], 0x400, v[42:43]
	s_delay_alu instid0(VALU_DEP_2) | instskip(SKIP_3) | instid1(VALU_DEP_1)
	v_cmp_ge_i64_e32 vcc_lo, v[40:41], v[32:33]
	s_or_b32 s7, vcc_lo, s7
	s_wait_loadcnt 0x17
	v_sub_nc_u64_e32 v[124:125], v[124:125], v[28:29]
	v_lshlrev_b64_e32 v[124:125], 6, v[124:125]
	s_wait_kmcnt 0x0
	s_delay_alu instid0(VALU_DEP_1)
	v_add_nc_u64_e32 v[142:143], s[4:5], v[124:125]
	s_clause 0x1
	global_load_b128 v[124:127], v[142:143], off
	global_load_b128 v[128:131], v[142:143], off offset:16
	s_wait_loadcnt 0x1
	v_fmac_f64_e32 v[14:15], v[56:57], v[124:125]
	v_fmac_f64_e32 v[10:11], 0, v[124:125]
	;; [unrolled: 1-line block ×16, first 2 shown]
	s_clause 0x1
	global_load_b128 v[124:127], v[142:143], off offset:32
	global_load_b128 v[132:135], v[142:143], off offset:48
	v_sub_nc_u64_e32 v[48:49], v[136:137], v[28:29]
	s_delay_alu instid0(VALU_DEP_1) | instskip(NEXT) | instid1(VALU_DEP_1)
	v_lshlrev_b64_e32 v[48:49], 6, v[48:49]
	v_add_nc_u64_e32 v[136:137], s[4:5], v[48:49]
	s_wait_loadcnt 0x2
	v_fmac_f64_e32 v[14:15], v[58:59], v[128:129]
	v_fmac_f64_e32 v[10:11], 0, v[128:129]
	;; [unrolled: 1-line block ×12, first 2 shown]
	global_load_b128 v[48:51], v[136:137], off
	v_fmac_f64_e32 v[20:21], v[74:75], v[130:131]
	v_fmac_f64_e32 v[24:25], 0x80000000, v[130:131]
	;; [unrolled: 1-line block ×3, first 2 shown]
	global_load_b128 v[64:67], v[136:137], off offset:16
	v_fmac_f64_e32 v[12:13], 0x80000000, v[130:131]
	global_load_b128 v[128:131], v[136:137], off offset:32
	s_clause 0x1
	global_load_b128 v[56:59], v[38:39], off offset:8304
	global_load_b128 v[72:75], v[38:39], off offset:8288
	s_wait_loadcnt 0x6
	v_fmac_f64_e32 v[10:11], 0, v[124:125]
	v_fmac_f64_e32 v[14:15], v[52:53], v[124:125]
	;; [unrolled: 1-line block ×16, first 2 shown]
	v_sub_nc_u64_e32 v[60:61], v[138:139], v[28:29]
	global_load_b128 v[124:127], v[38:39], off offset:8272
	v_lshlrev_b64_e32 v[60:61], 6, v[60:61]
	s_wait_loadcnt 0x6
	v_fmac_f64_e32 v[10:11], 0, v[132:133]
	v_fmac_f64_e32 v[14:15], v[54:55], v[132:133]
	;; [unrolled: 1-line block ×9, first 2 shown]
	global_load_b128 v[52:55], v[136:137], off offset:48
	s_wait_xcnt 0x0
	v_add_nc_u64_e32 v[136:137], s[4:5], v[60:61]
	v_fmac_f64_e32 v[16:17], v[46:47], v[134:135]
	global_load_b128 v[44:47], v[38:39], off offset:8256
	v_fmac_f64_e32 v[20:21], v[70:71], v[134:135]
	v_fmac_f64_e32 v[14:15], 0x80000000, v[134:135]
	;; [unrolled: 1-line block ×4, first 2 shown]
	global_load_b128 v[68:71], v[136:137], off
	v_fmac_f64_e32 v[12:13], 0x80000000, v[134:135]
	v_fmac_f64_e32 v[22:23], v[62:63], v[134:135]
	global_load_b128 v[60:63], v[136:137], off offset:16
	s_wait_loadcnt 0x9
	v_fmac_f64_e32 v[10:11], 0, v[48:49]
	v_fmac_f64_e32 v[16:17], 0, v[48:49]
	;; [unrolled: 1-line block ×16, first 2 shown]
	global_load_b128 v[48:51], v[136:137], off offset:32
	s_wait_loadcnt 0x9
	v_fmac_f64_e32 v[10:11], 0, v[64:65]
	v_fmac_f64_e32 v[16:17], 0, v[64:65]
	;; [unrolled: 1-line block ×16, first 2 shown]
	global_load_b128 v[64:67], v[136:137], off offset:48
	s_clause 0x3
	global_load_b128 v[80:83], v[38:39], off offset:12336
	global_load_b128 v[88:91], v[38:39], off offset:12320
	;; [unrolled: 1-line block ×4, first 2 shown]
	s_wait_loadcnt 0xd
	v_fmac_f64_e32 v[10:11], 0, v[128:129]
	v_fmac_f64_e32 v[16:17], 0, v[128:129]
	;; [unrolled: 1-line block ×10, first 2 shown]
	v_sub_nc_u64_e32 v[76:77], v[140:141], v[28:29]
	v_fmac_f64_e32 v[20:21], v[100:101], v[130:131]
	v_fmac_f64_e32 v[14:15], 0x80000000, v[130:131]
	;; [unrolled: 1-line block ×6, first 2 shown]
	v_lshlrev_b64_e32 v[76:77], 6, v[76:77]
	s_clause 0x1
	global_load_b128 v[128:131], v[38:39], off offset:12384
	global_load_b128 v[132:135], v[38:39], off offset:12352
	v_add_nc_u64_e32 v[92:93], s[4:5], v[76:77]
	global_load_b128 v[136:139], v[92:93], off
	s_wait_loadcnt 0xc
	v_fmac_f64_e32 v[14:15], v[86:87], v[52:53]
	v_fmac_f64_e32 v[10:11], 0, v[52:53]
	;; [unrolled: 1-line block ×16, first 2 shown]
	global_load_b128 v[52:55], v[92:93], off offset:16
	s_wait_loadcnt 0xb
	v_fmac_f64_e32 v[14:15], v[120:121], v[68:69]
	v_fmac_f64_e32 v[10:11], 0, v[68:69]
	v_fmac_f64_e32 v[18:19], v[112:113], v[68:69]
	v_fmac_f64_e32 v[16:17], 0, v[68:69]
	v_fmac_f64_e32 v[24:25], v[44:45], v[68:69]
	v_fmac_f64_e32 v[20:21], 0, v[68:69]
	v_fmac_f64_e32 v[12:13], v[72:73], v[68:69]
	v_fmac_f64_e32 v[22:23], 0, v[68:69]
	v_fmac_f64_e32 v[14:15], 0x80000000, v[70:71]
	v_fmac_f64_e32 v[10:11], v[120:121], v[70:71]
	v_fmac_f64_e32 v[18:19], 0x80000000, v[70:71]
	v_fmac_f64_e32 v[16:17], v[112:113], v[70:71]
	v_fmac_f64_e32 v[24:25], 0x80000000, v[70:71]
	v_fmac_f64_e32 v[20:21], v[44:45], v[70:71]
	v_fmac_f64_e32 v[12:13], 0x80000000, v[70:71]
	v_fmac_f64_e32 v[22:23], v[72:73], v[70:71]
	s_clause 0x1
	global_load_b128 v[68:71], v[38:39], off offset:12400
	global_load_b128 v[76:79], v[38:39], off offset:12368
	;; [unrolled: 1-line block ×3, first 2 shown]
	s_wait_xcnt 0x1
	v_add_nc_u64_e32 v[38:39], 0x4000, v[38:39]
	s_wait_loadcnt 0xd
	v_fmac_f64_e32 v[14:15], v[122:123], v[60:61]
	v_fmac_f64_e32 v[10:11], 0, v[60:61]
	;; [unrolled: 1-line block ×16, first 2 shown]
	global_load_b128 v[44:47], v[92:93], off offset:48
	s_wait_loadcnt 0xd
	v_fmac_f64_e32 v[14:15], v[116:117], v[48:49]
	v_fmac_f64_e32 v[10:11], 0, v[48:49]
	v_fmac_f64_e32 v[18:19], v[108:109], v[48:49]
	v_fmac_f64_e32 v[16:17], 0, v[48:49]
	v_fmac_f64_e32 v[24:25], v[124:125], v[48:49]
	v_fmac_f64_e32 v[20:21], 0, v[48:49]
	v_fmac_f64_e32 v[12:13], v[56:57], v[48:49]
	v_fmac_f64_e32 v[22:23], 0, v[48:49]
	v_fmac_f64_e32 v[14:15], 0x80000000, v[50:51]
	v_fmac_f64_e32 v[10:11], v[116:117], v[50:51]
	v_fmac_f64_e32 v[18:19], 0x80000000, v[50:51]
	v_fmac_f64_e32 v[16:17], v[108:109], v[50:51]
	v_fmac_f64_e32 v[24:25], 0x80000000, v[50:51]
	v_fmac_f64_e32 v[20:21], v[124:125], v[50:51]
	v_fmac_f64_e32 v[12:13], 0x80000000, v[50:51]
	v_fmac_f64_e32 v[22:23], v[56:57], v[50:51]
	s_wait_loadcnt 0xc
	v_fmac_f64_e32 v[14:15], v[118:119], v[64:65]
	v_fmac_f64_e32 v[10:11], 0, v[64:65]
	v_fmac_f64_e32 v[18:19], v[110:111], v[64:65]
	v_fmac_f64_e32 v[16:17], 0, v[64:65]
	v_fmac_f64_e32 v[24:25], v[126:127], v[64:65]
	v_fmac_f64_e32 v[20:21], 0, v[64:65]
	v_fmac_f64_e32 v[12:13], v[58:59], v[64:65]
	v_fmac_f64_e32 v[22:23], 0, v[64:65]
	v_fmac_f64_e32 v[14:15], 0x80000000, v[66:67]
	v_fmac_f64_e32 v[10:11], v[118:119], v[66:67]
	v_fmac_f64_e32 v[18:19], 0x80000000, v[66:67]
	v_fmac_f64_e32 v[16:17], v[110:111], v[66:67]
	v_fmac_f64_e32 v[24:25], 0x80000000, v[66:67]
	v_fmac_f64_e32 v[20:21], v[126:127], v[66:67]
	v_fmac_f64_e32 v[12:13], 0x80000000, v[66:67]
	v_fmac_f64_e32 v[22:23], v[58:59], v[66:67]
	;; [unrolled: 17-line block ×6, first 2 shown]
	s_and_not1_b32 exec_lo, exec_lo, s7
	s_cbranch_execnz .LBB148_21
; %bb.22:
	s_or_b32 exec_lo, exec_lo, s7
.LBB148_23:
	s_delay_alu instid0(SALU_CYCLE_1)
	s_or_b32 exec_lo, exec_lo, s6
.LBB148_24:
	s_delay_alu instid0(SALU_CYCLE_1)
	s_or_b32 exec_lo, exec_lo, s3
	s_cbranch_execz .LBB148_26
	s_branch .LBB148_37
.LBB148_25:
                                        ; implicit-def: $vgpr10_vgpr11
                                        ; implicit-def: $vgpr14_vgpr15
                                        ; implicit-def: $vgpr16_vgpr17
                                        ; implicit-def: $vgpr18_vgpr19
                                        ; implicit-def: $vgpr20_vgpr21
                                        ; implicit-def: $vgpr24_vgpr25
                                        ; implicit-def: $vgpr22_vgpr23
                                        ; implicit-def: $vgpr12_vgpr13
.LBB148_26:
	v_mov_b64_e32 v[10:11], 0
	v_mov_b64_e32 v[14:15], 0
	;; [unrolled: 1-line block ×8, first 2 shown]
	s_and_saveexec_b32 s3, s2
	s_cbranch_execz .LBB148_36
; %bb.27:
	v_dual_mov_b32 v11, v1 :: v_dual_bitop2_b32 v10, 32, v0 bitop3:0x54
	v_sub_nc_u64_e32 v[12:13], v[28:29], v[0:1]
	v_not_b32_e32 v15, v37
	v_not_b32_e32 v14, v36
	v_mov_b64_e32 v[22:23], 0
	v_sub_nc_u64_e32 v[10:11], v[10:11], v[28:29]
	v_mov_b64_e32 v[24:25], 0
	v_mov_b64_e32 v[20:21], 0
	v_add_nc_u64_e32 v[12:13], v[12:13], v[14:15]
	v_mov_b64_e32 v[18:19], 0
	v_mov_b64_e32 v[16:17], 0
	;; [unrolled: 1-line block ×3, first 2 shown]
	v_add_nc_u64_e32 v[10:11], v[10:11], v[36:37]
	v_mov_b32_e32 v39, 0
	s_mov_b32 s2, exec_lo
	s_delay_alu instid0(VALU_DEP_2) | instskip(NEXT) | instid1(VALU_DEP_1)
	v_max_i64 v[10:11], v[10:11], v[32:33]
	v_add_nc_u64_e32 v[36:37], v[12:13], v[10:11]
	v_mov_b64_e32 v[12:13], 0
	v_mov_b64_e32 v[10:11], 0
	s_delay_alu instid0(VALU_DEP_3) | instskip(NEXT) | instid1(VALU_DEP_1)
	v_and_b32_e32 v38, 0x60, v36
	v_cmpx_ne_u64_e32 0x60, v[38:39]
	s_cbranch_execz .LBB148_31
; %bb.28:
	v_lshrrev_b32_e32 v1, 5, v36
	v_mov_b64_e32 v[10:11], 0
	v_mov_b64_e32 v[14:15], 0
	;; [unrolled: 1-line block ×4, first 2 shown]
	v_add_nc_u32_e32 v1, 1, v1
	v_mov_b64_e32 v[20:21], 0
	v_mov_b64_e32 v[24:25], 0
	v_mov_b64_e32 v[22:23], 0
	v_mov_b64_e32 v[12:13], 0
	v_and_b32_e32 v38, 3, v1
	v_lshl_add_u64 v[40:41], v[30:31], 3, s[8:9]
	s_mov_b32 s6, 0
	s_delay_alu instid0(VALU_DEP_2)
	v_sub_nc_u64_e32 v[38:39], 0, v[38:39]
.LBB148_29:                             ; =>This Inner Loop Header: Depth=1
	global_load_b64 v[50:51], v[40:41], off
	s_clause 0x1
	global_load_b128 v[42:45], v[34:35], off offset:16
	global_load_b128 v[46:49], v[34:35], off
	v_add_nc_u64_e32 v[38:39], 1, v[38:39]
	v_add_nc_u64_e32 v[30:31], 32, v[30:31]
	s_wait_xcnt 0x2
	v_add_nc_u64_e32 v[40:41], 0x100, v[40:41]
	s_delay_alu instid0(VALU_DEP_3) | instskip(SKIP_3) | instid1(VALU_DEP_1)
	v_cmp_eq_u64_e32 vcc_lo, 0, v[38:39]
	s_or_b32 s6, vcc_lo, s6
	s_wait_loadcnt 0x2
	v_sub_nc_u64_e32 v[50:51], v[50:51], v[28:29]
	v_lshlrev_b64_e32 v[50:51], 6, v[50:51]
	s_wait_kmcnt 0x0
	s_delay_alu instid0(VALU_DEP_1)
	v_add_nc_u64_e32 v[90:91], s[4:5], v[50:51]
	s_clause 0x1
	global_load_b128 v[50:53], v[90:91], off
	global_load_b128 v[54:57], v[90:91], off offset:16
	s_clause 0x3
	global_load_b128 v[58:61], v[34:35], off offset:32
	global_load_b128 v[62:65], v[34:35], off offset:48
	;; [unrolled: 1-line block ×4, first 2 shown]
	s_clause 0x1
	global_load_b128 v[74:77], v[90:91], off offset:32
	global_load_b128 v[78:81], v[90:91], off offset:48
	s_clause 0x1
	global_load_b128 v[82:85], v[34:35], off offset:96
	global_load_b128 v[86:89], v[34:35], off offset:112
	s_wait_xcnt 0x0
	v_add_nc_u64_e32 v[34:35], 0x1000, v[34:35]
	s_wait_loadcnt 0x9
	v_fmac_f64_e32 v[14:15], v[46:47], v[50:51]
	v_fmac_f64_e32 v[10:11], 0, v[50:51]
	;; [unrolled: 1-line block ×16, first 2 shown]
	s_wait_loadcnt 0x7
	v_fmac_f64_e32 v[14:15], v[58:59], v[54:55]
	v_fmac_f64_e32 v[10:11], 0, v[54:55]
	;; [unrolled: 1-line block ×4, first 2 shown]
	s_wait_loadcnt 0x6
	v_fmac_f64_e32 v[24:25], v[62:63], v[54:55]
	v_fmac_f64_e32 v[20:21], 0, v[54:55]
	;; [unrolled: 1-line block ×12, first 2 shown]
	s_wait_loadcnt 0x3
	v_fmac_f64_e32 v[14:15], v[70:71], v[74:75]
	v_fmac_f64_e32 v[10:11], 0, v[74:75]
	;; [unrolled: 1-line block ×16, first 2 shown]
	s_wait_loadcnt 0x1
	v_fmac_f64_e32 v[14:15], v[82:83], v[78:79]
	v_fmac_f64_e32 v[10:11], 0, v[78:79]
	;; [unrolled: 1-line block ×4, first 2 shown]
	s_wait_loadcnt 0x0
	v_fmac_f64_e32 v[24:25], v[86:87], v[78:79]
	v_fmac_f64_e32 v[20:21], 0, v[78:79]
	;; [unrolled: 1-line block ×12, first 2 shown]
	s_and_not1_b32 exec_lo, exec_lo, s6
	s_cbranch_execnz .LBB148_29
; %bb.30:
	s_or_b32 exec_lo, exec_lo, s6
.LBB148_31:
	s_delay_alu instid0(SALU_CYCLE_1) | instskip(NEXT) | instid1(SALU_CYCLE_1)
	s_or_b32 exec_lo, exec_lo, s2
	s_mov_b32 s2, exec_lo
	v_cmpx_lt_u64_e32 0x5f, v[36:37]
	s_cbranch_execz .LBB148_35
; %bb.32:
	v_lshl_add_u64 v[36:37], v[30:31], 3, s[8:9]
	s_mov_b32 s6, 0
	s_delay_alu instid0(VALU_DEP_1)
	v_add_nc_u64_e32 v[36:37], 0x200, v[36:37]
.LBB148_33:                             ; =>This Inner Loop Header: Depth=1
	s_clause 0x1
	global_load_b64 v[46:47], v[36:37], off offset:-512
	global_load_b64 v[94:95], v[36:37], off offset:-256
	s_clause 0x1
	global_load_b128 v[38:41], v[34:35], off offset:16
	global_load_b128 v[42:45], v[34:35], off
	s_clause 0x1
	global_load_b64 v[110:111], v[36:37], off
	global_load_b64 v[114:115], v[36:37], off offset:256
	v_add_nc_u64_e32 v[30:31], 0x80, v[30:31]
	s_wait_xcnt 0x0
	v_add_nc_u64_e32 v[36:37], 0x400, v[36:37]
	s_delay_alu instid0(VALU_DEP_2)
	v_cmp_ge_i64_e32 vcc_lo, v[30:31], v[32:33]
	s_or_b32 s6, vcc_lo, s6
	s_wait_loadcnt 0x5
	v_sub_nc_u64_e32 v[46:47], v[46:47], v[28:29]
	s_wait_loadcnt 0x4
	v_sub_nc_u64_e32 v[94:95], v[94:95], v[28:29]
	s_delay_alu instid0(VALU_DEP_2) | instskip(NEXT) | instid1(VALU_DEP_2)
	v_lshlrev_b64_e32 v[46:47], 6, v[46:47]
	v_lshlrev_b64_e32 v[94:95], 6, v[94:95]
	s_wait_kmcnt 0x0
	s_delay_alu instid0(VALU_DEP_2) | instskip(NEXT) | instid1(VALU_DEP_2)
	v_add_nc_u64_e32 v[96:97], s[4:5], v[46:47]
	v_add_nc_u64_e32 v[112:113], s[4:5], v[94:95]
	global_load_b128 v[46:49], v[96:97], off
	s_clause 0x1
	global_load_b128 v[50:53], v[34:35], off offset:48
	global_load_b128 v[54:57], v[34:35], off offset:32
	global_load_b128 v[58:61], v[96:97], off offset:16
	s_clause 0x1
	global_load_b128 v[62:65], v[34:35], off offset:80
	global_load_b128 v[66:69], v[34:35], off offset:64
	global_load_b128 v[70:73], v[96:97], off offset:32
	;; [unrolled: 4-line block ×3, first 2 shown]
	s_clause 0x1
	global_load_b128 v[86:89], v[34:35], off offset:4112
	global_load_b128 v[90:93], v[34:35], off offset:4096
	global_load_b128 v[94:97], v[112:113], off
	s_clause 0x1
	global_load_b128 v[98:101], v[34:35], off offset:4144
	global_load_b128 v[102:105], v[34:35], off offset:4128
	;; [unrolled: 1-line block ×3, first 2 shown]
	s_wait_loadcnt 0xf
	v_fmac_f64_e32 v[14:15], v[42:43], v[46:47]
	v_fmac_f64_e32 v[10:11], 0, v[46:47]
	;; [unrolled: 1-line block ×16, first 2 shown]
	s_clause 0x1
	global_load_b128 v[38:41], v[34:35], off offset:4176
	global_load_b128 v[42:45], v[34:35], off offset:4160
	;; [unrolled: 1-line block ×3, first 2 shown]
	s_wait_loadcnt 0xf
	v_fmac_f64_e32 v[14:15], v[54:55], v[58:59]
	v_fmac_f64_e32 v[10:11], 0, v[58:59]
	;; [unrolled: 1-line block ×16, first 2 shown]
	s_clause 0x1
	global_load_b128 v[50:53], v[34:35], off offset:4208
	global_load_b128 v[54:57], v[34:35], off offset:4192
	;; [unrolled: 1-line block ×3, first 2 shown]
	s_wait_loadcnt 0xf
	v_fmac_f64_e32 v[14:15], v[66:67], v[70:71]
	v_fmac_f64_e32 v[10:11], 0, v[70:71]
	;; [unrolled: 1-line block ×8, first 2 shown]
	v_sub_nc_u64_e32 v[70:71], v[110:111], v[28:29]
	s_delay_alu instid0(VALU_DEP_1) | instskip(NEXT) | instid1(VALU_DEP_1)
	v_lshlrev_b64_e32 v[70:71], 6, v[70:71]
	v_add_nc_u64_e32 v[110:111], s[4:5], v[70:71]
	v_fmac_f64_e32 v[14:15], 0x80000000, v[72:73]
	v_fmac_f64_e32 v[10:11], v[66:67], v[72:73]
	;; [unrolled: 1-line block ×8, first 2 shown]
	s_clause 0x1
	global_load_b128 v[62:65], v[34:35], off offset:8208
	global_load_b128 v[66:69], v[34:35], off offset:8192
	global_load_b128 v[70:73], v[110:111], off
	s_wait_loadcnt 0xf
	v_fmac_f64_e32 v[14:15], v[78:79], v[82:83]
	v_fmac_f64_e32 v[10:11], 0, v[82:83]
	v_fmac_f64_e32 v[18:19], v[80:81], v[82:83]
	v_fmac_f64_e32 v[16:17], 0, v[82:83]
	v_fmac_f64_e32 v[24:25], v[74:75], v[82:83]
	v_fmac_f64_e32 v[20:21], 0, v[82:83]
	v_fmac_f64_e32 v[12:13], v[76:77], v[82:83]
	v_fmac_f64_e32 v[22:23], 0, v[82:83]
	v_fmac_f64_e32 v[14:15], 0x80000000, v[84:85]
	v_fmac_f64_e32 v[10:11], v[78:79], v[84:85]
	v_fmac_f64_e32 v[18:19], 0x80000000, v[84:85]
	v_fmac_f64_e32 v[16:17], v[80:81], v[84:85]
	v_fmac_f64_e32 v[24:25], 0x80000000, v[84:85]
	v_fmac_f64_e32 v[20:21], v[74:75], v[84:85]
	v_fmac_f64_e32 v[12:13], 0x80000000, v[84:85]
	v_fmac_f64_e32 v[22:23], v[76:77], v[84:85]
	s_clause 0x1
	global_load_b128 v[74:77], v[34:35], off offset:8240
	global_load_b128 v[78:81], v[34:35], off offset:8224
	global_load_b128 v[82:85], v[110:111], off offset:16
	s_wait_loadcnt 0xf
	v_fmac_f64_e32 v[14:15], v[90:91], v[94:95]
	v_fmac_f64_e32 v[10:11], 0, v[94:95]
	v_fmac_f64_e32 v[18:19], v[92:93], v[94:95]
	v_fmac_f64_e32 v[16:17], 0, v[94:95]
	v_fmac_f64_e32 v[24:25], v[86:87], v[94:95]
	v_fmac_f64_e32 v[20:21], 0, v[94:95]
	v_fmac_f64_e32 v[12:13], v[88:89], v[94:95]
	v_fmac_f64_e32 v[22:23], 0, v[94:95]
	v_fmac_f64_e32 v[14:15], 0x80000000, v[96:97]
	v_fmac_f64_e32 v[10:11], v[90:91], v[96:97]
	v_fmac_f64_e32 v[18:19], 0x80000000, v[96:97]
	v_fmac_f64_e32 v[16:17], v[92:93], v[96:97]
	v_fmac_f64_e32 v[24:25], 0x80000000, v[96:97]
	v_fmac_f64_e32 v[20:21], v[86:87], v[96:97]
	v_fmac_f64_e32 v[12:13], 0x80000000, v[96:97]
	v_fmac_f64_e32 v[22:23], v[88:89], v[96:97]
	s_clause 0x1
	global_load_b128 v[86:89], v[34:35], off offset:8272
	global_load_b128 v[90:93], v[34:35], off offset:8256
	global_load_b128 v[94:97], v[110:111], off offset:32
	;; [unrolled: 21-line block ×3, first 2 shown]
	global_load_b128 v[110:113], v[34:35], off offset:12304
	s_wait_loadcnt 0x10
	v_fmac_f64_e32 v[14:15], v[42:43], v[46:47]
	v_fmac_f64_e32 v[10:11], 0, v[46:47]
	v_fmac_f64_e32 v[18:19], v[44:45], v[46:47]
	v_fmac_f64_e32 v[16:17], 0, v[46:47]
	v_fmac_f64_e32 v[24:25], v[38:39], v[46:47]
	v_fmac_f64_e32 v[20:21], 0, v[46:47]
	v_fmac_f64_e32 v[12:13], v[40:41], v[46:47]
	v_fmac_f64_e32 v[22:23], 0, v[46:47]
	v_fmac_f64_e32 v[14:15], 0x80000000, v[48:49]
	v_fmac_f64_e32 v[10:11], v[42:43], v[48:49]
	v_fmac_f64_e32 v[18:19], 0x80000000, v[48:49]
	v_fmac_f64_e32 v[16:17], v[44:45], v[48:49]
	v_fmac_f64_e32 v[24:25], 0x80000000, v[48:49]
	v_fmac_f64_e32 v[20:21], v[38:39], v[48:49]
	v_fmac_f64_e32 v[12:13], 0x80000000, v[48:49]
	v_fmac_f64_e32 v[22:23], v[40:41], v[48:49]
	v_sub_nc_u64_e32 v[42:43], v[114:115], v[28:29]
	global_load_b128 v[38:41], v[34:35], off offset:12288
	v_lshlrev_b64_e32 v[42:43], 6, v[42:43]
	s_delay_alu instid0(VALU_DEP_1)
	v_add_nc_u64_e32 v[114:115], s[4:5], v[42:43]
	s_clause 0x1
	global_load_b128 v[42:45], v[114:115], off offset:16
	global_load_b128 v[46:49], v[114:115], off
	s_wait_loadcnt 0x10
	v_fmac_f64_e32 v[14:15], v[54:55], v[58:59]
	v_fmac_f64_e32 v[10:11], 0, v[58:59]
	;; [unrolled: 1-line block ×16, first 2 shown]
	s_clause 0x1
	global_load_b128 v[50:53], v[34:35], off offset:12336
	global_load_b128 v[54:57], v[34:35], off offset:12320
	s_wait_loadcnt 0xf
	v_fmac_f64_e32 v[14:15], v[66:67], v[70:71]
	v_fmac_f64_e32 v[10:11], 0, v[70:71]
	;; [unrolled: 1-line block ×16, first 2 shown]
	s_clause 0x1
	global_load_b128 v[58:61], v[34:35], off offset:12368
	global_load_b128 v[62:65], v[34:35], off offset:12352
	s_clause 0x1
	global_load_b128 v[66:69], v[114:115], off offset:48
	global_load_b128 v[70:73], v[114:115], off offset:32
	s_wait_loadcnt 0x10
	v_fmac_f64_e32 v[14:15], v[78:79], v[82:83]
	v_fmac_f64_e32 v[10:11], 0, v[82:83]
	;; [unrolled: 1-line block ×16, first 2 shown]
	s_clause 0x1
	global_load_b128 v[74:77], v[34:35], off offset:12384
	global_load_b128 v[78:81], v[34:35], off offset:12400
	s_wait_xcnt 0x0
	v_add_nc_u64_e32 v[34:35], 0x4000, v[34:35]
	s_wait_loadcnt 0xf
	v_fmac_f64_e32 v[14:15], v[90:91], v[94:95]
	v_fmac_f64_e32 v[10:11], 0, v[94:95]
	v_fmac_f64_e32 v[18:19], v[92:93], v[94:95]
	v_fmac_f64_e32 v[16:17], 0, v[94:95]
	v_fmac_f64_e32 v[24:25], v[86:87], v[94:95]
	v_fmac_f64_e32 v[20:21], 0, v[94:95]
	v_fmac_f64_e32 v[12:13], v[88:89], v[94:95]
	v_fmac_f64_e32 v[22:23], 0, v[94:95]
	v_fmac_f64_e32 v[14:15], 0x80000000, v[96:97]
	v_fmac_f64_e32 v[10:11], v[90:91], v[96:97]
	v_fmac_f64_e32 v[18:19], 0x80000000, v[96:97]
	v_fmac_f64_e32 v[16:17], v[92:93], v[96:97]
	v_fmac_f64_e32 v[24:25], 0x80000000, v[96:97]
	v_fmac_f64_e32 v[20:21], v[86:87], v[96:97]
	v_fmac_f64_e32 v[12:13], 0x80000000, v[96:97]
	v_fmac_f64_e32 v[22:23], v[88:89], v[96:97]
	s_wait_loadcnt 0xc
	v_fmac_f64_e32 v[14:15], v[102:103], v[106:107]
	v_fmac_f64_e32 v[10:11], 0, v[106:107]
	v_fmac_f64_e32 v[18:19], v[104:105], v[106:107]
	v_fmac_f64_e32 v[16:17], 0, v[106:107]
	v_fmac_f64_e32 v[24:25], v[98:99], v[106:107]
	v_fmac_f64_e32 v[20:21], 0, v[106:107]
	v_fmac_f64_e32 v[12:13], v[100:101], v[106:107]
	v_fmac_f64_e32 v[22:23], 0, v[106:107]
	v_fmac_f64_e32 v[14:15], 0x80000000, v[108:109]
	v_fmac_f64_e32 v[10:11], v[102:103], v[108:109]
	v_fmac_f64_e32 v[18:19], 0x80000000, v[108:109]
	v_fmac_f64_e32 v[16:17], v[104:105], v[108:109]
	v_fmac_f64_e32 v[24:25], 0x80000000, v[108:109]
	v_fmac_f64_e32 v[20:21], v[98:99], v[108:109]
	v_fmac_f64_e32 v[12:13], 0x80000000, v[108:109]
	v_fmac_f64_e32 v[22:23], v[100:101], v[108:109]
	;; [unrolled: 17-line block ×5, first 2 shown]
	s_wait_loadcnt 0x1
	v_fmac_f64_e32 v[14:15], v[74:75], v[66:67]
	v_fmac_f64_e32 v[10:11], 0, v[66:67]
	;; [unrolled: 1-line block ×4, first 2 shown]
	s_wait_loadcnt 0x0
	v_fmac_f64_e32 v[24:25], v[78:79], v[66:67]
	v_fmac_f64_e32 v[20:21], 0, v[66:67]
	v_fmac_f64_e32 v[12:13], v[80:81], v[66:67]
	v_fmac_f64_e32 v[22:23], 0, v[66:67]
	v_fmac_f64_e32 v[14:15], 0x80000000, v[68:69]
	v_fmac_f64_e32 v[10:11], v[74:75], v[68:69]
	v_fmac_f64_e32 v[18:19], 0x80000000, v[68:69]
	v_fmac_f64_e32 v[16:17], v[76:77], v[68:69]
	v_fmac_f64_e32 v[24:25], 0x80000000, v[68:69]
	v_fmac_f64_e32 v[20:21], v[78:79], v[68:69]
	v_fmac_f64_e32 v[12:13], 0x80000000, v[68:69]
	v_fmac_f64_e32 v[22:23], v[80:81], v[68:69]
	s_and_not1_b32 exec_lo, exec_lo, s6
	s_cbranch_execnz .LBB148_33
; %bb.34:
	s_or_b32 exec_lo, exec_lo, s6
.LBB148_35:
	s_delay_alu instid0(SALU_CYCLE_1)
	s_or_b32 exec_lo, exec_lo, s2
.LBB148_36:
	s_delay_alu instid0(SALU_CYCLE_1)
	s_or_b32 exec_lo, exec_lo, s3
.LBB148_37:
	v_mbcnt_lo_u32_b32 v1, -1, 0
	s_delay_alu instid0(VALU_DEP_1) | instskip(NEXT) | instid1(VALU_DEP_1)
	v_xor_b32_e32 v28, 16, v1
	v_cmp_gt_i32_e32 vcc_lo, 32, v28
	v_cndmask_b32_e32 v28, v1, v28, vcc_lo
	s_delay_alu instid0(VALU_DEP_1)
	v_lshlrev_b32_e32 v43, 2, v28
	ds_bpermute_b32 v34, v43, v16
	ds_bpermute_b32 v35, v43, v17
	s_wait_dscnt 0x0
	v_add_f64_e32 v[16:17], v[16:17], v[34:35]
	ds_bpermute_b32 v28, v43, v14
	ds_bpermute_b32 v29, v43, v15
	;; [unrolled: 1-line block ×14, first 2 shown]
	s_wait_dscnt 0xc
	v_add_f64_e32 v[14:15], v[14:15], v[28:29]
	s_wait_dscnt 0xa
	v_dual_add_f64 v[20:21], v[20:21], v[38:39] :: v_dual_bitop2_b32 v28, 8, v1 bitop3:0x14
	s_wait_dscnt 0x8
	v_add_f64_e32 v[10:11], v[10:11], v[30:31]
	s_delay_alu instid0(VALU_DEP_2)
	v_cmp_gt_i32_e32 vcc_lo, 32, v28
	s_wait_dscnt 0x6
	v_add_f64_e32 v[18:19], v[18:19], v[32:33]
	s_wait_dscnt 0x4
	v_add_f64_e32 v[24:25], v[24:25], v[36:37]
	;; [unrolled: 2-line block ×3, first 2 shown]
	s_wait_dscnt 0x0
	v_dual_add_f64 v[22:23], v[22:23], v[42:43] :: v_dual_cndmask_b32 v28, v1, v28, vcc_lo
	s_delay_alu instid0(VALU_DEP_1)
	v_lshlrev_b32_e32 v43, 2, v28
	ds_bpermute_b32 v34, v43, v16
	ds_bpermute_b32 v35, v43, v17
	s_wait_dscnt 0x0
	v_add_f64_e32 v[16:17], v[16:17], v[34:35]
	ds_bpermute_b32 v28, v43, v14
	ds_bpermute_b32 v29, v43, v15
	;; [unrolled: 1-line block ×14, first 2 shown]
	s_wait_dscnt 0xc
	v_add_f64_e32 v[14:15], v[14:15], v[28:29]
	s_wait_dscnt 0xa
	v_dual_add_f64 v[10:11], v[10:11], v[30:31] :: v_dual_bitop2_b32 v28, 4, v1 bitop3:0x14
	s_wait_dscnt 0x8
	v_add_f64_e32 v[20:21], v[20:21], v[38:39]
	s_delay_alu instid0(VALU_DEP_2)
	v_cmp_gt_i32_e32 vcc_lo, 32, v28
	s_wait_dscnt 0x4
	v_add_f64_e32 v[24:25], v[24:25], v[36:37]
	s_wait_dscnt 0x2
	v_add_f64_e32 v[12:13], v[12:13], v[40:41]
	s_wait_dscnt 0x0
	v_dual_add_f64 v[22:23], v[22:23], v[42:43] :: v_dual_cndmask_b32 v28, v1, v28, vcc_lo
	s_delay_alu instid0(VALU_DEP_1)
	v_lshlrev_b32_e32 v43, 2, v28
	ds_bpermute_b32 v28, v43, v14
	ds_bpermute_b32 v29, v43, v15
	;; [unrolled: 1-line block ×4, first 2 shown]
	s_wait_dscnt 0x2
	v_add_f64_e32 v[14:15], v[14:15], v[28:29]
	s_wait_dscnt 0x0
	v_add_f64_e32 v[28:29], v[10:11], v[30:31]
	ds_bpermute_b32 v34, v43, v16
	ds_bpermute_b32 v35, v43, v17
	;; [unrolled: 1-line block ×9, first 2 shown]
	v_xor_b32_e32 v10, 2, v1
	s_delay_alu instid0(VALU_DEP_1) | instskip(SKIP_3) | instid1(VALU_DEP_2)
	v_cmp_gt_i32_e32 vcc_lo, 32, v10
	v_cndmask_b32_e32 v10, v1, v10, vcc_lo
	s_wait_dscnt 0x7
	v_add_f64_e32 v[16:17], v[16:17], v[34:35]
	v_dual_add_f64 v[18:19], v[18:19], v[32:33] :: v_dual_lshlrev_b32 v30, 2, v10
	s_wait_dscnt 0x3
	v_add_f64_e32 v[20:21], v[20:21], v[38:39]
	s_wait_dscnt 0x1
	v_add_f64_e32 v[34:35], v[12:13], v[40:41]
	ds_bpermute_b32 v10, v30, v14
	ds_bpermute_b32 v11, v30, v15
	;; [unrolled: 1-line block ×4, first 2 shown]
	s_wait_dscnt 0x2
	v_add_f64_e32 v[10:11], v[14:15], v[10:11]
	ds_bpermute_b32 v32, v43, v18
	ds_bpermute_b32 v33, v43, v19
	;; [unrolled: 1-line block ×5, first 2 shown]
	s_wait_dscnt 0x3
	v_add_f64_e32 v[18:19], v[18:19], v[32:33]
	v_add_f64_e32 v[32:33], v[24:25], v[36:37]
	s_wait_dscnt 0x2
	v_add_f64_e32 v[22:23], v[22:23], v[42:43]
	ds_bpermute_b32 v36, v30, v16
	ds_bpermute_b32 v37, v30, v17
	;; [unrolled: 1-line block ×10, first 2 shown]
	v_add_f64_e32 v[30:31], v[28:29], v[12:13]
	s_wait_dscnt 0x4
	v_add_f64_e32 v[12:13], v[18:19], v[24:25]
	v_add_f64_e32 v[24:25], v[16:17], v[36:37]
	s_wait_dscnt 0x2
	v_add_f64_e32 v[14:15], v[32:33], v[38:39]
	;; [unrolled: 3-line block ×3, first 2 shown]
	v_xor_b32_e32 v22, 1, v1
	v_add_f64_e32 v[20:21], v[20:21], v[40:41]
	s_delay_alu instid0(VALU_DEP_2) | instskip(SKIP_2) | instid1(VALU_DEP_2)
	v_cmp_gt_i32_e32 vcc_lo, 32, v22
	v_cndmask_b32_e32 v1, v1, v22, vcc_lo
	v_cmp_eq_u32_e32 vcc_lo, 31, v0
	v_lshlrev_b32_e32 v1, 2, v1
	ds_bpermute_b32 v22, v1, v10
	ds_bpermute_b32 v23, v1, v11
	;; [unrolled: 1-line block ×16, first 2 shown]
	s_and_b32 exec_lo, exec_lo, vcc_lo
	s_cbranch_execz .LBB148_8
; %bb.38:
	s_wait_dscnt 0xc
	v_add_f64_e32 v[0:1], v[30:31], v[42:43]
	s_wait_dscnt 0x8
	v_add_f64_e32 v[30:31], v[24:25], v[40:41]
	;; [unrolled: 2-line block ×4, first 2 shown]
	v_add_f64_e32 v[40:41], v[10:11], v[22:23]
	v_add_f64_e32 v[28:29], v[12:13], v[28:29]
	;; [unrolled: 1-line block ×4, first 2 shown]
	v_cmp_eq_f64_e32 vcc_lo, 0, v[2:3]
	v_cmp_eq_f64_e64 s2, 0, v[4:5]
	s_load_b64 s[0:1], s[0:1], 0x68
	v_mul_f64_e64 v[22:23], v[0:1], -v[8:9]
	v_mul_f64_e32 v[24:25], v[6:7], v[0:1]
	v_mul_f64_e64 v[18:19], v[30:31], -v[8:9]
	v_mul_f64_e32 v[20:21], v[6:7], v[30:31]
	v_mul_f64_e64 v[14:15], v[38:39], -v[8:9]
	v_mul_f64_e32 v[16:17], v[6:7], v[38:39]
	v_mul_f64_e64 v[10:11], v[36:37], -v[8:9]
	v_mul_f64_e32 v[12:13], v[6:7], v[36:37]
	v_lshlrev_b64_e32 v[0:1], 6, v[26:27]
	s_and_b32 s2, vcc_lo, s2
	v_fmac_f64_e32 v[22:23], v[6:7], v[40:41]
	v_fmac_f64_e32 v[24:25], v[8:9], v[40:41]
	;; [unrolled: 1-line block ×8, first 2 shown]
	s_and_saveexec_b32 s3, s2
	s_delay_alu instid0(SALU_CYCLE_1)
	s_xor_b32 s2, exec_lo, s3
	s_cbranch_execz .LBB148_40
; %bb.39:
	s_wait_kmcnt 0x0
	v_add_nc_u64_e32 v[0:1], s[0:1], v[0:1]
                                        ; implicit-def: $vgpr4_vgpr5
	s_clause 0x3
	global_store_b128 v[0:1], v[22:25], off
	global_store_b128 v[0:1], v[18:21], off offset:16
	global_store_b128 v[0:1], v[14:17], off offset:32
	;; [unrolled: 1-line block ×3, first 2 shown]
                                        ; implicit-def: $vgpr22_vgpr23
                                        ; implicit-def: $vgpr0_vgpr1
                                        ; implicit-def: $vgpr18_vgpr19
                                        ; implicit-def: $vgpr14_vgpr15
                                        ; implicit-def: $vgpr10_vgpr11
.LBB148_40:
	s_wait_xcnt 0x0
	s_and_not1_saveexec_b32 s2, s2
	s_cbranch_execz .LBB148_8
; %bb.41:
	s_wait_kmcnt 0x0
	v_add_nc_u64_e32 v[0:1], s[0:1], v[0:1]
	s_clause 0x3
	global_load_b128 v[6:9], v[0:1], off
	global_load_b128 v[26:29], v[0:1], off offset:16
	global_load_b128 v[30:33], v[0:1], off offset:32
	;; [unrolled: 1-line block ×3, first 2 shown]
	s_wait_loadcnt 0x3
	v_fmac_f64_e32 v[22:23], v[2:3], v[6:7]
	v_fmac_f64_e32 v[24:25], v[4:5], v[6:7]
	s_wait_loadcnt 0x2
	v_fmac_f64_e32 v[18:19], v[2:3], v[26:27]
	v_fmac_f64_e32 v[20:21], v[4:5], v[26:27]
	;; [unrolled: 3-line block ×4, first 2 shown]
	v_fma_f64 v[22:23], -v[4:5], v[8:9], v[22:23]
	v_fmac_f64_e32 v[24:25], v[2:3], v[8:9]
	v_fma_f64 v[18:19], -v[4:5], v[28:29], v[18:19]
	v_fmac_f64_e32 v[20:21], v[2:3], v[28:29]
	;; [unrolled: 2-line block ×4, first 2 shown]
	s_clause 0x3
	global_store_b128 v[0:1], v[22:25], off
	global_store_b128 v[0:1], v[18:21], off offset:16
	global_store_b128 v[0:1], v[14:17], off offset:32
	;; [unrolled: 1-line block ×3, first 2 shown]
	s_sendmsg sendmsg(MSG_DEALLOC_VGPRS)
	s_endpgm
	.section	.rodata,"a",@progbits
	.p2align	6, 0x0
	.amdhsa_kernel _ZN9rocsparseL18bsrxmvn_4x4_kernelILj128ELj32E21rocsparse_complex_numIdElldS2_S2_EEvT3_20rocsparse_direction_NS_24const_host_device_scalarIT1_EES3_PKS3_PKT2_SC_S9_PKT4_PKT5_S7_PT6_21rocsparse_index_base_b
		.amdhsa_group_segment_fixed_size 0
		.amdhsa_private_segment_fixed_size 0
		.amdhsa_kernarg_size 120
		.amdhsa_user_sgpr_count 2
		.amdhsa_user_sgpr_dispatch_ptr 0
		.amdhsa_user_sgpr_queue_ptr 0
		.amdhsa_user_sgpr_kernarg_segment_ptr 1
		.amdhsa_user_sgpr_dispatch_id 0
		.amdhsa_user_sgpr_kernarg_preload_length 0
		.amdhsa_user_sgpr_kernarg_preload_offset 0
		.amdhsa_user_sgpr_private_segment_size 0
		.amdhsa_wavefront_size32 1
		.amdhsa_uses_dynamic_stack 0
		.amdhsa_enable_private_segment 0
		.amdhsa_system_sgpr_workgroup_id_x 1
		.amdhsa_system_sgpr_workgroup_id_y 0
		.amdhsa_system_sgpr_workgroup_id_z 0
		.amdhsa_system_sgpr_workgroup_info 0
		.amdhsa_system_vgpr_workitem_id 0
		.amdhsa_next_free_vgpr 144
		.amdhsa_next_free_sgpr 12
		.amdhsa_named_barrier_count 0
		.amdhsa_reserve_vcc 1
		.amdhsa_float_round_mode_32 0
		.amdhsa_float_round_mode_16_64 0
		.amdhsa_float_denorm_mode_32 3
		.amdhsa_float_denorm_mode_16_64 3
		.amdhsa_fp16_overflow 0
		.amdhsa_memory_ordered 1
		.amdhsa_forward_progress 1
		.amdhsa_inst_pref_size 64
		.amdhsa_round_robin_scheduling 0
		.amdhsa_exception_fp_ieee_invalid_op 0
		.amdhsa_exception_fp_denorm_src 0
		.amdhsa_exception_fp_ieee_div_zero 0
		.amdhsa_exception_fp_ieee_overflow 0
		.amdhsa_exception_fp_ieee_underflow 0
		.amdhsa_exception_fp_ieee_inexact 0
		.amdhsa_exception_int_div_zero 0
	.end_amdhsa_kernel
	.section	.text._ZN9rocsparseL18bsrxmvn_4x4_kernelILj128ELj32E21rocsparse_complex_numIdElldS2_S2_EEvT3_20rocsparse_direction_NS_24const_host_device_scalarIT1_EES3_PKS3_PKT2_SC_S9_PKT4_PKT5_S7_PT6_21rocsparse_index_base_b,"axG",@progbits,_ZN9rocsparseL18bsrxmvn_4x4_kernelILj128ELj32E21rocsparse_complex_numIdElldS2_S2_EEvT3_20rocsparse_direction_NS_24const_host_device_scalarIT1_EES3_PKS3_PKT2_SC_S9_PKT4_PKT5_S7_PT6_21rocsparse_index_base_b,comdat
.Lfunc_end148:
	.size	_ZN9rocsparseL18bsrxmvn_4x4_kernelILj128ELj32E21rocsparse_complex_numIdElldS2_S2_EEvT3_20rocsparse_direction_NS_24const_host_device_scalarIT1_EES3_PKS3_PKT2_SC_S9_PKT4_PKT5_S7_PT6_21rocsparse_index_base_b, .Lfunc_end148-_ZN9rocsparseL18bsrxmvn_4x4_kernelILj128ELj32E21rocsparse_complex_numIdElldS2_S2_EEvT3_20rocsparse_direction_NS_24const_host_device_scalarIT1_EES3_PKS3_PKT2_SC_S9_PKT4_PKT5_S7_PT6_21rocsparse_index_base_b
                                        ; -- End function
	.set _ZN9rocsparseL18bsrxmvn_4x4_kernelILj128ELj32E21rocsparse_complex_numIdElldS2_S2_EEvT3_20rocsparse_direction_NS_24const_host_device_scalarIT1_EES3_PKS3_PKT2_SC_S9_PKT4_PKT5_S7_PT6_21rocsparse_index_base_b.num_vgpr, 144
	.set _ZN9rocsparseL18bsrxmvn_4x4_kernelILj128ELj32E21rocsparse_complex_numIdElldS2_S2_EEvT3_20rocsparse_direction_NS_24const_host_device_scalarIT1_EES3_PKS3_PKT2_SC_S9_PKT4_PKT5_S7_PT6_21rocsparse_index_base_b.num_agpr, 0
	.set _ZN9rocsparseL18bsrxmvn_4x4_kernelILj128ELj32E21rocsparse_complex_numIdElldS2_S2_EEvT3_20rocsparse_direction_NS_24const_host_device_scalarIT1_EES3_PKS3_PKT2_SC_S9_PKT4_PKT5_S7_PT6_21rocsparse_index_base_b.numbered_sgpr, 12
	.set _ZN9rocsparseL18bsrxmvn_4x4_kernelILj128ELj32E21rocsparse_complex_numIdElldS2_S2_EEvT3_20rocsparse_direction_NS_24const_host_device_scalarIT1_EES3_PKS3_PKT2_SC_S9_PKT4_PKT5_S7_PT6_21rocsparse_index_base_b.num_named_barrier, 0
	.set _ZN9rocsparseL18bsrxmvn_4x4_kernelILj128ELj32E21rocsparse_complex_numIdElldS2_S2_EEvT3_20rocsparse_direction_NS_24const_host_device_scalarIT1_EES3_PKS3_PKT2_SC_S9_PKT4_PKT5_S7_PT6_21rocsparse_index_base_b.private_seg_size, 0
	.set _ZN9rocsparseL18bsrxmvn_4x4_kernelILj128ELj32E21rocsparse_complex_numIdElldS2_S2_EEvT3_20rocsparse_direction_NS_24const_host_device_scalarIT1_EES3_PKS3_PKT2_SC_S9_PKT4_PKT5_S7_PT6_21rocsparse_index_base_b.uses_vcc, 1
	.set _ZN9rocsparseL18bsrxmvn_4x4_kernelILj128ELj32E21rocsparse_complex_numIdElldS2_S2_EEvT3_20rocsparse_direction_NS_24const_host_device_scalarIT1_EES3_PKS3_PKT2_SC_S9_PKT4_PKT5_S7_PT6_21rocsparse_index_base_b.uses_flat_scratch, 0
	.set _ZN9rocsparseL18bsrxmvn_4x4_kernelILj128ELj32E21rocsparse_complex_numIdElldS2_S2_EEvT3_20rocsparse_direction_NS_24const_host_device_scalarIT1_EES3_PKS3_PKT2_SC_S9_PKT4_PKT5_S7_PT6_21rocsparse_index_base_b.has_dyn_sized_stack, 0
	.set _ZN9rocsparseL18bsrxmvn_4x4_kernelILj128ELj32E21rocsparse_complex_numIdElldS2_S2_EEvT3_20rocsparse_direction_NS_24const_host_device_scalarIT1_EES3_PKS3_PKT2_SC_S9_PKT4_PKT5_S7_PT6_21rocsparse_index_base_b.has_recursion, 0
	.set _ZN9rocsparseL18bsrxmvn_4x4_kernelILj128ELj32E21rocsparse_complex_numIdElldS2_S2_EEvT3_20rocsparse_direction_NS_24const_host_device_scalarIT1_EES3_PKS3_PKT2_SC_S9_PKT4_PKT5_S7_PT6_21rocsparse_index_base_b.has_indirect_call, 0
	.section	.AMDGPU.csdata,"",@progbits
; Kernel info:
; codeLenInByte = 8148
; TotalNumSgprs: 14
; NumVgprs: 144
; ScratchSize: 0
; MemoryBound: 0
; FloatMode: 240
; IeeeMode: 1
; LDSByteSize: 0 bytes/workgroup (compile time only)
; SGPRBlocks: 0
; VGPRBlocks: 8
; NumSGPRsForWavesPerEU: 14
; NumVGPRsForWavesPerEU: 144
; NamedBarCnt: 0
; Occupancy: 7
; WaveLimiterHint : 1
; COMPUTE_PGM_RSRC2:SCRATCH_EN: 0
; COMPUTE_PGM_RSRC2:USER_SGPR: 2
; COMPUTE_PGM_RSRC2:TRAP_HANDLER: 0
; COMPUTE_PGM_RSRC2:TGID_X_EN: 1
; COMPUTE_PGM_RSRC2:TGID_Y_EN: 0
; COMPUTE_PGM_RSRC2:TGID_Z_EN: 0
; COMPUTE_PGM_RSRC2:TIDIG_COMP_CNT: 0
	.section	.text._ZN9rocsparseL18bsrxmvn_4x4_kernelILj128ELj64E21rocsparse_complex_numIdElldS2_S2_EEvT3_20rocsparse_direction_NS_24const_host_device_scalarIT1_EES3_PKS3_PKT2_SC_S9_PKT4_PKT5_S7_PT6_21rocsparse_index_base_b,"axG",@progbits,_ZN9rocsparseL18bsrxmvn_4x4_kernelILj128ELj64E21rocsparse_complex_numIdElldS2_S2_EEvT3_20rocsparse_direction_NS_24const_host_device_scalarIT1_EES3_PKS3_PKT2_SC_S9_PKT4_PKT5_S7_PT6_21rocsparse_index_base_b,comdat
	.globl	_ZN9rocsparseL18bsrxmvn_4x4_kernelILj128ELj64E21rocsparse_complex_numIdElldS2_S2_EEvT3_20rocsparse_direction_NS_24const_host_device_scalarIT1_EES3_PKS3_PKT2_SC_S9_PKT4_PKT5_S7_PT6_21rocsparse_index_base_b ; -- Begin function _ZN9rocsparseL18bsrxmvn_4x4_kernelILj128ELj64E21rocsparse_complex_numIdElldS2_S2_EEvT3_20rocsparse_direction_NS_24const_host_device_scalarIT1_EES3_PKS3_PKT2_SC_S9_PKT4_PKT5_S7_PT6_21rocsparse_index_base_b
	.p2align	8
	.type	_ZN9rocsparseL18bsrxmvn_4x4_kernelILj128ELj64E21rocsparse_complex_numIdElldS2_S2_EEvT3_20rocsparse_direction_NS_24const_host_device_scalarIT1_EES3_PKS3_PKT2_SC_S9_PKT4_PKT5_S7_PT6_21rocsparse_index_base_b,@function
_ZN9rocsparseL18bsrxmvn_4x4_kernelILj128ELj64E21rocsparse_complex_numIdElldS2_S2_EEvT3_20rocsparse_direction_NS_24const_host_device_scalarIT1_EES3_PKS3_PKT2_SC_S9_PKT4_PKT5_S7_PT6_21rocsparse_index_base_b: ; @_ZN9rocsparseL18bsrxmvn_4x4_kernelILj128ELj64E21rocsparse_complex_numIdElldS2_S2_EEvT3_20rocsparse_direction_NS_24const_host_device_scalarIT1_EES3_PKS3_PKT2_SC_S9_PKT4_PKT5_S7_PT6_21rocsparse_index_base_b
; %bb.0:
	s_clause 0x1
	s_load_b64 s[4:5], s[0:1], 0x70
	s_load_b64 s[2:3], s[0:1], 0x10
	v_mov_b32_e32 v1, 0
	s_add_nc_u64 s[6:7], s[0:1], 16
	s_load_b64 s[8:9], s[0:1], 0x58
	s_wait_kmcnt 0x0
	s_bitcmp1_b32 s5, 0
	s_cselect_b32 s3, s7, s3
	s_cselect_b32 s2, s6, s2
	flat_load_b128 v[6:9], v1, s[2:3]
	s_wait_xcnt 0x0
	s_add_nc_u64 s[2:3], s[0:1], 0x58
	s_delay_alu instid0(SALU_CYCLE_1)
	s_cselect_b32 s3, s3, s9
	s_cselect_b32 s2, s2, s8
	flat_load_b128 v[2:5], v1, s[2:3]
	s_wait_loadcnt_dscnt 0x101
	v_cmp_eq_f64_e32 vcc_lo, 0, v[6:7]
	s_wait_xcnt 0x0
	v_cmp_eq_f64_e64 s2, 0, v[8:9]
	s_and_b32 s5, vcc_lo, s2
	s_mov_b32 s2, -1
	s_and_saveexec_b32 s3, s5
	s_cbranch_execz .LBB149_2
; %bb.1:
	s_wait_loadcnt_dscnt 0x0
	v_cmp_neq_f64_e32 vcc_lo, 1.0, v[2:3]
	v_cmp_neq_f64_e64 s2, 0, v[4:5]
	s_or_b32 s2, vcc_lo, s2
	s_delay_alu instid0(SALU_CYCLE_1)
	s_or_not1_b32 s2, s2, exec_lo
.LBB149_2:
	s_or_b32 exec_lo, exec_lo, s3
	s_and_saveexec_b32 s3, s2
	s_cbranch_execz .LBB149_8
; %bb.3:
	s_load_b64 s[2:3], s[0:1], 0x28
	s_bfe_u32 s5, ttmp6, 0x4000c
	s_and_b32 s6, ttmp6, 15
	s_add_co_i32 s5, s5, 1
	s_getreg_b32 s7, hwreg(HW_REG_IB_STS2, 6, 4)
	s_mul_i32 s5, ttmp9, s5
	v_dual_lshrrev_b32 v1, 6, v0 :: v_dual_mov_b32 v11, 0
	s_add_co_i32 s6, s6, s5
	s_cmp_eq_u32 s7, 0
	s_cselect_b32 s5, ttmp9, s6
	s_mov_b32 s6, 0
	v_lshl_or_b32 v10, s5, 1, v1
	s_wait_kmcnt 0x0
	s_cmp_lg_u64 s[2:3], 0
	s_cbranch_scc0 .LBB149_9
; %bb.4:
	s_load_b64 s[6:7], s[0:1], 0x20
                                        ; implicit-def: $vgpr26_vgpr27
                                        ; implicit-def: $vgpr28_vgpr29
	s_wait_kmcnt 0x0
	v_cmp_gt_i64_e32 vcc_lo, s[6:7], v[10:11]
	s_mov_b32 s7, 0
	s_mov_b32 s6, 0
	s_and_saveexec_b32 s5, vcc_lo
	s_delay_alu instid0(SALU_CYCLE_1)
	s_xor_b32 s8, exec_lo, s5
	s_cbranch_execz .LBB149_6
; %bb.5:
	v_lshl_add_u64 v[12:13], v[10:11], 3, s[2:3]
	s_mov_b32 s5, 0
	s_mov_b32 s6, exec_lo
	v_mov_b64_e32 v[28:29], s[4:5]
	global_load_b64 v[12:13], v[12:13], off
	s_wait_loadcnt 0x0
	v_sub_nc_u64_e64 v[26:27], v[12:13], s[4:5]
.LBB149_6:
	s_or_b32 exec_lo, exec_lo, s8
	s_delay_alu instid0(SALU_CYCLE_1)
	s_and_b32 vcc_lo, exec_lo, s7
	s_cbranch_vccnz .LBB149_10
.LBB149_7:
	s_and_b32 exec_lo, exec_lo, s6
	s_cbranch_execnz .LBB149_13
.LBB149_8:
	s_sendmsg sendmsg(MSG_DEALLOC_VGPRS)
	s_endpgm
.LBB149_9:
                                        ; implicit-def: $vgpr26_vgpr27
                                        ; implicit-def: $vgpr28_vgpr29
	s_cbranch_execz .LBB149_7
.LBB149_10:
	s_load_b64 s[2:3], s[0:1], 0x0
	s_wait_kmcnt 0x0
	v_cmp_gt_i64_e32 vcc_lo, s[2:3], v[10:11]
	s_and_saveexec_b32 s2, vcc_lo
; %bb.11:
	s_mov_b32 s5, 0
	s_or_b32 s6, s6, exec_lo
; %bb.12:
	s_or_b32 exec_lo, exec_lo, s2
	v_mov_b64_e32 v[28:29], s[4:5]
	v_mov_b64_e32 v[26:27], v[10:11]
	s_and_b32 exec_lo, exec_lo, s6
	s_cbranch_execz .LBB149_8
.LBB149_13:
	s_load_b256 s[4:11], s[0:1], 0x30
	s_delay_alu instid0(VALU_DEP_1) | instskip(SKIP_3) | instid1(VALU_DEP_2)
	v_lshlrev_b64_e32 v[10:11], 3, v[26:27]
	v_dual_mov_b32 v1, 0 :: v_dual_bitop2_b32 v0, 63, v0 bitop3:0x40
	s_load_b32 s3, s[0:1], 0x8
	s_wait_kmcnt 0x0
	v_add_nc_u64_e32 v[12:13], s[4:5], v[10:11]
	v_add_nc_u64_e32 v[10:11], s[6:7], v[10:11]
	s_cmp_eq_u64 s[6:7], 0
	s_load_b64 s[4:5], s[0:1], 0x50
	s_cselect_b32 vcc_lo, -1, 0
	s_cmp_eq_u32 s3, 1
	global_load_b64 v[36:37], v[12:13], off
	s_wait_xcnt 0x0
	v_add_nc_u64_e32 v[12:13], 8, v[12:13]
	s_delay_alu instid0(VALU_DEP_1) | instskip(SKIP_3) | instid1(VALU_DEP_1)
	v_dual_cndmask_b32 v11, v11, v13 :: v_dual_cndmask_b32 v10, v10, v12
	global_load_b64 v[10:11], v[10:11], off
	s_wait_loadcnt 0x1
	v_sub_nc_u64_e32 v[12:13], v[36:37], v[28:29]
	v_add_nc_u64_e32 v[30:31], v[12:13], v[0:1]
	s_wait_loadcnt 0x0
	v_sub_nc_u64_e32 v[32:33], v[10:11], v[28:29]
	s_delay_alu instid0(VALU_DEP_2) | instskip(NEXT) | instid1(VALU_DEP_2)
	v_lshlrev_b64_e32 v[12:13], 7, v[30:31]
	v_cmp_lt_i64_e64 s2, v[30:31], v[32:33]
	s_delay_alu instid0(VALU_DEP_2)
	v_add_nc_u64_e32 v[34:35], s[10:11], v[12:13]
	s_cbranch_scc1 .LBB149_25
; %bb.14:
	v_mov_b64_e32 v[10:11], 0
	v_mov_b64_e32 v[14:15], 0
	;; [unrolled: 1-line block ×8, first 2 shown]
	s_and_saveexec_b32 s3, s2
	s_cbranch_execz .LBB149_24
; %bb.15:
	v_dual_mov_b32 v11, v1 :: v_dual_bitop2_b32 v10, 64, v0 bitop3:0x54
	v_sub_nc_u64_e32 v[12:13], v[28:29], v[0:1]
	v_not_b32_e32 v15, v37
	v_not_b32_e32 v14, v36
	v_mov_b64_e32 v[22:23], 0
	v_sub_nc_u64_e32 v[10:11], v[10:11], v[28:29]
	v_mov_b64_e32 v[24:25], 0
	v_mov_b64_e32 v[20:21], 0
	v_add_nc_u64_e32 v[12:13], v[12:13], v[14:15]
	v_mov_b64_e32 v[18:19], 0
	v_mov_b64_e32 v[16:17], 0
	;; [unrolled: 1-line block ×3, first 2 shown]
	v_add_nc_u64_e32 v[10:11], v[10:11], v[36:37]
	v_mov_b64_e32 v[38:39], v[34:35]
	v_mov_b64_e32 v[40:41], v[30:31]
	v_mov_b32_e32 v47, 0
	s_mov_b32 s6, exec_lo
	s_delay_alu instid0(VALU_DEP_4) | instskip(NEXT) | instid1(VALU_DEP_1)
	v_max_i64 v[10:11], v[10:11], v[32:33]
	v_add_nc_u64_e32 v[42:43], v[12:13], v[10:11]
	v_mov_b64_e32 v[12:13], 0
	v_mov_b64_e32 v[10:11], 0
	s_delay_alu instid0(VALU_DEP_3) | instskip(NEXT) | instid1(VALU_DEP_1)
	v_and_b32_e32 v46, 0xc0, v42
	v_cmpx_ne_u64_e32 0xc0, v[46:47]
	s_cbranch_execz .LBB149_19
; %bb.16:
	v_lshrrev_b32_e32 v10, 6, v42
	v_mov_b64_e32 v[14:15], 0
	v_mov_b64_e32 v[16:17], 0
	;; [unrolled: 1-line block ×4, first 2 shown]
	v_add_nc_u32_e32 v12, 1, v10
	v_mov_b64_e32 v[10:11], 0
	v_mov_b64_e32 v[24:25], 0
	;; [unrolled: 1-line block ×4, first 2 shown]
	v_and_b32_e32 v46, 3, v12
	v_mov_b64_e32 v[12:13], 0
	v_mov_b64_e32 v[38:39], v[34:35]
	v_lshl_add_u64 v[44:45], v[30:31], 3, s[8:9]
	s_mov_b32 s7, 0
	v_sub_nc_u64_e32 v[46:47], 0, v[46:47]
.LBB149_17:                             ; =>This Inner Loop Header: Depth=1
	global_load_b64 v[76:77], v[44:45], off
	s_clause 0x6
	global_load_b128 v[48:51], v[38:39], off offset:48
	global_load_b128 v[52:55], v[38:39], off offset:32
	;; [unrolled: 1-line block ×3, first 2 shown]
	global_load_b128 v[60:63], v[38:39], off
	global_load_b128 v[64:67], v[38:39], off offset:112
	global_load_b128 v[68:71], v[38:39], off offset:96
	;; [unrolled: 1-line block ×3, first 2 shown]
	v_add_nc_u64_e32 v[46:47], 1, v[46:47]
	v_add_nc_u64_e32 v[40:41], 64, v[40:41]
	s_wait_xcnt 0x7
	v_add_nc_u64_e32 v[44:45], 0x200, v[44:45]
	s_delay_alu instid0(VALU_DEP_3) | instskip(SKIP_3) | instid1(VALU_DEP_1)
	v_cmp_eq_u64_e32 vcc_lo, 0, v[46:47]
	s_or_b32 s7, vcc_lo, s7
	s_wait_loadcnt 0x7
	v_sub_nc_u64_e32 v[76:77], v[76:77], v[28:29]
	v_lshlrev_b64_e32 v[76:77], 6, v[76:77]
	s_wait_kmcnt 0x0
	s_delay_alu instid0(VALU_DEP_1)
	v_add_nc_u64_e32 v[96:97], s[4:5], v[76:77]
	s_clause 0x1
	global_load_b128 v[76:79], v[96:97], off
	global_load_b128 v[80:83], v[96:97], off offset:16
	global_load_b128 v[84:87], v[38:39], off offset:80
	s_clause 0x1
	global_load_b128 v[88:91], v[96:97], off offset:32
	global_load_b128 v[92:95], v[96:97], off offset:48
	s_wait_xcnt 0x2
	v_add_nc_u64_e32 v[38:39], 0x2000, v[38:39]
	s_wait_loadcnt 0x4
	v_fmac_f64_e32 v[14:15], v[60:61], v[76:77]
	v_fmac_f64_e32 v[10:11], 0, v[76:77]
	v_fmac_f64_e32 v[18:19], v[52:53], v[76:77]
	v_fmac_f64_e32 v[16:17], 0, v[76:77]
	v_fmac_f64_e32 v[24:25], v[72:73], v[76:77]
	v_fmac_f64_e32 v[20:21], 0, v[76:77]
	v_fmac_f64_e32 v[12:13], v[68:69], v[76:77]
	v_fmac_f64_e32 v[22:23], 0, v[76:77]
	v_fmac_f64_e32 v[14:15], 0x80000000, v[78:79]
	v_fmac_f64_e32 v[10:11], v[60:61], v[78:79]
	v_fmac_f64_e32 v[18:19], 0x80000000, v[78:79]
	v_fmac_f64_e32 v[16:17], v[52:53], v[78:79]
	v_fmac_f64_e32 v[24:25], 0x80000000, v[78:79]
	v_fmac_f64_e32 v[20:21], v[72:73], v[78:79]
	v_fmac_f64_e32 v[12:13], 0x80000000, v[78:79]
	v_fmac_f64_e32 v[22:23], v[68:69], v[78:79]
	s_wait_loadcnt 0x3
	v_fmac_f64_e32 v[14:15], v[62:63], v[80:81]
	v_fmac_f64_e32 v[10:11], 0, v[80:81]
	v_fmac_f64_e32 v[18:19], v[54:55], v[80:81]
	v_fmac_f64_e32 v[16:17], 0, v[80:81]
	v_fmac_f64_e32 v[24:25], v[74:75], v[80:81]
	v_fmac_f64_e32 v[20:21], 0, v[80:81]
	v_fmac_f64_e32 v[12:13], v[70:71], v[80:81]
	v_fmac_f64_e32 v[22:23], 0, v[80:81]
	v_fmac_f64_e32 v[14:15], 0x80000000, v[82:83]
	v_fmac_f64_e32 v[10:11], v[62:63], v[82:83]
	v_fmac_f64_e32 v[18:19], 0x80000000, v[82:83]
	v_fmac_f64_e32 v[16:17], v[54:55], v[82:83]
	v_fmac_f64_e32 v[24:25], 0x80000000, v[82:83]
	v_fmac_f64_e32 v[20:21], v[74:75], v[82:83]
	v_fmac_f64_e32 v[12:13], 0x80000000, v[82:83]
	v_fmac_f64_e32 v[22:23], v[70:71], v[82:83]
	s_wait_loadcnt 0x1
	v_fmac_f64_e32 v[14:15], v[56:57], v[88:89]
	v_fmac_f64_e32 v[10:11], 0, v[88:89]
	v_fmac_f64_e32 v[18:19], v[48:49], v[88:89]
	v_fmac_f64_e32 v[16:17], 0, v[88:89]
	v_fmac_f64_e32 v[24:25], v[84:85], v[88:89]
	v_fmac_f64_e32 v[20:21], 0, v[88:89]
	v_fmac_f64_e32 v[12:13], v[64:65], v[88:89]
	v_fmac_f64_e32 v[22:23], 0, v[88:89]
	v_fmac_f64_e32 v[14:15], 0x80000000, v[90:91]
	v_fmac_f64_e32 v[10:11], v[56:57], v[90:91]
	v_fmac_f64_e32 v[18:19], 0x80000000, v[90:91]
	v_fmac_f64_e32 v[16:17], v[48:49], v[90:91]
	v_fmac_f64_e32 v[24:25], 0x80000000, v[90:91]
	v_fmac_f64_e32 v[20:21], v[84:85], v[90:91]
	v_fmac_f64_e32 v[12:13], 0x80000000, v[90:91]
	v_fmac_f64_e32 v[22:23], v[64:65], v[90:91]
	s_wait_loadcnt 0x0
	v_fmac_f64_e32 v[14:15], v[58:59], v[92:93]
	v_fmac_f64_e32 v[10:11], 0, v[92:93]
	v_fmac_f64_e32 v[18:19], v[50:51], v[92:93]
	v_fmac_f64_e32 v[16:17], 0, v[92:93]
	v_fmac_f64_e32 v[24:25], v[86:87], v[92:93]
	v_fmac_f64_e32 v[20:21], 0, v[92:93]
	v_fmac_f64_e32 v[12:13], v[66:67], v[92:93]
	v_fmac_f64_e32 v[22:23], 0, v[92:93]
	v_fmac_f64_e32 v[14:15], 0x80000000, v[94:95]
	v_fmac_f64_e32 v[10:11], v[58:59], v[94:95]
	v_fmac_f64_e32 v[18:19], 0x80000000, v[94:95]
	v_fmac_f64_e32 v[16:17], v[50:51], v[94:95]
	v_fmac_f64_e32 v[24:25], 0x80000000, v[94:95]
	v_fmac_f64_e32 v[20:21], v[86:87], v[94:95]
	v_fmac_f64_e32 v[12:13], 0x80000000, v[94:95]
	v_fmac_f64_e32 v[22:23], v[66:67], v[94:95]
	s_and_not1_b32 exec_lo, exec_lo, s7
	s_cbranch_execnz .LBB149_17
; %bb.18:
	s_or_b32 exec_lo, exec_lo, s7
.LBB149_19:
	s_delay_alu instid0(SALU_CYCLE_1) | instskip(NEXT) | instid1(SALU_CYCLE_1)
	s_or_b32 exec_lo, exec_lo, s6
	s_mov_b32 s6, exec_lo
	v_cmpx_lt_u64_e32 0xbf, v[42:43]
	s_cbranch_execz .LBB149_23
; %bb.20:
	v_lshl_add_u64 v[42:43], v[40:41], 3, s[8:9]
	s_mov_b32 s7, 0
	s_delay_alu instid0(VALU_DEP_1)
	v_add_nc_u64_e32 v[42:43], 0x400, v[42:43]
.LBB149_21:                             ; =>This Inner Loop Header: Depth=1
	global_load_b64 v[124:125], v[42:43], off offset:-1024
	s_clause 0xf
	global_load_b128 v[44:47], v[38:39], off offset:48
	global_load_b128 v[48:51], v[38:39], off offset:32
	;; [unrolled: 1-line block ×3, first 2 shown]
	global_load_b128 v[56:59], v[38:39], off
	global_load_b128 v[60:63], v[38:39], off offset:112
	global_load_b128 v[64:67], v[38:39], off offset:96
	;; [unrolled: 1-line block ×12, first 2 shown]
	s_clause 0x2
	global_load_b64 v[136:137], v[42:43], off offset:-512
	global_load_b64 v[138:139], v[42:43], off
	global_load_b64 v[140:141], v[42:43], off offset:512
	s_clause 0x3
	global_load_b128 v[108:111], v[38:39], off offset:16432
	global_load_b128 v[112:115], v[38:39], off offset:16416
	;; [unrolled: 1-line block ×4, first 2 shown]
	v_add_nc_u64_e32 v[40:41], 0x100, v[40:41]
	s_wait_xcnt 0x4
	v_add_nc_u64_e32 v[42:43], 0x800, v[42:43]
	s_delay_alu instid0(VALU_DEP_2) | instskip(SKIP_3) | instid1(VALU_DEP_1)
	v_cmp_ge_i64_e32 vcc_lo, v[40:41], v[32:33]
	s_or_b32 s7, vcc_lo, s7
	s_wait_loadcnt 0x17
	v_sub_nc_u64_e32 v[124:125], v[124:125], v[28:29]
	v_lshlrev_b64_e32 v[124:125], 6, v[124:125]
	s_wait_kmcnt 0x0
	s_delay_alu instid0(VALU_DEP_1)
	v_add_nc_u64_e32 v[142:143], s[4:5], v[124:125]
	s_clause 0x1
	global_load_b128 v[124:127], v[142:143], off
	global_load_b128 v[128:131], v[142:143], off offset:16
	s_wait_loadcnt 0x1
	v_fmac_f64_e32 v[14:15], v[56:57], v[124:125]
	v_fmac_f64_e32 v[10:11], 0, v[124:125]
	;; [unrolled: 1-line block ×16, first 2 shown]
	s_clause 0x1
	global_load_b128 v[124:127], v[142:143], off offset:32
	global_load_b128 v[132:135], v[142:143], off offset:48
	v_sub_nc_u64_e32 v[48:49], v[136:137], v[28:29]
	s_delay_alu instid0(VALU_DEP_1) | instskip(NEXT) | instid1(VALU_DEP_1)
	v_lshlrev_b64_e32 v[48:49], 6, v[48:49]
	v_add_nc_u64_e32 v[136:137], s[4:5], v[48:49]
	s_wait_loadcnt 0x2
	v_fmac_f64_e32 v[14:15], v[58:59], v[128:129]
	v_fmac_f64_e32 v[10:11], 0, v[128:129]
	v_fmac_f64_e32 v[18:19], v[50:51], v[128:129]
	v_fmac_f64_e32 v[16:17], 0, v[128:129]
	v_fmac_f64_e32 v[24:25], v[74:75], v[128:129]
	v_fmac_f64_e32 v[20:21], 0, v[128:129]
	v_fmac_f64_e32 v[12:13], v[66:67], v[128:129]
	v_fmac_f64_e32 v[22:23], 0, v[128:129]
	v_fmac_f64_e32 v[14:15], 0x80000000, v[130:131]
	v_fmac_f64_e32 v[10:11], v[58:59], v[130:131]
	v_fmac_f64_e32 v[18:19], 0x80000000, v[130:131]
	v_fmac_f64_e32 v[16:17], v[50:51], v[130:131]
	global_load_b128 v[48:51], v[136:137], off
	v_fmac_f64_e32 v[20:21], v[74:75], v[130:131]
	v_fmac_f64_e32 v[24:25], 0x80000000, v[130:131]
	v_fmac_f64_e32 v[22:23], v[66:67], v[130:131]
	global_load_b128 v[64:67], v[136:137], off offset:16
	v_fmac_f64_e32 v[12:13], 0x80000000, v[130:131]
	global_load_b128 v[128:131], v[136:137], off offset:32
	s_clause 0x1
	global_load_b128 v[56:59], v[38:39], off offset:16496
	global_load_b128 v[72:75], v[38:39], off offset:16480
	s_wait_loadcnt 0x6
	v_fmac_f64_e32 v[10:11], 0, v[124:125]
	v_fmac_f64_e32 v[14:15], v[52:53], v[124:125]
	;; [unrolled: 1-line block ×16, first 2 shown]
	v_sub_nc_u64_e32 v[60:61], v[138:139], v[28:29]
	global_load_b128 v[124:127], v[38:39], off offset:16464
	v_lshlrev_b64_e32 v[60:61], 6, v[60:61]
	s_wait_loadcnt 0x6
	v_fmac_f64_e32 v[10:11], 0, v[132:133]
	v_fmac_f64_e32 v[14:15], v[54:55], v[132:133]
	;; [unrolled: 1-line block ×9, first 2 shown]
	global_load_b128 v[52:55], v[136:137], off offset:48
	s_wait_xcnt 0x0
	v_add_nc_u64_e32 v[136:137], s[4:5], v[60:61]
	v_fmac_f64_e32 v[16:17], v[46:47], v[134:135]
	global_load_b128 v[44:47], v[38:39], off offset:16448
	v_fmac_f64_e32 v[20:21], v[70:71], v[134:135]
	v_fmac_f64_e32 v[14:15], 0x80000000, v[134:135]
	;; [unrolled: 1-line block ×4, first 2 shown]
	global_load_b128 v[68:71], v[136:137], off
	v_fmac_f64_e32 v[12:13], 0x80000000, v[134:135]
	v_fmac_f64_e32 v[22:23], v[62:63], v[134:135]
	global_load_b128 v[60:63], v[136:137], off offset:16
	s_wait_loadcnt 0x9
	v_fmac_f64_e32 v[10:11], 0, v[48:49]
	v_fmac_f64_e32 v[16:17], 0, v[48:49]
	;; [unrolled: 1-line block ×16, first 2 shown]
	global_load_b128 v[48:51], v[136:137], off offset:32
	s_wait_loadcnt 0x9
	v_fmac_f64_e32 v[10:11], 0, v[64:65]
	v_fmac_f64_e32 v[16:17], 0, v[64:65]
	;; [unrolled: 1-line block ×16, first 2 shown]
	global_load_b128 v[64:67], v[136:137], off offset:48
	s_clause 0x3
	global_load_b128 v[80:83], v[38:39], off offset:24624
	global_load_b128 v[88:91], v[38:39], off offset:24608
	;; [unrolled: 1-line block ×4, first 2 shown]
	s_wait_loadcnt 0xd
	v_fmac_f64_e32 v[10:11], 0, v[128:129]
	v_fmac_f64_e32 v[16:17], 0, v[128:129]
	;; [unrolled: 1-line block ×10, first 2 shown]
	v_sub_nc_u64_e32 v[76:77], v[140:141], v[28:29]
	v_fmac_f64_e32 v[20:21], v[100:101], v[130:131]
	v_fmac_f64_e32 v[14:15], 0x80000000, v[130:131]
	;; [unrolled: 1-line block ×6, first 2 shown]
	v_lshlrev_b64_e32 v[76:77], 6, v[76:77]
	s_clause 0x1
	global_load_b128 v[128:131], v[38:39], off offset:24672
	global_load_b128 v[132:135], v[38:39], off offset:24640
	v_add_nc_u64_e32 v[92:93], s[4:5], v[76:77]
	global_load_b128 v[136:139], v[92:93], off
	s_wait_loadcnt 0xc
	v_fmac_f64_e32 v[14:15], v[86:87], v[52:53]
	v_fmac_f64_e32 v[10:11], 0, v[52:53]
	;; [unrolled: 1-line block ×16, first 2 shown]
	global_load_b128 v[52:55], v[92:93], off offset:16
	s_wait_loadcnt 0xb
	v_fmac_f64_e32 v[14:15], v[120:121], v[68:69]
	v_fmac_f64_e32 v[10:11], 0, v[68:69]
	;; [unrolled: 1-line block ×16, first 2 shown]
	s_clause 0x1
	global_load_b128 v[68:71], v[38:39], off offset:24688
	global_load_b128 v[76:79], v[38:39], off offset:24656
	;; [unrolled: 1-line block ×3, first 2 shown]
	s_wait_xcnt 0x1
	v_add_nc_u64_e32 v[38:39], 0x8000, v[38:39]
	s_wait_loadcnt 0xd
	v_fmac_f64_e32 v[14:15], v[122:123], v[60:61]
	v_fmac_f64_e32 v[10:11], 0, v[60:61]
	;; [unrolled: 1-line block ×16, first 2 shown]
	global_load_b128 v[44:47], v[92:93], off offset:48
	s_wait_loadcnt 0xd
	v_fmac_f64_e32 v[14:15], v[116:117], v[48:49]
	v_fmac_f64_e32 v[10:11], 0, v[48:49]
	v_fmac_f64_e32 v[18:19], v[108:109], v[48:49]
	v_fmac_f64_e32 v[16:17], 0, v[48:49]
	v_fmac_f64_e32 v[24:25], v[124:125], v[48:49]
	v_fmac_f64_e32 v[20:21], 0, v[48:49]
	v_fmac_f64_e32 v[12:13], v[56:57], v[48:49]
	v_fmac_f64_e32 v[22:23], 0, v[48:49]
	v_fmac_f64_e32 v[14:15], 0x80000000, v[50:51]
	v_fmac_f64_e32 v[10:11], v[116:117], v[50:51]
	v_fmac_f64_e32 v[18:19], 0x80000000, v[50:51]
	v_fmac_f64_e32 v[16:17], v[108:109], v[50:51]
	v_fmac_f64_e32 v[24:25], 0x80000000, v[50:51]
	v_fmac_f64_e32 v[20:21], v[124:125], v[50:51]
	v_fmac_f64_e32 v[12:13], 0x80000000, v[50:51]
	v_fmac_f64_e32 v[22:23], v[56:57], v[50:51]
	s_wait_loadcnt 0xc
	v_fmac_f64_e32 v[14:15], v[118:119], v[64:65]
	v_fmac_f64_e32 v[10:11], 0, v[64:65]
	v_fmac_f64_e32 v[18:19], v[110:111], v[64:65]
	v_fmac_f64_e32 v[16:17], 0, v[64:65]
	v_fmac_f64_e32 v[24:25], v[126:127], v[64:65]
	v_fmac_f64_e32 v[20:21], 0, v[64:65]
	v_fmac_f64_e32 v[12:13], v[58:59], v[64:65]
	v_fmac_f64_e32 v[22:23], 0, v[64:65]
	v_fmac_f64_e32 v[14:15], 0x80000000, v[66:67]
	v_fmac_f64_e32 v[10:11], v[118:119], v[66:67]
	v_fmac_f64_e32 v[18:19], 0x80000000, v[66:67]
	v_fmac_f64_e32 v[16:17], v[110:111], v[66:67]
	v_fmac_f64_e32 v[24:25], 0x80000000, v[66:67]
	v_fmac_f64_e32 v[20:21], v[126:127], v[66:67]
	v_fmac_f64_e32 v[12:13], 0x80000000, v[66:67]
	v_fmac_f64_e32 v[22:23], v[58:59], v[66:67]
	;; [unrolled: 17-line block ×6, first 2 shown]
	s_and_not1_b32 exec_lo, exec_lo, s7
	s_cbranch_execnz .LBB149_21
; %bb.22:
	s_or_b32 exec_lo, exec_lo, s7
.LBB149_23:
	s_delay_alu instid0(SALU_CYCLE_1)
	s_or_b32 exec_lo, exec_lo, s6
.LBB149_24:
	s_delay_alu instid0(SALU_CYCLE_1)
	s_or_b32 exec_lo, exec_lo, s3
	s_cbranch_execz .LBB149_26
	s_branch .LBB149_37
.LBB149_25:
                                        ; implicit-def: $vgpr10_vgpr11
                                        ; implicit-def: $vgpr14_vgpr15
                                        ; implicit-def: $vgpr16_vgpr17
                                        ; implicit-def: $vgpr18_vgpr19
                                        ; implicit-def: $vgpr20_vgpr21
                                        ; implicit-def: $vgpr24_vgpr25
                                        ; implicit-def: $vgpr22_vgpr23
                                        ; implicit-def: $vgpr12_vgpr13
.LBB149_26:
	v_mov_b64_e32 v[10:11], 0
	v_mov_b64_e32 v[14:15], 0
	;; [unrolled: 1-line block ×8, first 2 shown]
	s_and_saveexec_b32 s3, s2
	s_cbranch_execz .LBB149_36
; %bb.27:
	v_dual_mov_b32 v11, v1 :: v_dual_bitop2_b32 v10, 64, v0 bitop3:0x54
	v_sub_nc_u64_e32 v[12:13], v[28:29], v[0:1]
	v_not_b32_e32 v15, v37
	v_not_b32_e32 v14, v36
	v_mov_b64_e32 v[22:23], 0
	v_sub_nc_u64_e32 v[10:11], v[10:11], v[28:29]
	v_mov_b64_e32 v[24:25], 0
	v_mov_b64_e32 v[20:21], 0
	v_add_nc_u64_e32 v[12:13], v[12:13], v[14:15]
	v_mov_b64_e32 v[18:19], 0
	v_mov_b64_e32 v[16:17], 0
	;; [unrolled: 1-line block ×3, first 2 shown]
	v_add_nc_u64_e32 v[10:11], v[10:11], v[36:37]
	v_mov_b32_e32 v39, 0
	s_mov_b32 s2, exec_lo
	s_delay_alu instid0(VALU_DEP_2) | instskip(NEXT) | instid1(VALU_DEP_1)
	v_max_i64 v[10:11], v[10:11], v[32:33]
	v_add_nc_u64_e32 v[36:37], v[12:13], v[10:11]
	v_mov_b64_e32 v[12:13], 0
	v_mov_b64_e32 v[10:11], 0
	s_delay_alu instid0(VALU_DEP_3) | instskip(NEXT) | instid1(VALU_DEP_1)
	v_and_b32_e32 v38, 0xc0, v36
	v_cmpx_ne_u64_e32 0xc0, v[38:39]
	s_cbranch_execz .LBB149_31
; %bb.28:
	v_lshrrev_b32_e32 v1, 6, v36
	v_mov_b64_e32 v[10:11], 0
	v_mov_b64_e32 v[14:15], 0
	;; [unrolled: 1-line block ×4, first 2 shown]
	v_add_nc_u32_e32 v1, 1, v1
	v_mov_b64_e32 v[20:21], 0
	v_mov_b64_e32 v[24:25], 0
	;; [unrolled: 1-line block ×4, first 2 shown]
	v_and_b32_e32 v38, 3, v1
	v_lshl_add_u64 v[40:41], v[30:31], 3, s[8:9]
	s_mov_b32 s6, 0
	s_delay_alu instid0(VALU_DEP_2)
	v_sub_nc_u64_e32 v[38:39], 0, v[38:39]
.LBB149_29:                             ; =>This Inner Loop Header: Depth=1
	global_load_b64 v[50:51], v[40:41], off
	s_clause 0x1
	global_load_b128 v[42:45], v[34:35], off offset:16
	global_load_b128 v[46:49], v[34:35], off
	v_add_nc_u64_e32 v[38:39], 1, v[38:39]
	v_add_nc_u64_e32 v[30:31], 64, v[30:31]
	s_wait_xcnt 0x2
	v_add_nc_u64_e32 v[40:41], 0x200, v[40:41]
	s_delay_alu instid0(VALU_DEP_3) | instskip(SKIP_3) | instid1(VALU_DEP_1)
	v_cmp_eq_u64_e32 vcc_lo, 0, v[38:39]
	s_or_b32 s6, vcc_lo, s6
	s_wait_loadcnt 0x2
	v_sub_nc_u64_e32 v[50:51], v[50:51], v[28:29]
	v_lshlrev_b64_e32 v[50:51], 6, v[50:51]
	s_wait_kmcnt 0x0
	s_delay_alu instid0(VALU_DEP_1)
	v_add_nc_u64_e32 v[90:91], s[4:5], v[50:51]
	s_clause 0x1
	global_load_b128 v[50:53], v[90:91], off
	global_load_b128 v[54:57], v[90:91], off offset:16
	s_clause 0x3
	global_load_b128 v[58:61], v[34:35], off offset:32
	global_load_b128 v[62:65], v[34:35], off offset:48
	;; [unrolled: 1-line block ×4, first 2 shown]
	s_clause 0x1
	global_load_b128 v[74:77], v[90:91], off offset:32
	global_load_b128 v[78:81], v[90:91], off offset:48
	s_clause 0x1
	global_load_b128 v[82:85], v[34:35], off offset:96
	global_load_b128 v[86:89], v[34:35], off offset:112
	s_wait_xcnt 0x0
	v_add_nc_u64_e32 v[34:35], 0x2000, v[34:35]
	s_wait_loadcnt 0x9
	v_fmac_f64_e32 v[14:15], v[46:47], v[50:51]
	v_fmac_f64_e32 v[10:11], 0, v[50:51]
	;; [unrolled: 1-line block ×16, first 2 shown]
	s_wait_loadcnt 0x7
	v_fmac_f64_e32 v[14:15], v[58:59], v[54:55]
	v_fmac_f64_e32 v[10:11], 0, v[54:55]
	;; [unrolled: 1-line block ×4, first 2 shown]
	s_wait_loadcnt 0x6
	v_fmac_f64_e32 v[24:25], v[62:63], v[54:55]
	v_fmac_f64_e32 v[20:21], 0, v[54:55]
	;; [unrolled: 1-line block ×12, first 2 shown]
	s_wait_loadcnt 0x3
	v_fmac_f64_e32 v[14:15], v[70:71], v[74:75]
	v_fmac_f64_e32 v[10:11], 0, v[74:75]
	;; [unrolled: 1-line block ×16, first 2 shown]
	s_wait_loadcnt 0x1
	v_fmac_f64_e32 v[14:15], v[82:83], v[78:79]
	v_fmac_f64_e32 v[10:11], 0, v[78:79]
	;; [unrolled: 1-line block ×4, first 2 shown]
	s_wait_loadcnt 0x0
	v_fmac_f64_e32 v[24:25], v[86:87], v[78:79]
	v_fmac_f64_e32 v[20:21], 0, v[78:79]
	;; [unrolled: 1-line block ×12, first 2 shown]
	s_and_not1_b32 exec_lo, exec_lo, s6
	s_cbranch_execnz .LBB149_29
; %bb.30:
	s_or_b32 exec_lo, exec_lo, s6
.LBB149_31:
	s_delay_alu instid0(SALU_CYCLE_1) | instskip(NEXT) | instid1(SALU_CYCLE_1)
	s_or_b32 exec_lo, exec_lo, s2
	s_mov_b32 s2, exec_lo
	v_cmpx_lt_u64_e32 0xbf, v[36:37]
	s_cbranch_execz .LBB149_35
; %bb.32:
	v_lshl_add_u64 v[36:37], v[30:31], 3, s[8:9]
	s_mov_b32 s6, 0
	s_delay_alu instid0(VALU_DEP_1)
	v_add_nc_u64_e32 v[36:37], 0x400, v[36:37]
.LBB149_33:                             ; =>This Inner Loop Header: Depth=1
	s_clause 0x1
	global_load_b64 v[46:47], v[36:37], off offset:-1024
	global_load_b64 v[94:95], v[36:37], off offset:-512
	s_clause 0x1
	global_load_b128 v[38:41], v[34:35], off offset:16
	global_load_b128 v[42:45], v[34:35], off
	s_clause 0x1
	global_load_b64 v[110:111], v[36:37], off
	global_load_b64 v[114:115], v[36:37], off offset:512
	v_add_nc_u64_e32 v[30:31], 0x100, v[30:31]
	s_wait_xcnt 0x0
	v_add_nc_u64_e32 v[36:37], 0x800, v[36:37]
	s_delay_alu instid0(VALU_DEP_2)
	v_cmp_ge_i64_e32 vcc_lo, v[30:31], v[32:33]
	s_or_b32 s6, vcc_lo, s6
	s_wait_loadcnt 0x5
	v_sub_nc_u64_e32 v[46:47], v[46:47], v[28:29]
	s_wait_loadcnt 0x4
	v_sub_nc_u64_e32 v[94:95], v[94:95], v[28:29]
	s_delay_alu instid0(VALU_DEP_2) | instskip(NEXT) | instid1(VALU_DEP_2)
	v_lshlrev_b64_e32 v[46:47], 6, v[46:47]
	v_lshlrev_b64_e32 v[94:95], 6, v[94:95]
	s_wait_kmcnt 0x0
	s_delay_alu instid0(VALU_DEP_2) | instskip(NEXT) | instid1(VALU_DEP_2)
	v_add_nc_u64_e32 v[96:97], s[4:5], v[46:47]
	v_add_nc_u64_e32 v[112:113], s[4:5], v[94:95]
	global_load_b128 v[46:49], v[96:97], off
	s_clause 0x1
	global_load_b128 v[50:53], v[34:35], off offset:48
	global_load_b128 v[54:57], v[34:35], off offset:32
	global_load_b128 v[58:61], v[96:97], off offset:16
	s_clause 0x1
	global_load_b128 v[62:65], v[34:35], off offset:80
	global_load_b128 v[66:69], v[34:35], off offset:64
	global_load_b128 v[70:73], v[96:97], off offset:32
	;; [unrolled: 4-line block ×3, first 2 shown]
	s_clause 0x1
	global_load_b128 v[86:89], v[34:35], off offset:8208
	global_load_b128 v[90:93], v[34:35], off offset:8192
	global_load_b128 v[94:97], v[112:113], off
	s_clause 0x1
	global_load_b128 v[98:101], v[34:35], off offset:8240
	global_load_b128 v[102:105], v[34:35], off offset:8224
	;; [unrolled: 1-line block ×3, first 2 shown]
	s_wait_loadcnt 0xf
	v_fmac_f64_e32 v[14:15], v[42:43], v[46:47]
	v_fmac_f64_e32 v[10:11], 0, v[46:47]
	;; [unrolled: 1-line block ×16, first 2 shown]
	s_clause 0x1
	global_load_b128 v[38:41], v[34:35], off offset:8272
	global_load_b128 v[42:45], v[34:35], off offset:8256
	;; [unrolled: 1-line block ×3, first 2 shown]
	s_wait_loadcnt 0xf
	v_fmac_f64_e32 v[14:15], v[54:55], v[58:59]
	v_fmac_f64_e32 v[10:11], 0, v[58:59]
	;; [unrolled: 1-line block ×16, first 2 shown]
	s_clause 0x1
	global_load_b128 v[50:53], v[34:35], off offset:8304
	global_load_b128 v[54:57], v[34:35], off offset:8288
	;; [unrolled: 1-line block ×3, first 2 shown]
	s_wait_loadcnt 0xf
	v_fmac_f64_e32 v[14:15], v[66:67], v[70:71]
	v_fmac_f64_e32 v[10:11], 0, v[70:71]
	;; [unrolled: 1-line block ×8, first 2 shown]
	v_sub_nc_u64_e32 v[70:71], v[110:111], v[28:29]
	s_delay_alu instid0(VALU_DEP_1) | instskip(NEXT) | instid1(VALU_DEP_1)
	v_lshlrev_b64_e32 v[70:71], 6, v[70:71]
	v_add_nc_u64_e32 v[110:111], s[4:5], v[70:71]
	v_fmac_f64_e32 v[14:15], 0x80000000, v[72:73]
	v_fmac_f64_e32 v[10:11], v[66:67], v[72:73]
	v_fmac_f64_e32 v[18:19], 0x80000000, v[72:73]
	v_fmac_f64_e32 v[16:17], v[68:69], v[72:73]
	v_fmac_f64_e32 v[24:25], 0x80000000, v[72:73]
	v_fmac_f64_e32 v[20:21], v[62:63], v[72:73]
	v_fmac_f64_e32 v[12:13], 0x80000000, v[72:73]
	v_fmac_f64_e32 v[22:23], v[64:65], v[72:73]
	s_clause 0x1
	global_load_b128 v[62:65], v[34:35], off offset:16400
	global_load_b128 v[66:69], v[34:35], off offset:16384
	global_load_b128 v[70:73], v[110:111], off
	s_wait_loadcnt 0xf
	v_fmac_f64_e32 v[14:15], v[78:79], v[82:83]
	v_fmac_f64_e32 v[10:11], 0, v[82:83]
	v_fmac_f64_e32 v[18:19], v[80:81], v[82:83]
	v_fmac_f64_e32 v[16:17], 0, v[82:83]
	v_fmac_f64_e32 v[24:25], v[74:75], v[82:83]
	v_fmac_f64_e32 v[20:21], 0, v[82:83]
	v_fmac_f64_e32 v[12:13], v[76:77], v[82:83]
	v_fmac_f64_e32 v[22:23], 0, v[82:83]
	v_fmac_f64_e32 v[14:15], 0x80000000, v[84:85]
	v_fmac_f64_e32 v[10:11], v[78:79], v[84:85]
	v_fmac_f64_e32 v[18:19], 0x80000000, v[84:85]
	v_fmac_f64_e32 v[16:17], v[80:81], v[84:85]
	v_fmac_f64_e32 v[24:25], 0x80000000, v[84:85]
	v_fmac_f64_e32 v[20:21], v[74:75], v[84:85]
	v_fmac_f64_e32 v[12:13], 0x80000000, v[84:85]
	v_fmac_f64_e32 v[22:23], v[76:77], v[84:85]
	s_clause 0x1
	global_load_b128 v[74:77], v[34:35], off offset:16432
	global_load_b128 v[78:81], v[34:35], off offset:16416
	global_load_b128 v[82:85], v[110:111], off offset:16
	s_wait_loadcnt 0xf
	v_fmac_f64_e32 v[14:15], v[90:91], v[94:95]
	v_fmac_f64_e32 v[10:11], 0, v[94:95]
	v_fmac_f64_e32 v[18:19], v[92:93], v[94:95]
	v_fmac_f64_e32 v[16:17], 0, v[94:95]
	v_fmac_f64_e32 v[24:25], v[86:87], v[94:95]
	v_fmac_f64_e32 v[20:21], 0, v[94:95]
	v_fmac_f64_e32 v[12:13], v[88:89], v[94:95]
	v_fmac_f64_e32 v[22:23], 0, v[94:95]
	v_fmac_f64_e32 v[14:15], 0x80000000, v[96:97]
	v_fmac_f64_e32 v[10:11], v[90:91], v[96:97]
	v_fmac_f64_e32 v[18:19], 0x80000000, v[96:97]
	v_fmac_f64_e32 v[16:17], v[92:93], v[96:97]
	v_fmac_f64_e32 v[24:25], 0x80000000, v[96:97]
	v_fmac_f64_e32 v[20:21], v[86:87], v[96:97]
	v_fmac_f64_e32 v[12:13], 0x80000000, v[96:97]
	v_fmac_f64_e32 v[22:23], v[88:89], v[96:97]
	s_clause 0x1
	global_load_b128 v[86:89], v[34:35], off offset:16464
	global_load_b128 v[90:93], v[34:35], off offset:16448
	global_load_b128 v[94:97], v[110:111], off offset:32
	;; [unrolled: 21-line block ×3, first 2 shown]
	global_load_b128 v[110:113], v[34:35], off offset:24592
	s_wait_loadcnt 0x10
	v_fmac_f64_e32 v[14:15], v[42:43], v[46:47]
	v_fmac_f64_e32 v[10:11], 0, v[46:47]
	;; [unrolled: 1-line block ×16, first 2 shown]
	v_sub_nc_u64_e32 v[42:43], v[114:115], v[28:29]
	global_load_b128 v[38:41], v[34:35], off offset:24576
	v_lshlrev_b64_e32 v[42:43], 6, v[42:43]
	s_delay_alu instid0(VALU_DEP_1)
	v_add_nc_u64_e32 v[114:115], s[4:5], v[42:43]
	s_clause 0x1
	global_load_b128 v[42:45], v[114:115], off offset:16
	global_load_b128 v[46:49], v[114:115], off
	s_wait_loadcnt 0x10
	v_fmac_f64_e32 v[14:15], v[54:55], v[58:59]
	v_fmac_f64_e32 v[10:11], 0, v[58:59]
	;; [unrolled: 1-line block ×16, first 2 shown]
	s_clause 0x1
	global_load_b128 v[50:53], v[34:35], off offset:24624
	global_load_b128 v[54:57], v[34:35], off offset:24608
	s_wait_loadcnt 0xf
	v_fmac_f64_e32 v[14:15], v[66:67], v[70:71]
	v_fmac_f64_e32 v[10:11], 0, v[70:71]
	;; [unrolled: 1-line block ×16, first 2 shown]
	s_clause 0x1
	global_load_b128 v[58:61], v[34:35], off offset:24656
	global_load_b128 v[62:65], v[34:35], off offset:24640
	s_clause 0x1
	global_load_b128 v[66:69], v[114:115], off offset:48
	global_load_b128 v[70:73], v[114:115], off offset:32
	s_wait_loadcnt 0x10
	v_fmac_f64_e32 v[14:15], v[78:79], v[82:83]
	v_fmac_f64_e32 v[10:11], 0, v[82:83]
	;; [unrolled: 1-line block ×16, first 2 shown]
	s_clause 0x1
	global_load_b128 v[74:77], v[34:35], off offset:24672
	global_load_b128 v[78:81], v[34:35], off offset:24688
	s_wait_xcnt 0x0
	v_add_nc_u64_e32 v[34:35], 0x8000, v[34:35]
	s_wait_loadcnt 0xf
	v_fmac_f64_e32 v[14:15], v[90:91], v[94:95]
	v_fmac_f64_e32 v[10:11], 0, v[94:95]
	v_fmac_f64_e32 v[18:19], v[92:93], v[94:95]
	v_fmac_f64_e32 v[16:17], 0, v[94:95]
	v_fmac_f64_e32 v[24:25], v[86:87], v[94:95]
	v_fmac_f64_e32 v[20:21], 0, v[94:95]
	v_fmac_f64_e32 v[12:13], v[88:89], v[94:95]
	v_fmac_f64_e32 v[22:23], 0, v[94:95]
	v_fmac_f64_e32 v[14:15], 0x80000000, v[96:97]
	v_fmac_f64_e32 v[10:11], v[90:91], v[96:97]
	v_fmac_f64_e32 v[18:19], 0x80000000, v[96:97]
	v_fmac_f64_e32 v[16:17], v[92:93], v[96:97]
	v_fmac_f64_e32 v[24:25], 0x80000000, v[96:97]
	v_fmac_f64_e32 v[20:21], v[86:87], v[96:97]
	v_fmac_f64_e32 v[12:13], 0x80000000, v[96:97]
	v_fmac_f64_e32 v[22:23], v[88:89], v[96:97]
	s_wait_loadcnt 0xc
	v_fmac_f64_e32 v[14:15], v[102:103], v[106:107]
	v_fmac_f64_e32 v[10:11], 0, v[106:107]
	v_fmac_f64_e32 v[18:19], v[104:105], v[106:107]
	v_fmac_f64_e32 v[16:17], 0, v[106:107]
	v_fmac_f64_e32 v[24:25], v[98:99], v[106:107]
	v_fmac_f64_e32 v[20:21], 0, v[106:107]
	v_fmac_f64_e32 v[12:13], v[100:101], v[106:107]
	v_fmac_f64_e32 v[22:23], 0, v[106:107]
	v_fmac_f64_e32 v[14:15], 0x80000000, v[108:109]
	v_fmac_f64_e32 v[10:11], v[102:103], v[108:109]
	v_fmac_f64_e32 v[18:19], 0x80000000, v[108:109]
	v_fmac_f64_e32 v[16:17], v[104:105], v[108:109]
	v_fmac_f64_e32 v[24:25], 0x80000000, v[108:109]
	v_fmac_f64_e32 v[20:21], v[98:99], v[108:109]
	v_fmac_f64_e32 v[12:13], 0x80000000, v[108:109]
	v_fmac_f64_e32 v[22:23], v[100:101], v[108:109]
	;; [unrolled: 17-line block ×5, first 2 shown]
	s_wait_loadcnt 0x1
	v_fmac_f64_e32 v[14:15], v[74:75], v[66:67]
	v_fmac_f64_e32 v[10:11], 0, v[66:67]
	;; [unrolled: 1-line block ×4, first 2 shown]
	s_wait_loadcnt 0x0
	v_fmac_f64_e32 v[24:25], v[78:79], v[66:67]
	v_fmac_f64_e32 v[20:21], 0, v[66:67]
	v_fmac_f64_e32 v[12:13], v[80:81], v[66:67]
	v_fmac_f64_e32 v[22:23], 0, v[66:67]
	v_fmac_f64_e32 v[14:15], 0x80000000, v[68:69]
	v_fmac_f64_e32 v[10:11], v[74:75], v[68:69]
	v_fmac_f64_e32 v[18:19], 0x80000000, v[68:69]
	v_fmac_f64_e32 v[16:17], v[76:77], v[68:69]
	v_fmac_f64_e32 v[24:25], 0x80000000, v[68:69]
	v_fmac_f64_e32 v[20:21], v[78:79], v[68:69]
	v_fmac_f64_e32 v[12:13], 0x80000000, v[68:69]
	v_fmac_f64_e32 v[22:23], v[80:81], v[68:69]
	s_and_not1_b32 exec_lo, exec_lo, s6
	s_cbranch_execnz .LBB149_33
; %bb.34:
	s_or_b32 exec_lo, exec_lo, s6
.LBB149_35:
	s_delay_alu instid0(SALU_CYCLE_1)
	s_or_b32 exec_lo, exec_lo, s2
.LBB149_36:
	s_delay_alu instid0(SALU_CYCLE_1)
	s_or_b32 exec_lo, exec_lo, s3
.LBB149_37:
	v_mbcnt_lo_u32_b32 v1, -1, 0
	s_delay_alu instid0(VALU_DEP_1) | instskip(NEXT) | instid1(VALU_DEP_1)
	v_or_b32_e32 v28, 32, v1
	v_cmp_gt_i32_e32 vcc_lo, 32, v28
	v_cndmask_b32_e32 v28, v1, v28, vcc_lo
	s_delay_alu instid0(VALU_DEP_1)
	v_lshlrev_b32_e32 v43, 2, v28
	ds_bpermute_b32 v34, v43, v16
	ds_bpermute_b32 v35, v43, v17
	s_wait_dscnt 0x0
	v_add_f64_e32 v[16:17], v[16:17], v[34:35]
	ds_bpermute_b32 v28, v43, v14
	ds_bpermute_b32 v29, v43, v15
	;; [unrolled: 1-line block ×14, first 2 shown]
	s_wait_dscnt 0xc
	v_add_f64_e32 v[14:15], v[14:15], v[28:29]
	s_wait_dscnt 0xa
	v_dual_add_f64 v[20:21], v[20:21], v[38:39] :: v_dual_bitop2_b32 v28, 16, v1 bitop3:0x14
	s_wait_dscnt 0x8
	v_add_f64_e32 v[10:11], v[10:11], v[30:31]
	s_delay_alu instid0(VALU_DEP_2)
	v_cmp_gt_i32_e32 vcc_lo, 32, v28
	s_wait_dscnt 0x6
	v_add_f64_e32 v[18:19], v[18:19], v[32:33]
	s_wait_dscnt 0x4
	v_add_f64_e32 v[24:25], v[24:25], v[36:37]
	;; [unrolled: 2-line block ×3, first 2 shown]
	s_wait_dscnt 0x0
	v_dual_add_f64 v[22:23], v[22:23], v[42:43] :: v_dual_cndmask_b32 v28, v1, v28, vcc_lo
	s_delay_alu instid0(VALU_DEP_1)
	v_lshlrev_b32_e32 v43, 2, v28
	ds_bpermute_b32 v34, v43, v16
	ds_bpermute_b32 v35, v43, v17
	s_wait_dscnt 0x0
	v_add_f64_e32 v[16:17], v[16:17], v[34:35]
	ds_bpermute_b32 v30, v43, v10
	ds_bpermute_b32 v31, v43, v11
	;; [unrolled: 1-line block ×14, first 2 shown]
	s_wait_dscnt 0xc
	v_add_f64_e32 v[10:11], v[10:11], v[30:31]
	s_wait_dscnt 0xa
	v_add_f64_e32 v[14:15], v[14:15], v[28:29]
	s_wait_dscnt 0x8
	v_dual_add_f64 v[20:21], v[20:21], v[38:39] :: v_dual_bitop2_b32 v28, 8, v1 bitop3:0x14
	s_wait_dscnt 0x6
	v_add_f64_e32 v[18:19], v[18:19], v[32:33]
	s_delay_alu instid0(VALU_DEP_2)
	v_cmp_gt_i32_e32 vcc_lo, 32, v28
	s_wait_dscnt 0x4
	v_add_f64_e32 v[24:25], v[24:25], v[36:37]
	s_wait_dscnt 0x2
	v_add_f64_e32 v[12:13], v[12:13], v[40:41]
	s_wait_dscnt 0x0
	v_dual_add_f64 v[22:23], v[22:23], v[42:43] :: v_dual_cndmask_b32 v28, v1, v28, vcc_lo
	s_delay_alu instid0(VALU_DEP_1)
	v_lshlrev_b32_e32 v43, 2, v28
	ds_bpermute_b32 v30, v43, v10
	ds_bpermute_b32 v31, v43, v11
	s_wait_dscnt 0x0
	v_add_f64_e32 v[10:11], v[10:11], v[30:31]
	ds_bpermute_b32 v28, v43, v14
	ds_bpermute_b32 v29, v43, v15
	ds_bpermute_b32 v34, v43, v16
	ds_bpermute_b32 v35, v43, v17
	ds_bpermute_b32 v32, v43, v18
	ds_bpermute_b32 v33, v43, v19
	ds_bpermute_b32 v36, v43, v24
	ds_bpermute_b32 v37, v43, v25
	ds_bpermute_b32 v38, v43, v20
	ds_bpermute_b32 v39, v43, v21
	ds_bpermute_b32 v40, v43, v12
	ds_bpermute_b32 v41, v43, v13
	ds_bpermute_b32 v42, v43, v22
	ds_bpermute_b32 v43, v43, v23
	s_wait_dscnt 0xc
	v_add_f64_e32 v[14:15], v[14:15], v[28:29]
	s_wait_dscnt 0xa
	v_dual_add_f64 v[16:17], v[16:17], v[34:35] :: v_dual_bitop2_b32 v28, 4, v1 bitop3:0x14
	s_wait_dscnt 0x8
	v_add_f64_e32 v[18:19], v[18:19], v[32:33]
	s_delay_alu instid0(VALU_DEP_2)
	v_cmp_gt_i32_e32 vcc_lo, 32, v28
	s_wait_dscnt 0x6
	v_add_f64_e32 v[24:25], v[24:25], v[36:37]
	s_wait_dscnt 0x2
	v_add_f64_e32 v[12:13], v[12:13], v[40:41]
	s_wait_dscnt 0x0
	v_dual_add_f64 v[22:23], v[22:23], v[42:43] :: v_dual_cndmask_b32 v28, v1, v28, vcc_lo
	s_delay_alu instid0(VALU_DEP_1)
	v_dual_add_f64 v[20:21], v[20:21], v[38:39] :: v_dual_lshlrev_b32 v43, 2, v28
	ds_bpermute_b32 v30, v43, v10
	ds_bpermute_b32 v31, v43, v11
	;; [unrolled: 1-line block ×16, first 2 shown]
	s_wait_dscnt 0xc
	v_add_f64_e32 v[14:15], v[14:15], v[28:29]
	v_dual_add_f64 v[28:29], v[10:11], v[30:31] :: v_dual_bitop2_b32 v10, 2, v1 bitop3:0x14
	s_wait_dscnt 0xa
	v_add_f64_e32 v[16:17], v[16:17], v[34:35]
	s_wait_dscnt 0x8
	v_add_f64_e32 v[18:19], v[18:19], v[32:33]
	;; [unrolled: 2-line block ×3, first 2 shown]
	v_cmp_gt_i32_e32 vcc_lo, 32, v10
	s_wait_dscnt 0x4
	v_add_f64_e32 v[34:35], v[12:13], v[40:41]
	s_wait_dscnt 0x1
	v_add_f64_e32 v[20:21], v[20:21], v[38:39]
	;; [unrolled: 2-line block ×3, first 2 shown]
	v_cndmask_b32_e32 v10, v1, v10, vcc_lo
	s_delay_alu instid0(VALU_DEP_1)
	v_lshlrev_b32_e32 v30, 2, v10
	ds_bpermute_b32 v10, v30, v14
	ds_bpermute_b32 v12, v30, v28
	;; [unrolled: 1-line block ×16, first 2 shown]
	s_wait_dscnt 0xd
	v_add_f64_e32 v[30:31], v[28:29], v[12:13]
	s_wait_dscnt 0xc
	v_add_f64_e32 v[10:11], v[14:15], v[10:11]
	;; [unrolled: 2-line block ×5, first 2 shown]
	v_xor_b32_e32 v22, 1, v1
	v_add_f64_e32 v[24:25], v[16:17], v[36:37]
	v_add_f64_e32 v[16:17], v[34:35], v[42:43]
	s_delay_alu instid0(VALU_DEP_3) | instskip(SKIP_2) | instid1(VALU_DEP_2)
	v_cmp_gt_i32_e32 vcc_lo, 32, v22
	v_cndmask_b32_e32 v1, v1, v22, vcc_lo
	v_cmp_eq_u32_e32 vcc_lo, 63, v0
	v_lshlrev_b32_e32 v1, 2, v1
	s_wait_dscnt 0x0
	v_add_f64_e32 v[20:21], v[20:21], v[40:41]
	ds_bpermute_b32 v22, v1, v10
	ds_bpermute_b32 v23, v1, v11
	ds_bpermute_b32 v42, v1, v30
	ds_bpermute_b32 v43, v1, v31
	ds_bpermute_b32 v28, v1, v12
	ds_bpermute_b32 v29, v1, v13
	ds_bpermute_b32 v32, v1, v14
	ds_bpermute_b32 v33, v1, v15
	ds_bpermute_b32 v36, v1, v18
	ds_bpermute_b32 v37, v1, v19
	ds_bpermute_b32 v40, v1, v24
	ds_bpermute_b32 v41, v1, v25
	ds_bpermute_b32 v34, v1, v16
	ds_bpermute_b32 v35, v1, v17
	ds_bpermute_b32 v38, v1, v20
	ds_bpermute_b32 v39, v1, v21
	s_and_b32 exec_lo, exec_lo, vcc_lo
	s_cbranch_execz .LBB149_8
; %bb.38:
	s_wait_dscnt 0xc
	v_add_f64_e32 v[0:1], v[30:31], v[42:43]
	s_wait_dscnt 0x4
	v_add_f64_e32 v[30:31], v[24:25], v[40:41]
	;; [unrolled: 2-line block ×3, first 2 shown]
	v_add_f64_e32 v[36:37], v[18:19], v[36:37]
	v_add_f64_e32 v[40:41], v[10:11], v[22:23]
	;; [unrolled: 1-line block ×5, first 2 shown]
	v_cmp_eq_f64_e32 vcc_lo, 0, v[2:3]
	v_cmp_eq_f64_e64 s2, 0, v[4:5]
	s_load_b64 s[0:1], s[0:1], 0x68
	v_mul_f64_e64 v[22:23], v[0:1], -v[8:9]
	v_mul_f64_e32 v[24:25], v[6:7], v[0:1]
	v_mul_f64_e64 v[18:19], v[30:31], -v[8:9]
	v_mul_f64_e32 v[20:21], v[6:7], v[30:31]
	;; [unrolled: 2-line block ×4, first 2 shown]
	v_lshlrev_b64_e32 v[0:1], 6, v[26:27]
	s_and_b32 s2, vcc_lo, s2
	v_fmac_f64_e32 v[22:23], v[6:7], v[40:41]
	v_fmac_f64_e32 v[24:25], v[8:9], v[40:41]
	;; [unrolled: 1-line block ×8, first 2 shown]
	s_and_saveexec_b32 s3, s2
	s_delay_alu instid0(SALU_CYCLE_1)
	s_xor_b32 s2, exec_lo, s3
	s_cbranch_execz .LBB149_40
; %bb.39:
	s_wait_kmcnt 0x0
	v_add_nc_u64_e32 v[0:1], s[0:1], v[0:1]
                                        ; implicit-def: $vgpr4_vgpr5
	s_clause 0x3
	global_store_b128 v[0:1], v[22:25], off
	global_store_b128 v[0:1], v[18:21], off offset:16
	global_store_b128 v[0:1], v[14:17], off offset:32
	;; [unrolled: 1-line block ×3, first 2 shown]
                                        ; implicit-def: $vgpr22_vgpr23
                                        ; implicit-def: $vgpr0_vgpr1
                                        ; implicit-def: $vgpr18_vgpr19
                                        ; implicit-def: $vgpr14_vgpr15
                                        ; implicit-def: $vgpr10_vgpr11
.LBB149_40:
	s_wait_xcnt 0x0
	s_and_not1_saveexec_b32 s2, s2
	s_cbranch_execz .LBB149_8
; %bb.41:
	s_wait_kmcnt 0x0
	v_add_nc_u64_e32 v[0:1], s[0:1], v[0:1]
	s_clause 0x3
	global_load_b128 v[6:9], v[0:1], off
	global_load_b128 v[26:29], v[0:1], off offset:16
	global_load_b128 v[30:33], v[0:1], off offset:32
	;; [unrolled: 1-line block ×3, first 2 shown]
	s_wait_loadcnt 0x3
	v_fmac_f64_e32 v[22:23], v[2:3], v[6:7]
	v_fmac_f64_e32 v[24:25], v[4:5], v[6:7]
	s_wait_loadcnt 0x2
	v_fmac_f64_e32 v[18:19], v[2:3], v[26:27]
	v_fmac_f64_e32 v[20:21], v[4:5], v[26:27]
	;; [unrolled: 3-line block ×4, first 2 shown]
	v_fma_f64 v[22:23], -v[4:5], v[8:9], v[22:23]
	v_fmac_f64_e32 v[24:25], v[2:3], v[8:9]
	v_fma_f64 v[18:19], -v[4:5], v[28:29], v[18:19]
	v_fmac_f64_e32 v[20:21], v[2:3], v[28:29]
	;; [unrolled: 2-line block ×4, first 2 shown]
	s_clause 0x3
	global_store_b128 v[0:1], v[22:25], off
	global_store_b128 v[0:1], v[18:21], off offset:16
	global_store_b128 v[0:1], v[14:17], off offset:32
	;; [unrolled: 1-line block ×3, first 2 shown]
	s_sendmsg sendmsg(MSG_DEALLOC_VGPRS)
	s_endpgm
	.section	.rodata,"a",@progbits
	.p2align	6, 0x0
	.amdhsa_kernel _ZN9rocsparseL18bsrxmvn_4x4_kernelILj128ELj64E21rocsparse_complex_numIdElldS2_S2_EEvT3_20rocsparse_direction_NS_24const_host_device_scalarIT1_EES3_PKS3_PKT2_SC_S9_PKT4_PKT5_S7_PT6_21rocsparse_index_base_b
		.amdhsa_group_segment_fixed_size 0
		.amdhsa_private_segment_fixed_size 0
		.amdhsa_kernarg_size 120
		.amdhsa_user_sgpr_count 2
		.amdhsa_user_sgpr_dispatch_ptr 0
		.amdhsa_user_sgpr_queue_ptr 0
		.amdhsa_user_sgpr_kernarg_segment_ptr 1
		.amdhsa_user_sgpr_dispatch_id 0
		.amdhsa_user_sgpr_kernarg_preload_length 0
		.amdhsa_user_sgpr_kernarg_preload_offset 0
		.amdhsa_user_sgpr_private_segment_size 0
		.amdhsa_wavefront_size32 1
		.amdhsa_uses_dynamic_stack 0
		.amdhsa_enable_private_segment 0
		.amdhsa_system_sgpr_workgroup_id_x 1
		.amdhsa_system_sgpr_workgroup_id_y 0
		.amdhsa_system_sgpr_workgroup_id_z 0
		.amdhsa_system_sgpr_workgroup_info 0
		.amdhsa_system_vgpr_workitem_id 0
		.amdhsa_next_free_vgpr 144
		.amdhsa_next_free_sgpr 12
		.amdhsa_named_barrier_count 0
		.amdhsa_reserve_vcc 1
		.amdhsa_float_round_mode_32 0
		.amdhsa_float_round_mode_16_64 0
		.amdhsa_float_denorm_mode_32 3
		.amdhsa_float_denorm_mode_16_64 3
		.amdhsa_fp16_overflow 0
		.amdhsa_memory_ordered 1
		.amdhsa_forward_progress 1
		.amdhsa_inst_pref_size 66
		.amdhsa_round_robin_scheduling 0
		.amdhsa_exception_fp_ieee_invalid_op 0
		.amdhsa_exception_fp_denorm_src 0
		.amdhsa_exception_fp_ieee_div_zero 0
		.amdhsa_exception_fp_ieee_overflow 0
		.amdhsa_exception_fp_ieee_underflow 0
		.amdhsa_exception_fp_ieee_inexact 0
		.amdhsa_exception_int_div_zero 0
	.end_amdhsa_kernel
	.section	.text._ZN9rocsparseL18bsrxmvn_4x4_kernelILj128ELj64E21rocsparse_complex_numIdElldS2_S2_EEvT3_20rocsparse_direction_NS_24const_host_device_scalarIT1_EES3_PKS3_PKT2_SC_S9_PKT4_PKT5_S7_PT6_21rocsparse_index_base_b,"axG",@progbits,_ZN9rocsparseL18bsrxmvn_4x4_kernelILj128ELj64E21rocsparse_complex_numIdElldS2_S2_EEvT3_20rocsparse_direction_NS_24const_host_device_scalarIT1_EES3_PKS3_PKT2_SC_S9_PKT4_PKT5_S7_PT6_21rocsparse_index_base_b,comdat
.Lfunc_end149:
	.size	_ZN9rocsparseL18bsrxmvn_4x4_kernelILj128ELj64E21rocsparse_complex_numIdElldS2_S2_EEvT3_20rocsparse_direction_NS_24const_host_device_scalarIT1_EES3_PKS3_PKT2_SC_S9_PKT4_PKT5_S7_PT6_21rocsparse_index_base_b, .Lfunc_end149-_ZN9rocsparseL18bsrxmvn_4x4_kernelILj128ELj64E21rocsparse_complex_numIdElldS2_S2_EEvT3_20rocsparse_direction_NS_24const_host_device_scalarIT1_EES3_PKS3_PKT2_SC_S9_PKT4_PKT5_S7_PT6_21rocsparse_index_base_b
                                        ; -- End function
	.set _ZN9rocsparseL18bsrxmvn_4x4_kernelILj128ELj64E21rocsparse_complex_numIdElldS2_S2_EEvT3_20rocsparse_direction_NS_24const_host_device_scalarIT1_EES3_PKS3_PKT2_SC_S9_PKT4_PKT5_S7_PT6_21rocsparse_index_base_b.num_vgpr, 144
	.set _ZN9rocsparseL18bsrxmvn_4x4_kernelILj128ELj64E21rocsparse_complex_numIdElldS2_S2_EEvT3_20rocsparse_direction_NS_24const_host_device_scalarIT1_EES3_PKS3_PKT2_SC_S9_PKT4_PKT5_S7_PT6_21rocsparse_index_base_b.num_agpr, 0
	.set _ZN9rocsparseL18bsrxmvn_4x4_kernelILj128ELj64E21rocsparse_complex_numIdElldS2_S2_EEvT3_20rocsparse_direction_NS_24const_host_device_scalarIT1_EES3_PKS3_PKT2_SC_S9_PKT4_PKT5_S7_PT6_21rocsparse_index_base_b.numbered_sgpr, 12
	.set _ZN9rocsparseL18bsrxmvn_4x4_kernelILj128ELj64E21rocsparse_complex_numIdElldS2_S2_EEvT3_20rocsparse_direction_NS_24const_host_device_scalarIT1_EES3_PKS3_PKT2_SC_S9_PKT4_PKT5_S7_PT6_21rocsparse_index_base_b.num_named_barrier, 0
	.set _ZN9rocsparseL18bsrxmvn_4x4_kernelILj128ELj64E21rocsparse_complex_numIdElldS2_S2_EEvT3_20rocsparse_direction_NS_24const_host_device_scalarIT1_EES3_PKS3_PKT2_SC_S9_PKT4_PKT5_S7_PT6_21rocsparse_index_base_b.private_seg_size, 0
	.set _ZN9rocsparseL18bsrxmvn_4x4_kernelILj128ELj64E21rocsparse_complex_numIdElldS2_S2_EEvT3_20rocsparse_direction_NS_24const_host_device_scalarIT1_EES3_PKS3_PKT2_SC_S9_PKT4_PKT5_S7_PT6_21rocsparse_index_base_b.uses_vcc, 1
	.set _ZN9rocsparseL18bsrxmvn_4x4_kernelILj128ELj64E21rocsparse_complex_numIdElldS2_S2_EEvT3_20rocsparse_direction_NS_24const_host_device_scalarIT1_EES3_PKS3_PKT2_SC_S9_PKT4_PKT5_S7_PT6_21rocsparse_index_base_b.uses_flat_scratch, 0
	.set _ZN9rocsparseL18bsrxmvn_4x4_kernelILj128ELj64E21rocsparse_complex_numIdElldS2_S2_EEvT3_20rocsparse_direction_NS_24const_host_device_scalarIT1_EES3_PKS3_PKT2_SC_S9_PKT4_PKT5_S7_PT6_21rocsparse_index_base_b.has_dyn_sized_stack, 0
	.set _ZN9rocsparseL18bsrxmvn_4x4_kernelILj128ELj64E21rocsparse_complex_numIdElldS2_S2_EEvT3_20rocsparse_direction_NS_24const_host_device_scalarIT1_EES3_PKS3_PKT2_SC_S9_PKT4_PKT5_S7_PT6_21rocsparse_index_base_b.has_recursion, 0
	.set _ZN9rocsparseL18bsrxmvn_4x4_kernelILj128ELj64E21rocsparse_complex_numIdElldS2_S2_EEvT3_20rocsparse_direction_NS_24const_host_device_scalarIT1_EES3_PKS3_PKT2_SC_S9_PKT4_PKT5_S7_PT6_21rocsparse_index_base_b.has_indirect_call, 0
	.section	.AMDGPU.csdata,"",@progbits
; Kernel info:
; codeLenInByte = 8380
; TotalNumSgprs: 14
; NumVgprs: 144
; ScratchSize: 0
; MemoryBound: 0
; FloatMode: 240
; IeeeMode: 1
; LDSByteSize: 0 bytes/workgroup (compile time only)
; SGPRBlocks: 0
; VGPRBlocks: 8
; NumSGPRsForWavesPerEU: 14
; NumVGPRsForWavesPerEU: 144
; NamedBarCnt: 0
; Occupancy: 7
; WaveLimiterHint : 1
; COMPUTE_PGM_RSRC2:SCRATCH_EN: 0
; COMPUTE_PGM_RSRC2:USER_SGPR: 2
; COMPUTE_PGM_RSRC2:TRAP_HANDLER: 0
; COMPUTE_PGM_RSRC2:TGID_X_EN: 1
; COMPUTE_PGM_RSRC2:TGID_Y_EN: 0
; COMPUTE_PGM_RSRC2:TGID_Z_EN: 0
; COMPUTE_PGM_RSRC2:TIDIG_COMP_CNT: 0
	.section	.text._ZN9rocsparseL18bsrxmvn_4x4_kernelILj128ELj4EdiifddEEvT3_20rocsparse_direction_NS_24const_host_device_scalarIT1_EES1_PKS1_PKT2_SA_S7_PKT4_PKT5_S5_PT6_21rocsparse_index_base_b,"axG",@progbits,_ZN9rocsparseL18bsrxmvn_4x4_kernelILj128ELj4EdiifddEEvT3_20rocsparse_direction_NS_24const_host_device_scalarIT1_EES1_PKS1_PKT2_SA_S7_PKT4_PKT5_S5_PT6_21rocsparse_index_base_b,comdat
	.globl	_ZN9rocsparseL18bsrxmvn_4x4_kernelILj128ELj4EdiifddEEvT3_20rocsparse_direction_NS_24const_host_device_scalarIT1_EES1_PKS1_PKT2_SA_S7_PKT4_PKT5_S5_PT6_21rocsparse_index_base_b ; -- Begin function _ZN9rocsparseL18bsrxmvn_4x4_kernelILj128ELj4EdiifddEEvT3_20rocsparse_direction_NS_24const_host_device_scalarIT1_EES1_PKS1_PKT2_SA_S7_PKT4_PKT5_S5_PT6_21rocsparse_index_base_b
	.p2align	8
	.type	_ZN9rocsparseL18bsrxmvn_4x4_kernelILj128ELj4EdiifddEEvT3_20rocsparse_direction_NS_24const_host_device_scalarIT1_EES1_PKS1_PKT2_SA_S7_PKT4_PKT5_S5_PT6_21rocsparse_index_base_b,@function
_ZN9rocsparseL18bsrxmvn_4x4_kernelILj128ELj4EdiifddEEvT3_20rocsparse_direction_NS_24const_host_device_scalarIT1_EES1_PKS1_PKT2_SA_S7_PKT4_PKT5_S5_PT6_21rocsparse_index_base_b: ; @_ZN9rocsparseL18bsrxmvn_4x4_kernelILj128ELj4EdiifddEEvT3_20rocsparse_direction_NS_24const_host_device_scalarIT1_EES1_PKS1_PKT2_SA_S7_PKT4_PKT5_S5_PT6_21rocsparse_index_base_b
; %bb.0:
	s_clause 0x2
	s_load_b64 s[12:13], s[0:1], 0x58
	s_load_b64 s[4:5], s[0:1], 0x8
	s_load_b64 s[2:3], s[0:1], 0x48
	s_wait_kmcnt 0x0
	s_bitcmp1_b32 s13, 0
	v_mov_b64_e32 v[2:3], s[4:5]
	s_cselect_b32 s6, -1, 0
	s_delay_alu instid0(SALU_CYCLE_1)
	s_and_b32 vcc_lo, exec_lo, s6
	s_xor_b32 s6, s6, -1
	s_cbranch_vccnz .LBB150_2
; %bb.1:
	v_mov_b32_e32 v1, 0
	flat_load_b64 v[2:3], v1, s[4:5]
.LBB150_2:
	v_mov_b64_e32 v[8:9], s[2:3]
	s_and_not1_b32 vcc_lo, exec_lo, s6
	s_cbranch_vccnz .LBB150_4
; %bb.3:
	s_wait_xcnt 0x0
	v_mov_b32_e32 v1, 0
	flat_load_b64 v[8:9], v1, s[2:3]
.LBB150_4:
	s_wait_loadcnt_dscnt 0x0
	v_cmp_neq_f64_e32 vcc_lo, 0, v[2:3]
	s_delay_alu instid0(VALU_DEP_2) | instskip(SKIP_1) | instid1(SALU_CYCLE_1)
	v_cmp_neq_f64_e64 s2, 1.0, v[8:9]
	s_or_b32 s2, vcc_lo, s2
	s_and_saveexec_b32 s3, s2
	s_cbranch_execz .LBB150_10
; %bb.5:
	s_clause 0x1
	s_load_b64 s[4:5], s[0:1], 0x18
	s_load_b64 s[2:3], s[0:1], 0x0
	s_bfe_u32 s6, ttmp6, 0x4000c
	s_and_b32 s7, ttmp6, 15
	s_add_co_i32 s6, s6, 1
	s_getreg_b32 s8, hwreg(HW_REG_IB_STS2, 6, 4)
	s_mul_i32 s6, ttmp9, s6
	v_lshrrev_b32_e32 v1, 2, v0
	s_add_co_i32 s7, s7, s6
	s_cmp_eq_u32 s8, 0
	s_cselect_b32 s6, ttmp9, s7
	s_delay_alu instid0(VALU_DEP_1) | instid1(SALU_CYCLE_1)
	v_lshl_or_b32 v10, s6, 5, v1
	s_mov_b32 s6, 0
	s_wait_kmcnt 0x0
	s_cmp_lg_u64 s[4:5], 0
	s_cbranch_scc0 .LBB150_11
; %bb.6:
	s_load_b32 s6, s[0:1], 0x10
	s_mov_b32 s7, 0
                                        ; implicit-def: $vgpr1
	s_wait_kmcnt 0x0
	v_cmp_gt_i32_e32 vcc_lo, s6, v10
	s_mov_b32 s6, 0
	s_and_saveexec_b32 s8, vcc_lo
	s_delay_alu instid0(SALU_CYCLE_1)
	s_xor_b32 s8, exec_lo, s8
	s_cbranch_execz .LBB150_8
; %bb.7:
	global_load_b32 v1, v10, s[4:5] scale_offset
	s_mov_b32 s6, exec_lo
	s_wait_loadcnt 0x0
	v_subrev_nc_u32_e32 v1, s12, v1
.LBB150_8:
	s_or_b32 exec_lo, exec_lo, s8
	s_delay_alu instid0(SALU_CYCLE_1)
	s_and_b32 vcc_lo, exec_lo, s7
	s_cbranch_vccz .LBB150_12
.LBB150_9:
	v_cmp_gt_i32_e32 vcc_lo, s2, v10
	s_and_not1_b32 s2, s6, exec_lo
	s_and_b32 s4, vcc_lo, exec_lo
	s_delay_alu instid0(SALU_CYCLE_1) | instskip(NEXT) | instid1(SALU_CYCLE_1)
	s_or_b32 s6, s2, s4
	s_and_b32 exec_lo, exec_lo, s6
	s_cbranch_execnz .LBB150_13
.LBB150_10:
	s_sendmsg sendmsg(MSG_DEALLOC_VGPRS)
	s_endpgm
.LBB150_11:
                                        ; implicit-def: $vgpr1
	s_cbranch_execnz .LBB150_9
.LBB150_12:
	s_delay_alu instid0(VALU_DEP_1)
	v_mov_b32_e32 v10, v1
	s_and_b32 exec_lo, exec_lo, s6
	s_cbranch_execz .LBB150_10
.LBB150_13:
	s_load_b256 s[4:11], s[0:1], 0x20
	s_wait_kmcnt 0x0
	s_cmp_eq_u64 s[6:7], 0
	global_load_b32 v20, v10, s[4:5] scale_offset
	s_cselect_b32 vcc_lo, -1, 0
	v_ashrrev_i32_e32 v11, 31, v10
	s_cmp_eq_u32 s3, 1
	s_delay_alu instid0(VALU_DEP_1) | instskip(SKIP_1) | instid1(VALU_DEP_2)
	v_lshlrev_b64_e32 v[4:5], 2, v[10:11]
	v_and_b32_e32 v11, 3, v0
	v_add_nc_u64_e32 v[6:7], s[4:5], v[4:5]
	v_add_nc_u64_e32 v[4:5], s[6:7], v[4:5]
	s_wait_xcnt 0x0
	s_load_b64 s[4:5], s[0:1], 0x40
	s_delay_alu instid0(VALU_DEP_2) | instskip(NEXT) | instid1(VALU_DEP_1)
	v_add_nc_u64_e32 v[6:7], 4, v[6:7]
	v_dual_cndmask_b32 v5, v5, v7 :: v_dual_cndmask_b32 v4, v4, v6
	global_load_b32 v6, v[4:5], off
	s_wait_loadcnt 0x1
	v_subrev_nc_u32_e32 v0, s12, v20
	s_wait_xcnt 0x0
	s_delay_alu instid0(VALU_DEP_1) | instskip(NEXT) | instid1(VALU_DEP_1)
	v_add_nc_u32_e32 v4, v0, v11
	v_ashrrev_i32_e32 v5, 31, v4
	s_delay_alu instid0(VALU_DEP_1) | instskip(SKIP_2) | instid1(VALU_DEP_2)
	v_lshlrev_b64_e32 v[0:1], 6, v[4:5]
	s_wait_loadcnt 0x0
	v_subrev_nc_u32_e32 v5, s12, v6
	v_add_nc_u64_e32 v[6:7], s[10:11], v[0:1]
	s_delay_alu instid0(VALU_DEP_2)
	v_cmp_lt_i32_e64 s2, v4, v5
	s_cbranch_scc1 .LBB150_25
; %bb.14:
	v_mov_b64_e32 v[0:1], 0
	v_mov_b64_e32 v[14:15], 0
	;; [unrolled: 1-line block ×4, first 2 shown]
	s_and_saveexec_b32 s3, s2
	s_cbranch_execz .LBB150_24
; %bb.15:
	v_add_nc_u32_e32 v0, v20, v11
	v_not_b32_e32 v1, v20
	v_mov_b64_e32 v[12:13], 0
	v_mov_b64_e32 v[16:17], 0
	v_mov_b64_e32 v[14:15], 0
	v_subrev_nc_u32_e32 v0, s12, v0
	v_mov_b32_e32 v21, v4
	s_delay_alu instid0(VALU_DEP_2) | instskip(NEXT) | instid1(VALU_DEP_1)
	v_add_max_i32_e64 v0, v0, 4, v5
	v_add3_u32 v0, s12, v0, v1
	s_delay_alu instid0(VALU_DEP_1) | instskip(SKIP_1) | instid1(VALU_DEP_2)
	v_sub_nc_u32_e32 v22, v0, v11
	v_mov_b64_e32 v[0:1], 0
	v_and_b32_e32 v18, 12, v22
	s_delay_alu instid0(VALU_DEP_1)
	v_cmp_ne_u32_e32 vcc_lo, 12, v18
	v_mov_b64_e32 v[18:19], v[6:7]
	s_and_saveexec_b32 s6, vcc_lo
	s_cbranch_execz .LBB150_19
; %bb.16:
	v_lshrrev_b32_e32 v0, 2, v22
	v_mov_b64_e32 v[18:19], v[6:7]
	v_mov_b64_e32 v[14:15], 0
	;; [unrolled: 1-line block ×3, first 2 shown]
	s_mov_b32 s7, 0
	v_add_nc_u32_e32 v12, 1, v0
	v_mov_b64_e32 v[0:1], 0
	s_delay_alu instid0(VALU_DEP_2) | instskip(SKIP_1) | instid1(VALU_DEP_2)
	v_and_b32_e32 v21, 3, v12
	v_mov_b64_e32 v[12:13], 0
	v_dual_sub_nc_u32 v23, 0, v21 :: v_dual_mov_b32 v21, v4
.LBB150_17:                             ; =>This Inner Loop Header: Depth=1
	global_load_b32 v40, v21, s[8:9] scale_offset
	s_clause 0x3
	global_load_b128 v[24:27], v[18:19], off
	global_load_b128 v[28:31], v[18:19], off offset:16
	global_load_b128 v[32:35], v[18:19], off offset:32
	;; [unrolled: 1-line block ×3, first 2 shown]
	s_wait_xcnt 0x0
	v_add_nc_u64_e32 v[18:19], 0x100, v[18:19]
	v_add_co_u32 v23, s10, v23, 1
	s_or_b32 s7, s10, s7
	v_add_nc_u32_e32 v21, 4, v21
	s_wait_loadcnt 0x4
	v_subrev_nc_u32_e32 v40, s12, v40
	s_wait_loadcnt 0x2
	v_cvt_f64_f32_e32 v[50:51], v28
	s_wait_loadcnt 0x1
	v_cvt_f64_f32_e32 v[52:53], v32
	;; [unrolled: 2-line block ×3, first 2 shown]
	v_lshlrev_b32_e32 v40, 2, v40
	v_cvt_f64_f32_e32 v[28:29], v29
	v_cvt_f64_f32_e32 v[32:33], v33
	;; [unrolled: 1-line block ×3, first 2 shown]
	s_delay_alu instid0(VALU_DEP_4) | instskip(SKIP_1) | instid1(VALU_DEP_1)
	v_ashrrev_i32_e32 v41, 31, v40
	s_wait_kmcnt 0x0
	v_lshl_add_u64 v[48:49], v[40:41], 3, s[4:5]
	s_clause 0x1
	global_load_b128 v[40:43], v[48:49], off
	global_load_b128 v[44:47], v[48:49], off offset:16
	s_wait_xcnt 0x0
	v_cvt_f64_f32_e32 v[48:49], v24
	v_cvt_f64_f32_e32 v[24:25], v25
	s_wait_loadcnt 0x1
	s_delay_alu instid0(VALU_DEP_2)
	v_fmac_f64_e32 v[12:13], v[48:49], v[40:41]
	v_fmac_f64_e32 v[16:17], v[50:51], v[40:41]
	;; [unrolled: 1-line block ×4, first 2 shown]
	v_cvt_f64_f32_e32 v[40:41], v26
	v_cvt_f64_f32_e32 v[48:49], v30
	;; [unrolled: 1-line block ×4, first 2 shown]
	v_fmac_f64_e32 v[12:13], v[24:25], v[42:43]
	v_fmac_f64_e32 v[16:17], v[28:29], v[42:43]
	;; [unrolled: 1-line block ×4, first 2 shown]
	v_cvt_f64_f32_e32 v[24:25], v27
	v_cvt_f64_f32_e32 v[26:27], v31
	;; [unrolled: 1-line block ×4, first 2 shown]
	s_wait_loadcnt 0x0
	v_fmac_f64_e32 v[12:13], v[40:41], v[44:45]
	v_fmac_f64_e32 v[16:17], v[48:49], v[44:45]
	;; [unrolled: 1-line block ×4, first 2 shown]
	s_delay_alu instid0(VALU_DEP_4) | instskip(NEXT) | instid1(VALU_DEP_4)
	v_fmac_f64_e32 v[12:13], v[24:25], v[46:47]
	v_fmac_f64_e32 v[16:17], v[26:27], v[46:47]
	s_delay_alu instid0(VALU_DEP_4) | instskip(NEXT) | instid1(VALU_DEP_4)
	v_fmac_f64_e32 v[14:15], v[28:29], v[46:47]
	v_fmac_f64_e32 v[0:1], v[30:31], v[46:47]
	s_and_not1_b32 exec_lo, exec_lo, s7
	s_cbranch_execnz .LBB150_17
; %bb.18:
	s_or_b32 exec_lo, exec_lo, s7
.LBB150_19:
	s_delay_alu instid0(SALU_CYCLE_1) | instskip(NEXT) | instid1(SALU_CYCLE_1)
	s_or_b32 exec_lo, exec_lo, s6
	s_mov_b32 s6, exec_lo
	v_cmpx_lt_u32_e32 11, v22
	s_cbranch_execz .LBB150_23
; %bb.20:
	s_mov_b32 s7, 0
.LBB150_21:                             ; =>This Inner Loop Header: Depth=1
	s_clause 0x1
	global_load_b32 v38, v21, s[8:9] scale_offset
	global_load_b32 v64, v21, s[8:9] offset:16 scale_offset
	s_clause 0x3
	global_load_b128 v[22:25], v[18:19], off
	global_load_b128 v[26:29], v[18:19], off offset:16
	global_load_b128 v[30:33], v[18:19], off offset:48
	;; [unrolled: 1-line block ×3, first 2 shown]
	s_clause 0x1
	global_load_b32 v98, v21, s[8:9] offset:32 scale_offset
	global_load_b32 v102, v21, s[8:9] offset:48 scale_offset
	s_wait_xcnt 0x0
	v_add_nc_u32_e32 v21, 16, v21
	s_delay_alu instid0(VALU_DEP_1)
	v_cmp_ge_i32_e32 vcc_lo, v21, v5
	s_or_b32 s7, vcc_lo, s7
	s_wait_loadcnt 0x7
	v_subrev_nc_u32_e32 v38, s12, v38
	s_wait_loadcnt 0x4
	v_cvt_f64_f32_e32 v[92:93], v26
	s_wait_loadcnt 0x3
	v_cvt_f64_f32_e32 v[96:97], v30
	v_lshlrev_b32_e32 v38, 2, v38
	s_wait_loadcnt 0x1
	v_subrev_nc_u32_e32 v26, s12, v98
	v_cvt_f64_f32_e32 v[94:95], v34
	v_cvt_f64_f32_e32 v[100:101], v33
	v_ashrrev_i32_e32 v39, 31, v38
	s_wait_kmcnt 0x0
	s_delay_alu instid0(VALU_DEP_1)
	v_lshl_add_u64 v[62:63], v[38:39], 3, s[4:5]
	s_clause 0x1
	global_load_b128 v[38:41], v[62:63], off
	global_load_b128 v[42:45], v[62:63], off offset:16
	s_clause 0x3
	global_load_b128 v[46:49], v[18:19], off offset:256
	global_load_b128 v[50:53], v[18:19], off offset:272
	;; [unrolled: 1-line block ×4, first 2 shown]
	s_wait_xcnt 0x4
	v_subrev_nc_u32_e32 v62, s12, v64
	s_delay_alu instid0(VALU_DEP_1) | instskip(NEXT) | instid1(VALU_DEP_1)
	v_lshlrev_b32_e32 v62, 2, v62
	v_ashrrev_i32_e32 v63, 31, v62
	s_delay_alu instid0(VALU_DEP_1)
	v_lshl_add_u64 v[90:91], v[62:63], 3, s[4:5]
	global_load_b128 v[62:65], v[90:91], off
	s_clause 0x4
	global_load_b128 v[66:69], v[18:19], off offset:560
	global_load_b128 v[70:73], v[18:19], off offset:544
	;; [unrolled: 1-line block ×6, first 2 shown]
	s_wait_xcnt 0x0
	v_cvt_f64_f32_e32 v[90:91], v22
	v_cvt_f64_f32_e32 v[22:23], v23
	s_wait_loadcnt 0xc
	s_delay_alu instid0(VALU_DEP_2)
	v_fmac_f64_e32 v[12:13], v[90:91], v[38:39]
	v_lshlrev_b32_e32 v90, 2, v26
	v_fmac_f64_e32 v[16:17], v[92:93], v[38:39]
	v_cvt_f64_f32_e32 v[26:27], v27
	v_fmac_f64_e32 v[14:15], v[94:95], v[38:39]
	v_fmac_f64_e32 v[0:1], v[96:97], v[38:39]
	v_ashrrev_i32_e32 v91, 31, v90
	v_cvt_f64_f32_e32 v[96:97], v36
	v_cvt_f64_f32_e32 v[94:95], v29
	s_delay_alu instid0(VALU_DEP_3)
	v_lshl_add_u64 v[98:99], v[90:91], 3, s[4:5]
	global_load_b128 v[90:93], v[98:99], off
	v_fmac_f64_e32 v[12:13], v[22:23], v[40:41]
	v_cvt_f64_f32_e32 v[22:23], v35
	v_cvt_f64_f32_e32 v[34:35], v25
	v_fmac_f64_e32 v[16:17], v[26:27], v[40:41]
	v_cvt_f64_f32_e32 v[26:27], v31
	v_cvt_f64_f32_e32 v[30:31], v28
	v_fmac_f64_e32 v[14:15], v[22:23], v[40:41]
	s_delay_alu instid0(VALU_DEP_3)
	v_fmac_f64_e32 v[0:1], v[26:27], v[40:41]
	v_cvt_f64_f32_e32 v[26:27], v24
	global_load_b128 v[22:25], v[98:99], off offset:16
	global_load_b128 v[38:41], v[18:19], off offset:768
	s_wait_xcnt 0x1
	v_cvt_f64_f32_e32 v[98:99], v37
	v_cvt_f64_f32_e32 v[36:37], v32
	s_wait_loadcnt 0xe
	v_fmac_f64_e32 v[16:17], v[30:31], v[42:43]
	global_load_b128 v[30:33], v[18:19], off offset:816
	v_fmac_f64_e32 v[14:15], v[96:97], v[42:43]
	v_subrev_nc_u32_e32 v96, s12, v102
	v_fmac_f64_e32 v[12:13], v[26:27], v[42:43]
	global_load_b128 v[26:29], v[18:19], off offset:800
	v_lshlrev_b32_e32 v96, 2, v96
	s_wait_xcnt 0x0
	v_add_nc_u64_e32 v[18:19], 0x400, v[18:19]
	v_fmac_f64_e32 v[0:1], v[36:37], v[42:43]
	v_fmac_f64_e32 v[16:17], v[94:95], v[44:45]
	s_wait_loadcnt 0xf
	v_cvt_f64_f32_e32 v[42:43], v46
	v_ashrrev_i32_e32 v97, 31, v96
	s_wait_loadcnt 0xe
	v_cvt_f64_f32_e32 v[94:95], v50
	v_cvt_f64_f32_e32 v[46:47], v47
	;; [unrolled: 1-line block ×3, first 2 shown]
	v_lshl_add_u64 v[96:97], v[96:97], 3, s[4:5]
	v_fmac_f64_e32 v[14:15], v[98:99], v[44:45]
	s_wait_loadcnt 0xc
	v_cvt_f64_f32_e32 v[98:99], v58
	v_cvt_f64_f32_e32 v[58:59], v59
	v_fmac_f64_e32 v[12:13], v[34:35], v[44:45]
	global_load_b128 v[34:37], v[96:97], off
	v_fmac_f64_e32 v[0:1], v[100:101], v[44:45]
	v_cvt_f64_f32_e32 v[44:45], v54
	v_cvt_f64_f32_e32 v[54:55], v55
	s_wait_loadcnt 0xc
	v_fmac_f64_e32 v[16:17], v[94:95], v[62:63]
	v_fmac_f64_e32 v[12:13], v[42:43], v[62:63]
	;; [unrolled: 1-line block ×4, first 2 shown]
	global_load_b128 v[42:45], v[96:97], off offset:16
	v_fmac_f64_e32 v[16:17], v[50:51], v[64:65]
	v_cvt_f64_f32_e32 v[50:51], v52
	v_cvt_f64_f32_e32 v[52:53], v53
	v_fmac_f64_e32 v[12:13], v[46:47], v[64:65]
	v_cvt_f64_f32_e32 v[46:47], v48
	v_cvt_f64_f32_e32 v[48:49], v49
	v_fmac_f64_e32 v[0:1], v[58:59], v[64:65]
	v_fmac_f64_e32 v[14:15], v[54:55], v[64:65]
	v_cvt_f64_f32_e32 v[54:55], v56
	v_cvt_f64_f32_e32 v[58:59], v60
	;; [unrolled: 1-line block ×4, first 2 shown]
	s_wait_loadcnt 0x7
	v_fmac_f64_e32 v[16:17], v[50:51], v[86:87]
	v_cvt_f64_f32_e32 v[50:51], v74
	v_fmac_f64_e32 v[12:13], v[46:47], v[86:87]
	v_cvt_f64_f32_e32 v[46:47], v78
	v_fmac_f64_e32 v[14:15], v[54:55], v[86:87]
	v_fmac_f64_e32 v[0:1], v[58:59], v[86:87]
	v_cvt_f64_f32_e32 v[54:55], v70
	v_cvt_f64_f32_e32 v[58:59], v66
	v_fmac_f64_e32 v[16:17], v[52:53], v[88:89]
	v_cvt_f64_f32_e32 v[52:53], v75
	v_fmac_f64_e32 v[12:13], v[48:49], v[88:89]
	;; [unrolled: 2-line block ×3, first 2 shown]
	v_fmac_f64_e32 v[0:1], v[60:61], v[88:89]
	v_cvt_f64_f32_e32 v[56:57], v71
	v_cvt_f64_f32_e32 v[60:61], v67
	s_wait_loadcnt 0x6
	v_fmac_f64_e32 v[12:13], v[46:47], v[90:91]
	v_fmac_f64_e32 v[16:17], v[50:51], v[90:91]
	;; [unrolled: 1-line block ×4, first 2 shown]
	v_cvt_f64_f32_e32 v[46:47], v80
	v_cvt_f64_f32_e32 v[50:51], v76
	;; [unrolled: 1-line block ×4, first 2 shown]
	v_fmac_f64_e32 v[12:13], v[48:49], v[92:93]
	v_fmac_f64_e32 v[16:17], v[52:53], v[92:93]
	;; [unrolled: 1-line block ×4, first 2 shown]
	v_cvt_f64_f32_e32 v[48:49], v81
	v_cvt_f64_f32_e32 v[52:53], v77
	;; [unrolled: 1-line block ×4, first 2 shown]
	s_wait_loadcnt 0x5
	v_fmac_f64_e32 v[12:13], v[46:47], v[22:23]
	v_fmac_f64_e32 v[16:17], v[50:51], v[22:23]
	;; [unrolled: 1-line block ×4, first 2 shown]
	s_wait_loadcnt 0x4
	v_cvt_f64_f32_e32 v[22:23], v38
	v_cvt_f64_f32_e32 v[46:47], v82
	s_wait_loadcnt 0x3
	v_cvt_f64_f32_e32 v[54:55], v30
	v_cvt_f64_f32_e32 v[30:31], v31
	;; [unrolled: 3-line block ×3, first 2 shown]
	v_fmac_f64_e32 v[12:13], v[48:49], v[24:25]
	v_fmac_f64_e32 v[16:17], v[52:53], v[24:25]
	;; [unrolled: 1-line block ×4, first 2 shown]
	v_cvt_f64_f32_e32 v[24:25], v39
	v_cvt_f64_f32_e32 v[38:39], v83
	;; [unrolled: 1-line block ×3, first 2 shown]
	s_wait_loadcnt 0x1
	v_fmac_f64_e32 v[12:13], v[22:23], v[34:35]
	v_fmac_f64_e32 v[16:17], v[46:47], v[34:35]
	;; [unrolled: 1-line block ×4, first 2 shown]
	v_cvt_f64_f32_e32 v[22:23], v40
	v_cvt_f64_f32_e32 v[34:35], v84
	;; [unrolled: 1-line block ×4, first 2 shown]
	v_fmac_f64_e32 v[12:13], v[24:25], v[36:37]
	v_fmac_f64_e32 v[16:17], v[38:39], v[36:37]
	;; [unrolled: 1-line block ×4, first 2 shown]
	v_cvt_f64_f32_e32 v[24:25], v41
	v_cvt_f64_f32_e32 v[26:27], v85
	;; [unrolled: 1-line block ×3, first 2 shown]
	s_wait_loadcnt 0x0
	v_fmac_f64_e32 v[12:13], v[22:23], v[42:43]
	v_fmac_f64_e32 v[16:17], v[34:35], v[42:43]
	;; [unrolled: 1-line block ×4, first 2 shown]
	s_delay_alu instid0(VALU_DEP_4) | instskip(NEXT) | instid1(VALU_DEP_4)
	v_fmac_f64_e32 v[12:13], v[24:25], v[44:45]
	v_fmac_f64_e32 v[16:17], v[26:27], v[44:45]
	s_delay_alu instid0(VALU_DEP_4) | instskip(NEXT) | instid1(VALU_DEP_4)
	v_fmac_f64_e32 v[14:15], v[28:29], v[44:45]
	v_fmac_f64_e32 v[0:1], v[30:31], v[44:45]
	s_and_not1_b32 exec_lo, exec_lo, s7
	s_cbranch_execnz .LBB150_21
; %bb.22:
	s_or_b32 exec_lo, exec_lo, s7
.LBB150_23:
	s_delay_alu instid0(SALU_CYCLE_1)
	s_or_b32 exec_lo, exec_lo, s6
.LBB150_24:
	s_delay_alu instid0(SALU_CYCLE_1)
	s_or_b32 exec_lo, exec_lo, s3
	s_cbranch_execz .LBB150_26
	s_branch .LBB150_37
.LBB150_25:
                                        ; implicit-def: $vgpr0_vgpr1
                                        ; implicit-def: $vgpr14_vgpr15
                                        ; implicit-def: $vgpr16_vgpr17
                                        ; implicit-def: $vgpr12_vgpr13
.LBB150_26:
	v_mov_b64_e32 v[0:1], 0
	v_mov_b64_e32 v[14:15], 0
	;; [unrolled: 1-line block ×4, first 2 shown]
	s_and_saveexec_b32 s3, s2
	s_cbranch_execz .LBB150_36
; %bb.27:
	v_add_nc_u32_e32 v0, v20, v11
	v_not_b32_e32 v1, v20
	v_mov_b64_e32 v[12:13], 0
	v_mov_b64_e32 v[16:17], 0
	;; [unrolled: 1-line block ×3, first 2 shown]
	v_subrev_nc_u32_e32 v0, s12, v0
	s_mov_b32 s2, exec_lo
	s_delay_alu instid0(VALU_DEP_1) | instskip(NEXT) | instid1(VALU_DEP_1)
	v_add_max_i32_e64 v0, v0, 4, v5
	v_add3_u32 v0, s12, v0, v1
	s_delay_alu instid0(VALU_DEP_1) | instskip(SKIP_1) | instid1(VALU_DEP_2)
	v_sub_nc_u32_e32 v18, v0, v11
	v_mov_b64_e32 v[0:1], 0
	v_and_b32_e32 v19, 12, v18
	s_delay_alu instid0(VALU_DEP_1)
	v_cmpx_ne_u32_e32 12, v19
	s_cbranch_execz .LBB150_31
; %bb.28:
	v_lshrrev_b32_e32 v0, 2, v18
	v_mov_b64_e32 v[14:15], 0
	v_mov_b64_e32 v[16:17], 0
	;; [unrolled: 1-line block ×3, first 2 shown]
	s_mov_b32 s6, 0
	v_add_nc_u32_e32 v0, 1, v0
	s_delay_alu instid0(VALU_DEP_1) | instskip(SKIP_1) | instid1(VALU_DEP_2)
	v_and_b32_e32 v19, 3, v0
	v_mov_b64_e32 v[0:1], 0
	v_sub_nc_u32_e32 v19, 0, v19
.LBB150_29:                             ; =>This Inner Loop Header: Depth=1
	global_load_b32 v28, v4, s[8:9] scale_offset
	s_clause 0x1
	global_load_b128 v[20:23], v[6:7], off
	global_load_b128 v[24:27], v[6:7], off offset:16
	s_wait_xcnt 0x2
	v_add_nc_u32_e32 v4, 4, v4
	v_add_co_u32 v19, s7, v19, 1
	s_or_b32 s6, s7, s6
	s_wait_loadcnt 0x2
	v_subrev_nc_u32_e32 v28, s12, v28
	s_wait_loadcnt 0x1
	v_cvt_f64_f32_e32 v[46:47], v22
	v_cvt_f64_f32_e32 v[22:23], v23
	s_wait_loadcnt 0x0
	v_cvt_f64_f32_e32 v[48:49], v24
	v_cvt_f64_f32_e32 v[24:25], v25
	v_lshlrev_b32_e32 v28, 2, v28
	v_cvt_f64_f32_e32 v[50:51], v26
	v_cvt_f64_f32_e32 v[26:27], v27
	s_delay_alu instid0(VALU_DEP_3) | instskip(SKIP_1) | instid1(VALU_DEP_1)
	v_ashrrev_i32_e32 v29, 31, v28
	s_wait_kmcnt 0x0
	v_lshl_add_u64 v[44:45], v[28:29], 3, s[4:5]
	s_clause 0x1
	global_load_b128 v[28:31], v[44:45], off
	global_load_b128 v[32:35], v[44:45], off offset:16
	s_clause 0x1
	global_load_b128 v[36:39], v[6:7], off offset:32
	global_load_b128 v[40:43], v[6:7], off offset:48
	s_wait_xcnt 0x2
	v_cvt_f64_f32_e32 v[44:45], v20
	v_cvt_f64_f32_e32 v[20:21], v21
	s_wait_xcnt 0x0
	v_add_nc_u64_e32 v[6:7], 0x100, v[6:7]
	s_wait_loadcnt 0x3
	s_delay_alu instid0(VALU_DEP_3) | instskip(NEXT) | instid1(VALU_DEP_3)
	v_fmac_f64_e32 v[12:13], v[44:45], v[28:29]
	v_fmac_f64_e32 v[16:17], v[20:21], v[28:29]
	;; [unrolled: 1-line block ×4, first 2 shown]
	s_wait_loadcnt 0x1
	v_cvt_f64_f32_e32 v[20:21], v36
	v_cvt_f64_f32_e32 v[22:23], v37
	;; [unrolled: 1-line block ×4, first 2 shown]
	s_wait_loadcnt 0x0
	v_cvt_f64_f32_e32 v[38:39], v43
	v_fmac_f64_e32 v[12:13], v[48:49], v[30:31]
	v_fmac_f64_e32 v[16:17], v[24:25], v[30:31]
	;; [unrolled: 1-line block ×4, first 2 shown]
	v_cvt_f64_f32_e32 v[24:25], v40
	v_cvt_f64_f32_e32 v[26:27], v41
	;; [unrolled: 1-line block ×3, first 2 shown]
	v_fmac_f64_e32 v[12:13], v[20:21], v[32:33]
	v_fmac_f64_e32 v[16:17], v[22:23], v[32:33]
	;; [unrolled: 1-line block ×4, first 2 shown]
	s_delay_alu instid0(VALU_DEP_4) | instskip(NEXT) | instid1(VALU_DEP_4)
	v_fmac_f64_e32 v[12:13], v[24:25], v[34:35]
	v_fmac_f64_e32 v[16:17], v[26:27], v[34:35]
	s_delay_alu instid0(VALU_DEP_4) | instskip(NEXT) | instid1(VALU_DEP_4)
	v_fmac_f64_e32 v[14:15], v[30:31], v[34:35]
	v_fmac_f64_e32 v[0:1], v[38:39], v[34:35]
	s_and_not1_b32 exec_lo, exec_lo, s6
	s_cbranch_execnz .LBB150_29
; %bb.30:
	s_or_b32 exec_lo, exec_lo, s6
.LBB150_31:
	s_delay_alu instid0(SALU_CYCLE_1) | instskip(NEXT) | instid1(SALU_CYCLE_1)
	s_or_b32 exec_lo, exec_lo, s2
	s_mov_b32 s2, exec_lo
	v_cmpx_lt_u32_e32 11, v18
	s_cbranch_execz .LBB150_35
; %bb.32:
	s_mov_b32 s6, 0
.LBB150_33:                             ; =>This Inner Loop Header: Depth=1
	s_clause 0x6
	global_load_b128 v[18:21], v[6:7], off
	global_load_b128 v[22:25], v[6:7], off offset:16
	global_load_b128 v[26:29], v[6:7], off offset:32
	;; [unrolled: 1-line block ×6, first 2 shown]
	global_load_b32 v106, v4, s[8:9] scale_offset
	global_load_b128 v[46:49], v[6:7], off offset:304
	s_wait_loadcnt 0x8
	v_cvt_f64_f32_e32 v[50:51], v18
	v_cvt_f64_f32_e32 v[52:53], v19
	s_wait_loadcnt 0x6
	v_cvt_f64_f32_e32 v[70:71], v28
	v_cvt_f64_f32_e32 v[66:67], v26
	;; [unrolled: 1-line block ×3, first 2 shown]
	s_wait_loadcnt 0x3
	v_cvt_f64_f32_e32 v[90:91], v38
	s_clause 0x2
	global_load_b32 v28, v4, s[8:9] offset:16 scale_offset
	global_load_b32 v38, v4, s[8:9] offset:32 scale_offset
	;; [unrolled: 1-line block ×3, first 2 shown]
	s_wait_loadcnt 0x4
	v_subrev_nc_u32_e32 v18, s12, v106
	v_cvt_f64_f32_e32 v[54:55], v20
	v_cvt_f64_f32_e32 v[56:57], v21
	;; [unrolled: 1-line block ×4, first 2 shown]
	s_wait_xcnt 0x0
	v_dual_lshlrev_b32 v18, 2, v18 :: v_dual_add_nc_u32 v4, 16, v4
	v_cvt_f64_f32_e32 v[62:63], v24
	v_cvt_f64_f32_e32 v[64:65], v25
	;; [unrolled: 1-line block ×3, first 2 shown]
	s_delay_alu instid0(VALU_DEP_4)
	v_ashrrev_i32_e32 v19, 31, v18
	v_cvt_f64_f32_e32 v[84:85], v35
	v_cvt_f64_f32_e32 v[72:73], v29
	;; [unrolled: 1-line block ×4, first 2 shown]
	s_wait_kmcnt 0x0
	v_lshl_add_u64 v[26:27], v[18:19], 3, s[4:5]
	v_cvt_f64_f32_e32 v[78:79], v32
	v_cvt_f64_f32_e32 v[80:81], v33
	;; [unrolled: 1-line block ×4, first 2 shown]
	s_clause 0x1
	global_load_b128 v[18:21], v[26:27], off
	global_load_b128 v[22:25], v[26:27], off offset:16
	v_cvt_f64_f32_e32 v[100:101], v43
	v_cvt_f64_f32_e32 v[86:87], v36
	;; [unrolled: 1-line block ×7, first 2 shown]
	v_cmp_ge_i32_e32 vcc_lo, v4, v5
	s_or_b32 s6, vcc_lo, s6
	s_wait_loadcnt 0x3
	v_subrev_nc_u32_e32 v38, s12, v38
	s_delay_alu instid0(VALU_DEP_1) | instskip(NEXT) | instid1(VALU_DEP_1)
	v_lshlrev_b32_e32 v38, 2, v38
	v_ashrrev_i32_e32 v39, 31, v38
	s_delay_alu instid0(VALU_DEP_1)
	v_lshl_add_u64 v[42:43], v[38:39], 3, s[4:5]
	s_wait_loadcnt 0x1
	v_fmac_f64_e32 v[12:13], v[50:51], v[18:19]
	v_fmac_f64_e32 v[16:17], v[52:53], v[18:19]
	;; [unrolled: 1-line block ×4, first 2 shown]
	v_subrev_nc_u32_e32 v18, s12, v28
	s_delay_alu instid0(VALU_DEP_1) | instskip(NEXT) | instid1(VALU_DEP_1)
	v_lshlrev_b32_e32 v18, 2, v18
	v_ashrrev_i32_e32 v19, 31, v18
	s_delay_alu instid0(VALU_DEP_1)
	v_lshl_add_u64 v[34:35], v[18:19], 3, s[4:5]
	global_load_b128 v[26:29], v[34:35], off
	v_fmac_f64_e32 v[12:13], v[58:59], v[20:21]
	v_fmac_f64_e32 v[16:17], v[60:61], v[20:21]
	;; [unrolled: 1-line block ×4, first 2 shown]
	global_load_b128 v[18:21], v[34:35], off offset:16
	s_clause 0x2
	global_load_b128 v[30:33], v[6:7], off offset:512
	global_load_b128 v[34:37], v[6:7], off offset:528
	;; [unrolled: 1-line block ×3, first 2 shown]
	global_load_b128 v[38:41], v[42:43], off
	v_cvt_f64_f32_e32 v[62:63], v46
	s_clause 0x1
	global_load_b128 v[54:57], v[6:7], off offset:784
	global_load_b128 v[58:61], v[6:7], off offset:816
	s_wait_loadcnt 0x8
	v_fmac_f64_e32 v[12:13], v[66:67], v[22:23]
	v_fmac_f64_e32 v[16:17], v[68:69], v[22:23]
	v_fmac_f64_e32 v[14:15], v[70:71], v[22:23]
	v_fmac_f64_e32 v[0:1], v[72:73], v[22:23]
	v_cvt_f64_f32_e32 v[66:67], v47
	v_cvt_f64_f32_e32 v[68:69], v48
	v_cvt_f64_f32_e32 v[70:71], v49
	global_load_b128 v[46:49], v[6:7], off offset:768
	v_fmac_f64_e32 v[12:13], v[74:75], v[24:25]
	v_fmac_f64_e32 v[16:17], v[76:77], v[24:25]
	;; [unrolled: 1-line block ×4, first 2 shown]
	global_load_b128 v[22:25], v[6:7], off offset:560
	s_wait_loadcnt 0x9
	v_fmac_f64_e32 v[12:13], v[82:83], v[26:27]
	v_fmac_f64_e32 v[16:17], v[84:85], v[26:27]
	;; [unrolled: 1-line block ×4, first 2 shown]
	v_subrev_nc_u32_e32 v26, s12, v107
	s_delay_alu instid0(VALU_DEP_1) | instskip(SKIP_3) | instid1(VALU_DEP_3)
	v_lshlrev_b32_e32 v26, 2, v26
	s_wait_loadcnt 0x7
	v_cvt_f64_f32_e32 v[72:73], v30
	v_cvt_f64_f32_e32 v[74:75], v31
	v_ashrrev_i32_e32 v27, 31, v26
	v_cvt_f64_f32_e32 v[76:77], v32
	v_cvt_f64_f32_e32 v[78:79], v33
	global_load_b128 v[30:33], v[6:7], off offset:800
	s_wait_xcnt 0x0
	v_add_nc_u64_e32 v[6:7], 0x400, v[6:7]
	v_lshl_add_u64 v[64:65], v[26:27], 3, s[4:5]
	v_fmac_f64_e32 v[12:13], v[90:91], v[28:29]
	v_fmac_f64_e32 v[16:17], v[92:93], v[28:29]
	;; [unrolled: 1-line block ×4, first 2 shown]
	s_clause 0x1
	global_load_b128 v[26:29], v[64:65], off
	global_load_b128 v[42:45], v[42:43], off offset:16
	v_fmac_f64_e32 v[12:13], v[98:99], v[18:19]
	v_fmac_f64_e32 v[16:17], v[100:101], v[18:19]
	;; [unrolled: 1-line block ×4, first 2 shown]
	s_wait_loadcnt 0x9
	v_cvt_f64_f32_e32 v[18:19], v34
	v_fmac_f64_e32 v[12:13], v[62:63], v[20:21]
	global_load_b128 v[62:65], v[64:65], off offset:16
	v_fmac_f64_e32 v[16:17], v[66:67], v[20:21]
	v_fmac_f64_e32 v[14:15], v[68:69], v[20:21]
	;; [unrolled: 1-line block ×3, first 2 shown]
	v_cvt_f64_f32_e32 v[20:21], v35
	v_cvt_f64_f32_e32 v[34:35], v36
	;; [unrolled: 1-line block ×3, first 2 shown]
	s_wait_loadcnt 0x9
	v_cvt_f64_f32_e32 v[66:67], v52
	v_cvt_f64_f32_e32 v[52:53], v53
	s_wait_loadcnt 0x8
	v_fmac_f64_e32 v[12:13], v[72:73], v[38:39]
	v_fmac_f64_e32 v[16:17], v[74:75], v[38:39]
	;; [unrolled: 1-line block ×4, first 2 shown]
	v_cvt_f64_f32_e32 v[38:39], v50
	v_cvt_f64_f32_e32 v[50:51], v51
	v_fmac_f64_e32 v[12:13], v[18:19], v[40:41]
	s_wait_loadcnt 0x4
	v_cvt_f64_f32_e32 v[18:19], v22
	v_fmac_f64_e32 v[16:17], v[20:21], v[40:41]
	v_fmac_f64_e32 v[14:15], v[34:35], v[40:41]
	;; [unrolled: 1-line block ×3, first 2 shown]
	v_cvt_f64_f32_e32 v[20:21], v23
	v_cvt_f64_f32_e32 v[22:23], v24
	;; [unrolled: 1-line block ×6, first 2 shown]
	s_wait_loadcnt 0x1
	v_fmac_f64_e32 v[12:13], v[38:39], v[42:43]
	v_fmac_f64_e32 v[16:17], v[50:51], v[42:43]
	;; [unrolled: 1-line block ×4, first 2 shown]
	v_cvt_f64_f32_e32 v[38:39], v48
	v_fmac_f64_e32 v[12:13], v[18:19], v[44:45]
	v_fmac_f64_e32 v[16:17], v[20:21], v[44:45]
	v_fmac_f64_e32 v[14:15], v[22:23], v[44:45]
	v_fmac_f64_e32 v[0:1], v[24:25], v[44:45]
	v_cvt_f64_f32_e32 v[18:19], v54
	v_cvt_f64_f32_e32 v[20:21], v55
	v_cvt_f64_f32_e32 v[22:23], v56
	v_cvt_f64_f32_e32 v[24:25], v57
	v_fmac_f64_e32 v[12:13], v[34:35], v[26:27]
	v_fmac_f64_e32 v[16:17], v[36:37], v[26:27]
	v_fmac_f64_e32 v[14:15], v[38:39], v[26:27]
	v_fmac_f64_e32 v[0:1], v[40:41], v[26:27]
	v_cvt_f64_f32_e32 v[26:27], v30
	v_cvt_f64_f32_e32 v[30:31], v31
	v_cvt_f64_f32_e32 v[34:35], v32
	;; [unrolled: 8-line block ×3, first 2 shown]
	v_cvt_f64_f32_e32 v[24:25], v61
	s_wait_loadcnt 0x0
	v_fmac_f64_e32 v[12:13], v[26:27], v[62:63]
	v_fmac_f64_e32 v[16:17], v[30:31], v[62:63]
	;; [unrolled: 1-line block ×4, first 2 shown]
	s_delay_alu instid0(VALU_DEP_4) | instskip(NEXT) | instid1(VALU_DEP_4)
	v_fmac_f64_e32 v[12:13], v[18:19], v[64:65]
	v_fmac_f64_e32 v[16:17], v[20:21], v[64:65]
	s_delay_alu instid0(VALU_DEP_4) | instskip(NEXT) | instid1(VALU_DEP_4)
	v_fmac_f64_e32 v[14:15], v[22:23], v[64:65]
	v_fmac_f64_e32 v[0:1], v[24:25], v[64:65]
	s_and_not1_b32 exec_lo, exec_lo, s6
	s_cbranch_execnz .LBB150_33
; %bb.34:
	s_or_b32 exec_lo, exec_lo, s6
.LBB150_35:
	s_delay_alu instid0(SALU_CYCLE_1)
	s_or_b32 exec_lo, exec_lo, s2
.LBB150_36:
	s_delay_alu instid0(SALU_CYCLE_1)
	s_or_b32 exec_lo, exec_lo, s3
.LBB150_37:
	v_mbcnt_lo_u32_b32 v22, -1, 0
	s_delay_alu instid0(VALU_DEP_1) | instskip(NEXT) | instid1(VALU_DEP_1)
	v_xor_b32_e32 v4, 2, v22
	v_cmp_gt_i32_e32 vcc_lo, 32, v4
	v_cndmask_b32_e32 v4, v22, v4, vcc_lo
	s_delay_alu instid0(VALU_DEP_1)
	v_lshlrev_b32_e32 v21, 2, v4
	ds_bpermute_b32 v4, v21, v12
	ds_bpermute_b32 v5, v21, v13
	;; [unrolled: 1-line block ×4, first 2 shown]
	s_wait_dscnt 0x2
	v_add_f64_e32 v[12:13], v[12:13], v[4:5]
	s_wait_dscnt 0x0
	v_add_f64_e32 v[4:5], v[14:15], v[18:19]
	ds_bpermute_b32 v6, v21, v16
	ds_bpermute_b32 v7, v21, v17
	;; [unrolled: 1-line block ×4, first 2 shown]
	v_xor_b32_e32 v14, 1, v22
	s_delay_alu instid0(VALU_DEP_1) | instskip(SKIP_2) | instid1(VALU_DEP_2)
	v_cmp_gt_i32_e32 vcc_lo, 32, v14
	v_cndmask_b32_e32 v14, v22, v14, vcc_lo
	v_cmp_eq_u32_e32 vcc_lo, 3, v11
	v_lshlrev_b32_e32 v15, 2, v14
	s_wait_dscnt 0x2
	v_add_f64_e32 v[6:7], v[16:17], v[6:7]
	s_wait_dscnt 0x0
	v_add_f64_e32 v[0:1], v[0:1], v[20:21]
	ds_bpermute_b32 v20, v15, v12
	ds_bpermute_b32 v21, v15, v13
	;; [unrolled: 1-line block ×8, first 2 shown]
	s_and_b32 exec_lo, exec_lo, vcc_lo
	s_cbranch_execz .LBB150_10
; %bb.38:
	s_wait_dscnt 0x6
	v_dual_add_f64 v[12:13], v[12:13], v[20:21] :: v_dual_lshlrev_b32 v10, 2, v10
	s_wait_dscnt 0x2
	v_add_f64_e32 v[6:7], v[6:7], v[18:19]
	v_add_f64_e32 v[16:17], v[4:5], v[16:17]
	s_wait_dscnt 0x0
	v_add_f64_e32 v[14:15], v[0:1], v[14:15]
	s_load_b64 s[0:1], s[0:1], 0x50
	s_mov_b32 s2, exec_lo
	s_delay_alu instid0(VALU_DEP_4) | instskip(NEXT) | instid1(VALU_DEP_4)
	v_mul_f64_e32 v[4:5], v[2:3], v[12:13]
	v_mul_f64_e32 v[6:7], v[2:3], v[6:7]
	s_delay_alu instid0(VALU_DEP_4) | instskip(NEXT) | instid1(VALU_DEP_4)
	v_mul_f64_e32 v[0:1], v[2:3], v[16:17]
	v_mul_f64_e32 v[2:3], v[2:3], v[14:15]
	v_cmpx_eq_f64_e32 0, v[8:9]
	s_xor_b32 s2, exec_lo, s2
	s_cbranch_execz .LBB150_40
; %bb.39:
	v_ashrrev_i32_e32 v11, 31, v10
	s_wait_kmcnt 0x0
	s_delay_alu instid0(VALU_DEP_1)
	v_lshl_add_u64 v[8:9], v[10:11], 3, s[0:1]
                                        ; implicit-def: $vgpr10
	s_clause 0x1
	global_store_b128 v[8:9], v[4:7], off
	global_store_b128 v[8:9], v[0:3], off offset:16
                                        ; implicit-def: $vgpr8_vgpr9
                                        ; implicit-def: $vgpr4_vgpr5
                                        ; implicit-def: $vgpr0_vgpr1
.LBB150_40:
	s_wait_xcnt 0x0
	s_and_not1_saveexec_b32 s2, s2
	s_cbranch_execz .LBB150_10
; %bb.41:
	v_ashrrev_i32_e32 v11, 31, v10
	s_wait_kmcnt 0x0
	s_delay_alu instid0(VALU_DEP_1)
	v_lshl_add_u64 v[18:19], v[10:11], 3, s[0:1]
	s_clause 0x1
	global_load_b128 v[10:13], v[18:19], off
	global_load_b128 v[14:17], v[18:19], off offset:16
	s_wait_loadcnt 0x1
	v_fmac_f64_e32 v[4:5], v[8:9], v[10:11]
	v_fmac_f64_e32 v[6:7], v[8:9], v[12:13]
	s_wait_loadcnt 0x0
	v_fmac_f64_e32 v[0:1], v[8:9], v[14:15]
	v_fmac_f64_e32 v[2:3], v[8:9], v[16:17]
	s_clause 0x1
	global_store_b128 v[18:19], v[4:7], off
	global_store_b128 v[18:19], v[0:3], off offset:16
	s_sendmsg sendmsg(MSG_DEALLOC_VGPRS)
	s_endpgm
	.section	.rodata,"a",@progbits
	.p2align	6, 0x0
	.amdhsa_kernel _ZN9rocsparseL18bsrxmvn_4x4_kernelILj128ELj4EdiifddEEvT3_20rocsparse_direction_NS_24const_host_device_scalarIT1_EES1_PKS1_PKT2_SA_S7_PKT4_PKT5_S5_PT6_21rocsparse_index_base_b
		.amdhsa_group_segment_fixed_size 0
		.amdhsa_private_segment_fixed_size 0
		.amdhsa_kernarg_size 96
		.amdhsa_user_sgpr_count 2
		.amdhsa_user_sgpr_dispatch_ptr 0
		.amdhsa_user_sgpr_queue_ptr 0
		.amdhsa_user_sgpr_kernarg_segment_ptr 1
		.amdhsa_user_sgpr_dispatch_id 0
		.amdhsa_user_sgpr_kernarg_preload_length 0
		.amdhsa_user_sgpr_kernarg_preload_offset 0
		.amdhsa_user_sgpr_private_segment_size 0
		.amdhsa_wavefront_size32 1
		.amdhsa_uses_dynamic_stack 0
		.amdhsa_enable_private_segment 0
		.amdhsa_system_sgpr_workgroup_id_x 1
		.amdhsa_system_sgpr_workgroup_id_y 0
		.amdhsa_system_sgpr_workgroup_id_z 0
		.amdhsa_system_sgpr_workgroup_info 0
		.amdhsa_system_vgpr_workitem_id 0
		.amdhsa_next_free_vgpr 108
		.amdhsa_next_free_sgpr 14
		.amdhsa_named_barrier_count 0
		.amdhsa_reserve_vcc 1
		.amdhsa_float_round_mode_32 0
		.amdhsa_float_round_mode_16_64 0
		.amdhsa_float_denorm_mode_32 3
		.amdhsa_float_denorm_mode_16_64 3
		.amdhsa_fp16_overflow 0
		.amdhsa_memory_ordered 1
		.amdhsa_forward_progress 1
		.amdhsa_inst_pref_size 34
		.amdhsa_round_robin_scheduling 0
		.amdhsa_exception_fp_ieee_invalid_op 0
		.amdhsa_exception_fp_denorm_src 0
		.amdhsa_exception_fp_ieee_div_zero 0
		.amdhsa_exception_fp_ieee_overflow 0
		.amdhsa_exception_fp_ieee_underflow 0
		.amdhsa_exception_fp_ieee_inexact 0
		.amdhsa_exception_int_div_zero 0
	.end_amdhsa_kernel
	.section	.text._ZN9rocsparseL18bsrxmvn_4x4_kernelILj128ELj4EdiifddEEvT3_20rocsparse_direction_NS_24const_host_device_scalarIT1_EES1_PKS1_PKT2_SA_S7_PKT4_PKT5_S5_PT6_21rocsparse_index_base_b,"axG",@progbits,_ZN9rocsparseL18bsrxmvn_4x4_kernelILj128ELj4EdiifddEEvT3_20rocsparse_direction_NS_24const_host_device_scalarIT1_EES1_PKS1_PKT2_SA_S7_PKT4_PKT5_S5_PT6_21rocsparse_index_base_b,comdat
.Lfunc_end150:
	.size	_ZN9rocsparseL18bsrxmvn_4x4_kernelILj128ELj4EdiifddEEvT3_20rocsparse_direction_NS_24const_host_device_scalarIT1_EES1_PKS1_PKT2_SA_S7_PKT4_PKT5_S5_PT6_21rocsparse_index_base_b, .Lfunc_end150-_ZN9rocsparseL18bsrxmvn_4x4_kernelILj128ELj4EdiifddEEvT3_20rocsparse_direction_NS_24const_host_device_scalarIT1_EES1_PKS1_PKT2_SA_S7_PKT4_PKT5_S5_PT6_21rocsparse_index_base_b
                                        ; -- End function
	.set _ZN9rocsparseL18bsrxmvn_4x4_kernelILj128ELj4EdiifddEEvT3_20rocsparse_direction_NS_24const_host_device_scalarIT1_EES1_PKS1_PKT2_SA_S7_PKT4_PKT5_S5_PT6_21rocsparse_index_base_b.num_vgpr, 108
	.set _ZN9rocsparseL18bsrxmvn_4x4_kernelILj128ELj4EdiifddEEvT3_20rocsparse_direction_NS_24const_host_device_scalarIT1_EES1_PKS1_PKT2_SA_S7_PKT4_PKT5_S5_PT6_21rocsparse_index_base_b.num_agpr, 0
	.set _ZN9rocsparseL18bsrxmvn_4x4_kernelILj128ELj4EdiifddEEvT3_20rocsparse_direction_NS_24const_host_device_scalarIT1_EES1_PKS1_PKT2_SA_S7_PKT4_PKT5_S5_PT6_21rocsparse_index_base_b.numbered_sgpr, 14
	.set _ZN9rocsparseL18bsrxmvn_4x4_kernelILj128ELj4EdiifddEEvT3_20rocsparse_direction_NS_24const_host_device_scalarIT1_EES1_PKS1_PKT2_SA_S7_PKT4_PKT5_S5_PT6_21rocsparse_index_base_b.num_named_barrier, 0
	.set _ZN9rocsparseL18bsrxmvn_4x4_kernelILj128ELj4EdiifddEEvT3_20rocsparse_direction_NS_24const_host_device_scalarIT1_EES1_PKS1_PKT2_SA_S7_PKT4_PKT5_S5_PT6_21rocsparse_index_base_b.private_seg_size, 0
	.set _ZN9rocsparseL18bsrxmvn_4x4_kernelILj128ELj4EdiifddEEvT3_20rocsparse_direction_NS_24const_host_device_scalarIT1_EES1_PKS1_PKT2_SA_S7_PKT4_PKT5_S5_PT6_21rocsparse_index_base_b.uses_vcc, 1
	.set _ZN9rocsparseL18bsrxmvn_4x4_kernelILj128ELj4EdiifddEEvT3_20rocsparse_direction_NS_24const_host_device_scalarIT1_EES1_PKS1_PKT2_SA_S7_PKT4_PKT5_S5_PT6_21rocsparse_index_base_b.uses_flat_scratch, 0
	.set _ZN9rocsparseL18bsrxmvn_4x4_kernelILj128ELj4EdiifddEEvT3_20rocsparse_direction_NS_24const_host_device_scalarIT1_EES1_PKS1_PKT2_SA_S7_PKT4_PKT5_S5_PT6_21rocsparse_index_base_b.has_dyn_sized_stack, 0
	.set _ZN9rocsparseL18bsrxmvn_4x4_kernelILj128ELj4EdiifddEEvT3_20rocsparse_direction_NS_24const_host_device_scalarIT1_EES1_PKS1_PKT2_SA_S7_PKT4_PKT5_S5_PT6_21rocsparse_index_base_b.has_recursion, 0
	.set _ZN9rocsparseL18bsrxmvn_4x4_kernelILj128ELj4EdiifddEEvT3_20rocsparse_direction_NS_24const_host_device_scalarIT1_EES1_PKS1_PKT2_SA_S7_PKT4_PKT5_S5_PT6_21rocsparse_index_base_b.has_indirect_call, 0
	.section	.AMDGPU.csdata,"",@progbits
; Kernel info:
; codeLenInByte = 4260
; TotalNumSgprs: 16
; NumVgprs: 108
; ScratchSize: 0
; MemoryBound: 0
; FloatMode: 240
; IeeeMode: 1
; LDSByteSize: 0 bytes/workgroup (compile time only)
; SGPRBlocks: 0
; VGPRBlocks: 6
; NumSGPRsForWavesPerEU: 16
; NumVGPRsForWavesPerEU: 108
; NamedBarCnt: 0
; Occupancy: 9
; WaveLimiterHint : 1
; COMPUTE_PGM_RSRC2:SCRATCH_EN: 0
; COMPUTE_PGM_RSRC2:USER_SGPR: 2
; COMPUTE_PGM_RSRC2:TRAP_HANDLER: 0
; COMPUTE_PGM_RSRC2:TGID_X_EN: 1
; COMPUTE_PGM_RSRC2:TGID_Y_EN: 0
; COMPUTE_PGM_RSRC2:TGID_Z_EN: 0
; COMPUTE_PGM_RSRC2:TIDIG_COMP_CNT: 0
	.section	.text._ZN9rocsparseL18bsrxmvn_4x4_kernelILj128ELj8EdiifddEEvT3_20rocsparse_direction_NS_24const_host_device_scalarIT1_EES1_PKS1_PKT2_SA_S7_PKT4_PKT5_S5_PT6_21rocsparse_index_base_b,"axG",@progbits,_ZN9rocsparseL18bsrxmvn_4x4_kernelILj128ELj8EdiifddEEvT3_20rocsparse_direction_NS_24const_host_device_scalarIT1_EES1_PKS1_PKT2_SA_S7_PKT4_PKT5_S5_PT6_21rocsparse_index_base_b,comdat
	.globl	_ZN9rocsparseL18bsrxmvn_4x4_kernelILj128ELj8EdiifddEEvT3_20rocsparse_direction_NS_24const_host_device_scalarIT1_EES1_PKS1_PKT2_SA_S7_PKT4_PKT5_S5_PT6_21rocsparse_index_base_b ; -- Begin function _ZN9rocsparseL18bsrxmvn_4x4_kernelILj128ELj8EdiifddEEvT3_20rocsparse_direction_NS_24const_host_device_scalarIT1_EES1_PKS1_PKT2_SA_S7_PKT4_PKT5_S5_PT6_21rocsparse_index_base_b
	.p2align	8
	.type	_ZN9rocsparseL18bsrxmvn_4x4_kernelILj128ELj8EdiifddEEvT3_20rocsparse_direction_NS_24const_host_device_scalarIT1_EES1_PKS1_PKT2_SA_S7_PKT4_PKT5_S5_PT6_21rocsparse_index_base_b,@function
_ZN9rocsparseL18bsrxmvn_4x4_kernelILj128ELj8EdiifddEEvT3_20rocsparse_direction_NS_24const_host_device_scalarIT1_EES1_PKS1_PKT2_SA_S7_PKT4_PKT5_S5_PT6_21rocsparse_index_base_b: ; @_ZN9rocsparseL18bsrxmvn_4x4_kernelILj128ELj8EdiifddEEvT3_20rocsparse_direction_NS_24const_host_device_scalarIT1_EES1_PKS1_PKT2_SA_S7_PKT4_PKT5_S5_PT6_21rocsparse_index_base_b
; %bb.0:
	s_clause 0x2
	s_load_b64 s[12:13], s[0:1], 0x58
	s_load_b64 s[4:5], s[0:1], 0x8
	;; [unrolled: 1-line block ×3, first 2 shown]
	s_wait_kmcnt 0x0
	s_bitcmp1_b32 s13, 0
	v_mov_b64_e32 v[2:3], s[4:5]
	s_cselect_b32 s6, -1, 0
	s_delay_alu instid0(SALU_CYCLE_1)
	s_and_b32 vcc_lo, exec_lo, s6
	s_xor_b32 s6, s6, -1
	s_cbranch_vccnz .LBB151_2
; %bb.1:
	v_mov_b32_e32 v1, 0
	flat_load_b64 v[2:3], v1, s[4:5]
.LBB151_2:
	v_mov_b64_e32 v[8:9], s[2:3]
	s_and_not1_b32 vcc_lo, exec_lo, s6
	s_cbranch_vccnz .LBB151_4
; %bb.3:
	s_wait_xcnt 0x0
	v_mov_b32_e32 v1, 0
	flat_load_b64 v[8:9], v1, s[2:3]
.LBB151_4:
	s_wait_loadcnt_dscnt 0x0
	v_cmp_neq_f64_e32 vcc_lo, 0, v[2:3]
	s_delay_alu instid0(VALU_DEP_2) | instskip(SKIP_1) | instid1(SALU_CYCLE_1)
	v_cmp_neq_f64_e64 s2, 1.0, v[8:9]
	s_or_b32 s2, vcc_lo, s2
	s_and_saveexec_b32 s3, s2
	s_cbranch_execz .LBB151_10
; %bb.5:
	s_clause 0x1
	s_load_b64 s[4:5], s[0:1], 0x18
	s_load_b64 s[2:3], s[0:1], 0x0
	s_bfe_u32 s6, ttmp6, 0x4000c
	s_and_b32 s7, ttmp6, 15
	s_add_co_i32 s6, s6, 1
	s_getreg_b32 s8, hwreg(HW_REG_IB_STS2, 6, 4)
	s_mul_i32 s6, ttmp9, s6
	v_lshrrev_b32_e32 v1, 3, v0
	s_add_co_i32 s7, s7, s6
	s_cmp_eq_u32 s8, 0
	s_cselect_b32 s6, ttmp9, s7
	s_delay_alu instid0(VALU_DEP_1) | instid1(SALU_CYCLE_1)
	v_lshl_or_b32 v10, s6, 4, v1
	s_mov_b32 s6, 0
	s_wait_kmcnt 0x0
	s_cmp_lg_u64 s[4:5], 0
	s_cbranch_scc0 .LBB151_11
; %bb.6:
	s_load_b32 s6, s[0:1], 0x10
	s_mov_b32 s7, 0
                                        ; implicit-def: $vgpr1
	s_wait_kmcnt 0x0
	v_cmp_gt_i32_e32 vcc_lo, s6, v10
	s_mov_b32 s6, 0
	s_and_saveexec_b32 s8, vcc_lo
	s_delay_alu instid0(SALU_CYCLE_1)
	s_xor_b32 s8, exec_lo, s8
	s_cbranch_execz .LBB151_8
; %bb.7:
	global_load_b32 v1, v10, s[4:5] scale_offset
	s_mov_b32 s6, exec_lo
	s_wait_loadcnt 0x0
	v_subrev_nc_u32_e32 v1, s12, v1
.LBB151_8:
	s_or_b32 exec_lo, exec_lo, s8
	s_delay_alu instid0(SALU_CYCLE_1)
	s_and_b32 vcc_lo, exec_lo, s7
	s_cbranch_vccz .LBB151_12
.LBB151_9:
	v_cmp_gt_i32_e32 vcc_lo, s2, v10
	s_and_not1_b32 s2, s6, exec_lo
	s_and_b32 s4, vcc_lo, exec_lo
	s_delay_alu instid0(SALU_CYCLE_1) | instskip(NEXT) | instid1(SALU_CYCLE_1)
	s_or_b32 s6, s2, s4
	s_and_b32 exec_lo, exec_lo, s6
	s_cbranch_execnz .LBB151_13
.LBB151_10:
	s_sendmsg sendmsg(MSG_DEALLOC_VGPRS)
	s_endpgm
.LBB151_11:
                                        ; implicit-def: $vgpr1
	s_cbranch_execnz .LBB151_9
.LBB151_12:
	s_delay_alu instid0(VALU_DEP_1)
	v_mov_b32_e32 v10, v1
	s_and_b32 exec_lo, exec_lo, s6
	s_cbranch_execz .LBB151_10
.LBB151_13:
	s_load_b256 s[4:11], s[0:1], 0x20
	s_wait_kmcnt 0x0
	s_cmp_eq_u64 s[6:7], 0
	global_load_b32 v20, v10, s[4:5] scale_offset
	s_cselect_b32 vcc_lo, -1, 0
	v_ashrrev_i32_e32 v11, 31, v10
	s_cmp_eq_u32 s3, 1
	s_delay_alu instid0(VALU_DEP_1) | instskip(SKIP_1) | instid1(VALU_DEP_2)
	v_lshlrev_b64_e32 v[4:5], 2, v[10:11]
	v_and_b32_e32 v11, 7, v0
	v_add_nc_u64_e32 v[6:7], s[4:5], v[4:5]
	v_add_nc_u64_e32 v[4:5], s[6:7], v[4:5]
	s_wait_xcnt 0x0
	s_load_b64 s[4:5], s[0:1], 0x40
	s_delay_alu instid0(VALU_DEP_2) | instskip(NEXT) | instid1(VALU_DEP_1)
	v_add_nc_u64_e32 v[6:7], 4, v[6:7]
	v_dual_cndmask_b32 v5, v5, v7 :: v_dual_cndmask_b32 v4, v4, v6
	global_load_b32 v4, v[4:5], off
	s_wait_loadcnt 0x1
	v_subrev_nc_u32_e32 v0, s12, v20
	s_delay_alu instid0(VALU_DEP_1) | instskip(NEXT) | instid1(VALU_DEP_1)
	v_add_nc_u32_e32 v14, v0, v11
	v_ashrrev_i32_e32 v15, 31, v14
	s_delay_alu instid0(VALU_DEP_1) | instskip(NEXT) | instid1(VALU_DEP_1)
	v_lshlrev_b64_e32 v[0:1], 6, v[14:15]
	v_add_nc_u64_e32 v[16:17], s[10:11], v[0:1]
	s_wait_loadcnt 0x0
	v_subrev_nc_u32_e32 v15, s12, v4
	s_delay_alu instid0(VALU_DEP_1)
	v_cmp_lt_i32_e64 s2, v14, v15
	s_cbranch_scc1 .LBB151_25
; %bb.14:
	v_mov_b64_e32 v[0:1], 0
	v_mov_b64_e32 v[6:7], 0
	;; [unrolled: 1-line block ×4, first 2 shown]
	s_and_saveexec_b32 s3, s2
	s_cbranch_execz .LBB151_24
; %bb.15:
	v_add_nc_u32_e32 v0, v20, v11
	v_not_b32_e32 v1, v20
	v_mov_b64_e32 v[4:5], 0
	v_mov_b64_e32 v[12:13], 0
	;; [unrolled: 1-line block ×3, first 2 shown]
	v_subrev_nc_u32_e32 v0, s12, v0
	v_mov_b32_e32 v21, v14
	s_delay_alu instid0(VALU_DEP_2) | instskip(NEXT) | instid1(VALU_DEP_1)
	v_add_max_i32_e64 v0, v0, 8, v15
	v_add3_u32 v0, s12, v0, v1
	s_delay_alu instid0(VALU_DEP_1) | instskip(SKIP_1) | instid1(VALU_DEP_2)
	v_sub_nc_u32_e32 v22, v0, v11
	v_mov_b64_e32 v[0:1], 0
	v_and_b32_e32 v18, 24, v22
	s_delay_alu instid0(VALU_DEP_1)
	v_cmp_ne_u32_e32 vcc_lo, 24, v18
	v_mov_b64_e32 v[18:19], v[16:17]
	s_and_saveexec_b32 s6, vcc_lo
	s_cbranch_execz .LBB151_19
; %bb.16:
	v_lshrrev_b32_e32 v0, 3, v22
	v_mov_b64_e32 v[18:19], v[16:17]
	v_mov_b64_e32 v[6:7], 0
	;; [unrolled: 1-line block ×3, first 2 shown]
	s_mov_b32 s7, 0
	v_add_nc_u32_e32 v4, 1, v0
	v_mov_b64_e32 v[0:1], 0
	s_delay_alu instid0(VALU_DEP_2) | instskip(SKIP_1) | instid1(VALU_DEP_2)
	v_and_b32_e32 v21, 3, v4
	v_mov_b64_e32 v[4:5], 0
	v_dual_sub_nc_u32 v23, 0, v21 :: v_dual_mov_b32 v21, v14
.LBB151_17:                             ; =>This Inner Loop Header: Depth=1
	global_load_b32 v40, v21, s[8:9] scale_offset
	s_clause 0x3
	global_load_b128 v[24:27], v[18:19], off
	global_load_b128 v[28:31], v[18:19], off offset:16
	global_load_b128 v[32:35], v[18:19], off offset:32
	;; [unrolled: 1-line block ×3, first 2 shown]
	s_wait_xcnt 0x0
	v_add_nc_u64_e32 v[18:19], 0x200, v[18:19]
	v_add_co_u32 v23, s10, v23, 1
	s_or_b32 s7, s10, s7
	v_add_nc_u32_e32 v21, 8, v21
	s_wait_loadcnt 0x4
	v_subrev_nc_u32_e32 v40, s12, v40
	s_wait_loadcnt 0x2
	v_cvt_f64_f32_e32 v[50:51], v28
	s_wait_loadcnt 0x1
	v_cvt_f64_f32_e32 v[52:53], v32
	;; [unrolled: 2-line block ×3, first 2 shown]
	v_lshlrev_b32_e32 v40, 2, v40
	v_cvt_f64_f32_e32 v[28:29], v29
	v_cvt_f64_f32_e32 v[32:33], v33
	;; [unrolled: 1-line block ×3, first 2 shown]
	s_delay_alu instid0(VALU_DEP_4) | instskip(SKIP_1) | instid1(VALU_DEP_1)
	v_ashrrev_i32_e32 v41, 31, v40
	s_wait_kmcnt 0x0
	v_lshl_add_u64 v[48:49], v[40:41], 3, s[4:5]
	s_clause 0x1
	global_load_b128 v[40:43], v[48:49], off
	global_load_b128 v[44:47], v[48:49], off offset:16
	s_wait_xcnt 0x0
	v_cvt_f64_f32_e32 v[48:49], v24
	v_cvt_f64_f32_e32 v[24:25], v25
	s_wait_loadcnt 0x1
	s_delay_alu instid0(VALU_DEP_2)
	v_fmac_f64_e32 v[4:5], v[48:49], v[40:41]
	v_fmac_f64_e32 v[12:13], v[50:51], v[40:41]
	;; [unrolled: 1-line block ×4, first 2 shown]
	v_cvt_f64_f32_e32 v[40:41], v26
	v_cvt_f64_f32_e32 v[48:49], v30
	;; [unrolled: 1-line block ×4, first 2 shown]
	v_fmac_f64_e32 v[4:5], v[24:25], v[42:43]
	v_fmac_f64_e32 v[12:13], v[28:29], v[42:43]
	;; [unrolled: 1-line block ×4, first 2 shown]
	v_cvt_f64_f32_e32 v[24:25], v27
	v_cvt_f64_f32_e32 v[26:27], v31
	;; [unrolled: 1-line block ×4, first 2 shown]
	s_wait_loadcnt 0x0
	v_fmac_f64_e32 v[4:5], v[40:41], v[44:45]
	v_fmac_f64_e32 v[12:13], v[48:49], v[44:45]
	;; [unrolled: 1-line block ×4, first 2 shown]
	s_delay_alu instid0(VALU_DEP_4) | instskip(NEXT) | instid1(VALU_DEP_4)
	v_fmac_f64_e32 v[4:5], v[24:25], v[46:47]
	v_fmac_f64_e32 v[12:13], v[26:27], v[46:47]
	s_delay_alu instid0(VALU_DEP_4) | instskip(NEXT) | instid1(VALU_DEP_4)
	v_fmac_f64_e32 v[6:7], v[28:29], v[46:47]
	v_fmac_f64_e32 v[0:1], v[30:31], v[46:47]
	s_and_not1_b32 exec_lo, exec_lo, s7
	s_cbranch_execnz .LBB151_17
; %bb.18:
	s_or_b32 exec_lo, exec_lo, s7
.LBB151_19:
	s_delay_alu instid0(SALU_CYCLE_1) | instskip(NEXT) | instid1(SALU_CYCLE_1)
	s_or_b32 exec_lo, exec_lo, s6
	s_mov_b32 s6, exec_lo
	v_cmpx_lt_u32_e32 23, v22
	s_cbranch_execz .LBB151_23
; %bb.20:
	s_mov_b32 s7, 0
.LBB151_21:                             ; =>This Inner Loop Header: Depth=1
	s_clause 0x1
	global_load_b32 v38, v21, s[8:9] scale_offset
	global_load_b32 v64, v21, s[8:9] offset:32 scale_offset
	s_clause 0x3
	global_load_b128 v[22:25], v[18:19], off
	global_load_b128 v[26:29], v[18:19], off offset:16
	global_load_b128 v[30:33], v[18:19], off offset:48
	;; [unrolled: 1-line block ×3, first 2 shown]
	s_clause 0x1
	global_load_b32 v98, v21, s[8:9] offset:64 scale_offset
	global_load_b32 v102, v21, s[8:9] offset:96 scale_offset
	s_wait_xcnt 0x0
	v_add_nc_u32_e32 v21, 32, v21
	s_delay_alu instid0(VALU_DEP_1)
	v_cmp_ge_i32_e32 vcc_lo, v21, v15
	s_or_b32 s7, vcc_lo, s7
	s_wait_loadcnt 0x7
	v_subrev_nc_u32_e32 v38, s12, v38
	s_wait_loadcnt 0x4
	v_cvt_f64_f32_e32 v[92:93], v26
	s_wait_loadcnt 0x3
	v_cvt_f64_f32_e32 v[96:97], v30
	v_lshlrev_b32_e32 v38, 2, v38
	s_wait_loadcnt 0x1
	v_subrev_nc_u32_e32 v26, s12, v98
	v_cvt_f64_f32_e32 v[94:95], v34
	v_cvt_f64_f32_e32 v[100:101], v33
	v_ashrrev_i32_e32 v39, 31, v38
	s_wait_kmcnt 0x0
	s_delay_alu instid0(VALU_DEP_1)
	v_lshl_add_u64 v[62:63], v[38:39], 3, s[4:5]
	s_clause 0x1
	global_load_b128 v[38:41], v[62:63], off
	global_load_b128 v[42:45], v[62:63], off offset:16
	s_clause 0x3
	global_load_b128 v[46:49], v[18:19], off offset:512
	global_load_b128 v[50:53], v[18:19], off offset:528
	;; [unrolled: 1-line block ×4, first 2 shown]
	s_wait_xcnt 0x4
	v_subrev_nc_u32_e32 v62, s12, v64
	s_delay_alu instid0(VALU_DEP_1) | instskip(NEXT) | instid1(VALU_DEP_1)
	v_lshlrev_b32_e32 v62, 2, v62
	v_ashrrev_i32_e32 v63, 31, v62
	s_delay_alu instid0(VALU_DEP_1)
	v_lshl_add_u64 v[90:91], v[62:63], 3, s[4:5]
	global_load_b128 v[62:65], v[90:91], off
	s_clause 0x4
	global_load_b128 v[66:69], v[18:19], off offset:1072
	global_load_b128 v[70:73], v[18:19], off offset:1056
	global_load_b128 v[74:77], v[18:19], off offset:1040
	global_load_b128 v[78:81], v[18:19], off offset:1024
	global_load_b128 v[82:85], v[18:19], off offset:1552
	global_load_b128 v[86:89], v[90:91], off offset:16
	s_wait_xcnt 0x0
	v_cvt_f64_f32_e32 v[90:91], v22
	v_cvt_f64_f32_e32 v[22:23], v23
	s_wait_loadcnt 0xc
	s_delay_alu instid0(VALU_DEP_2)
	v_fmac_f64_e32 v[4:5], v[90:91], v[38:39]
	v_lshlrev_b32_e32 v90, 2, v26
	v_fmac_f64_e32 v[12:13], v[92:93], v[38:39]
	v_cvt_f64_f32_e32 v[26:27], v27
	v_fmac_f64_e32 v[6:7], v[94:95], v[38:39]
	v_fmac_f64_e32 v[0:1], v[96:97], v[38:39]
	v_ashrrev_i32_e32 v91, 31, v90
	v_cvt_f64_f32_e32 v[96:97], v36
	v_cvt_f64_f32_e32 v[94:95], v29
	s_delay_alu instid0(VALU_DEP_3)
	v_lshl_add_u64 v[98:99], v[90:91], 3, s[4:5]
	global_load_b128 v[90:93], v[98:99], off
	v_fmac_f64_e32 v[4:5], v[22:23], v[40:41]
	v_cvt_f64_f32_e32 v[22:23], v35
	v_cvt_f64_f32_e32 v[34:35], v25
	v_fmac_f64_e32 v[12:13], v[26:27], v[40:41]
	v_cvt_f64_f32_e32 v[26:27], v31
	v_cvt_f64_f32_e32 v[30:31], v28
	v_fmac_f64_e32 v[6:7], v[22:23], v[40:41]
	s_delay_alu instid0(VALU_DEP_3)
	v_fmac_f64_e32 v[0:1], v[26:27], v[40:41]
	v_cvt_f64_f32_e32 v[26:27], v24
	global_load_b128 v[22:25], v[98:99], off offset:16
	global_load_b128 v[38:41], v[18:19], off offset:1536
	s_wait_xcnt 0x1
	v_cvt_f64_f32_e32 v[98:99], v37
	v_cvt_f64_f32_e32 v[36:37], v32
	s_wait_loadcnt 0xe
	v_fmac_f64_e32 v[12:13], v[30:31], v[42:43]
	global_load_b128 v[30:33], v[18:19], off offset:1584
	v_fmac_f64_e32 v[6:7], v[96:97], v[42:43]
	v_subrev_nc_u32_e32 v96, s12, v102
	v_fmac_f64_e32 v[4:5], v[26:27], v[42:43]
	global_load_b128 v[26:29], v[18:19], off offset:1568
	v_lshlrev_b32_e32 v96, 2, v96
	s_wait_xcnt 0x0
	v_add_nc_u64_e32 v[18:19], 0x800, v[18:19]
	v_fmac_f64_e32 v[0:1], v[36:37], v[42:43]
	v_fmac_f64_e32 v[12:13], v[94:95], v[44:45]
	s_wait_loadcnt 0xf
	v_cvt_f64_f32_e32 v[42:43], v46
	v_ashrrev_i32_e32 v97, 31, v96
	s_wait_loadcnt 0xe
	v_cvt_f64_f32_e32 v[94:95], v50
	v_cvt_f64_f32_e32 v[46:47], v47
	;; [unrolled: 1-line block ×3, first 2 shown]
	v_lshl_add_u64 v[96:97], v[96:97], 3, s[4:5]
	v_fmac_f64_e32 v[6:7], v[98:99], v[44:45]
	s_wait_loadcnt 0xc
	v_cvt_f64_f32_e32 v[98:99], v58
	v_cvt_f64_f32_e32 v[58:59], v59
	v_fmac_f64_e32 v[4:5], v[34:35], v[44:45]
	global_load_b128 v[34:37], v[96:97], off
	v_fmac_f64_e32 v[0:1], v[100:101], v[44:45]
	v_cvt_f64_f32_e32 v[44:45], v54
	v_cvt_f64_f32_e32 v[54:55], v55
	s_wait_loadcnt 0xc
	v_fmac_f64_e32 v[12:13], v[94:95], v[62:63]
	v_fmac_f64_e32 v[4:5], v[42:43], v[62:63]
	;; [unrolled: 1-line block ×4, first 2 shown]
	global_load_b128 v[42:45], v[96:97], off offset:16
	v_fmac_f64_e32 v[12:13], v[50:51], v[64:65]
	v_cvt_f64_f32_e32 v[50:51], v52
	v_cvt_f64_f32_e32 v[52:53], v53
	v_fmac_f64_e32 v[4:5], v[46:47], v[64:65]
	v_cvt_f64_f32_e32 v[46:47], v48
	v_cvt_f64_f32_e32 v[48:49], v49
	v_fmac_f64_e32 v[0:1], v[58:59], v[64:65]
	v_fmac_f64_e32 v[6:7], v[54:55], v[64:65]
	v_cvt_f64_f32_e32 v[54:55], v56
	v_cvt_f64_f32_e32 v[58:59], v60
	v_cvt_f64_f32_e32 v[56:57], v57
	v_cvt_f64_f32_e32 v[60:61], v61
	s_wait_loadcnt 0x7
	v_fmac_f64_e32 v[12:13], v[50:51], v[86:87]
	v_cvt_f64_f32_e32 v[50:51], v74
	v_fmac_f64_e32 v[4:5], v[46:47], v[86:87]
	v_cvt_f64_f32_e32 v[46:47], v78
	v_fmac_f64_e32 v[6:7], v[54:55], v[86:87]
	v_fmac_f64_e32 v[0:1], v[58:59], v[86:87]
	v_cvt_f64_f32_e32 v[54:55], v70
	v_cvt_f64_f32_e32 v[58:59], v66
	v_fmac_f64_e32 v[12:13], v[52:53], v[88:89]
	v_cvt_f64_f32_e32 v[52:53], v75
	v_fmac_f64_e32 v[4:5], v[48:49], v[88:89]
	;; [unrolled: 2-line block ×3, first 2 shown]
	v_fmac_f64_e32 v[0:1], v[60:61], v[88:89]
	v_cvt_f64_f32_e32 v[56:57], v71
	v_cvt_f64_f32_e32 v[60:61], v67
	s_wait_loadcnt 0x6
	v_fmac_f64_e32 v[4:5], v[46:47], v[90:91]
	v_fmac_f64_e32 v[12:13], v[50:51], v[90:91]
	;; [unrolled: 1-line block ×4, first 2 shown]
	v_cvt_f64_f32_e32 v[46:47], v80
	v_cvt_f64_f32_e32 v[50:51], v76
	;; [unrolled: 1-line block ×4, first 2 shown]
	v_fmac_f64_e32 v[4:5], v[48:49], v[92:93]
	v_fmac_f64_e32 v[12:13], v[52:53], v[92:93]
	;; [unrolled: 1-line block ×4, first 2 shown]
	v_cvt_f64_f32_e32 v[48:49], v81
	v_cvt_f64_f32_e32 v[52:53], v77
	;; [unrolled: 1-line block ×4, first 2 shown]
	s_wait_loadcnt 0x5
	v_fmac_f64_e32 v[4:5], v[46:47], v[22:23]
	v_fmac_f64_e32 v[12:13], v[50:51], v[22:23]
	;; [unrolled: 1-line block ×4, first 2 shown]
	s_wait_loadcnt 0x4
	v_cvt_f64_f32_e32 v[22:23], v38
	v_cvt_f64_f32_e32 v[46:47], v82
	s_wait_loadcnt 0x3
	v_cvt_f64_f32_e32 v[54:55], v30
	v_cvt_f64_f32_e32 v[30:31], v31
	;; [unrolled: 3-line block ×3, first 2 shown]
	v_fmac_f64_e32 v[4:5], v[48:49], v[24:25]
	v_fmac_f64_e32 v[12:13], v[52:53], v[24:25]
	;; [unrolled: 1-line block ×4, first 2 shown]
	v_cvt_f64_f32_e32 v[24:25], v39
	v_cvt_f64_f32_e32 v[38:39], v83
	v_cvt_f64_f32_e32 v[48:49], v32
	s_wait_loadcnt 0x1
	v_fmac_f64_e32 v[4:5], v[22:23], v[34:35]
	v_fmac_f64_e32 v[12:13], v[46:47], v[34:35]
	;; [unrolled: 1-line block ×4, first 2 shown]
	v_cvt_f64_f32_e32 v[22:23], v40
	v_cvt_f64_f32_e32 v[34:35], v84
	;; [unrolled: 1-line block ×4, first 2 shown]
	v_fmac_f64_e32 v[4:5], v[24:25], v[36:37]
	v_fmac_f64_e32 v[12:13], v[38:39], v[36:37]
	;; [unrolled: 1-line block ×4, first 2 shown]
	v_cvt_f64_f32_e32 v[24:25], v41
	v_cvt_f64_f32_e32 v[26:27], v85
	;; [unrolled: 1-line block ×3, first 2 shown]
	s_wait_loadcnt 0x0
	v_fmac_f64_e32 v[4:5], v[22:23], v[42:43]
	v_fmac_f64_e32 v[12:13], v[34:35], v[42:43]
	;; [unrolled: 1-line block ×4, first 2 shown]
	s_delay_alu instid0(VALU_DEP_4) | instskip(NEXT) | instid1(VALU_DEP_4)
	v_fmac_f64_e32 v[4:5], v[24:25], v[44:45]
	v_fmac_f64_e32 v[12:13], v[26:27], v[44:45]
	s_delay_alu instid0(VALU_DEP_4) | instskip(NEXT) | instid1(VALU_DEP_4)
	v_fmac_f64_e32 v[6:7], v[28:29], v[44:45]
	v_fmac_f64_e32 v[0:1], v[30:31], v[44:45]
	s_and_not1_b32 exec_lo, exec_lo, s7
	s_cbranch_execnz .LBB151_21
; %bb.22:
	s_or_b32 exec_lo, exec_lo, s7
.LBB151_23:
	s_delay_alu instid0(SALU_CYCLE_1)
	s_or_b32 exec_lo, exec_lo, s6
.LBB151_24:
	s_delay_alu instid0(SALU_CYCLE_1)
	s_or_b32 exec_lo, exec_lo, s3
	s_cbranch_execz .LBB151_26
	s_branch .LBB151_37
.LBB151_25:
                                        ; implicit-def: $vgpr0_vgpr1
                                        ; implicit-def: $vgpr6_vgpr7
                                        ; implicit-def: $vgpr12_vgpr13
                                        ; implicit-def: $vgpr4_vgpr5
.LBB151_26:
	v_mov_b64_e32 v[0:1], 0
	v_mov_b64_e32 v[6:7], 0
	;; [unrolled: 1-line block ×4, first 2 shown]
	s_and_saveexec_b32 s3, s2
	s_cbranch_execz .LBB151_36
; %bb.27:
	v_add_nc_u32_e32 v0, v20, v11
	v_not_b32_e32 v1, v20
	v_mov_b64_e32 v[4:5], 0
	v_mov_b64_e32 v[12:13], 0
	;; [unrolled: 1-line block ×3, first 2 shown]
	v_subrev_nc_u32_e32 v0, s12, v0
	s_mov_b32 s2, exec_lo
	s_delay_alu instid0(VALU_DEP_1) | instskip(NEXT) | instid1(VALU_DEP_1)
	v_add_max_i32_e64 v0, v0, 8, v15
	v_add3_u32 v0, s12, v0, v1
	s_delay_alu instid0(VALU_DEP_1) | instskip(SKIP_1) | instid1(VALU_DEP_2)
	v_sub_nc_u32_e32 v18, v0, v11
	v_mov_b64_e32 v[0:1], 0
	v_and_b32_e32 v19, 24, v18
	s_delay_alu instid0(VALU_DEP_1)
	v_cmpx_ne_u32_e32 24, v19
	s_cbranch_execz .LBB151_31
; %bb.28:
	v_lshrrev_b32_e32 v0, 3, v18
	v_mov_b64_e32 v[6:7], 0
	v_mov_b64_e32 v[12:13], 0
	;; [unrolled: 1-line block ×3, first 2 shown]
	s_mov_b32 s6, 0
	v_add_nc_u32_e32 v0, 1, v0
	s_delay_alu instid0(VALU_DEP_1) | instskip(SKIP_1) | instid1(VALU_DEP_2)
	v_and_b32_e32 v19, 3, v0
	v_mov_b64_e32 v[0:1], 0
	v_sub_nc_u32_e32 v19, 0, v19
.LBB151_29:                             ; =>This Inner Loop Header: Depth=1
	global_load_b32 v28, v14, s[8:9] scale_offset
	s_clause 0x1
	global_load_b128 v[20:23], v[16:17], off
	global_load_b128 v[24:27], v[16:17], off offset:16
	v_add_co_u32 v19, s7, v19, 1
	s_or_b32 s6, s7, s6
	s_wait_xcnt 0x2
	v_add_nc_u32_e32 v14, 8, v14
	s_wait_loadcnt 0x2
	v_subrev_nc_u32_e32 v28, s12, v28
	s_wait_loadcnt 0x1
	v_cvt_f64_f32_e32 v[46:47], v22
	v_cvt_f64_f32_e32 v[22:23], v23
	s_wait_loadcnt 0x0
	v_cvt_f64_f32_e32 v[48:49], v24
	v_cvt_f64_f32_e32 v[24:25], v25
	v_lshlrev_b32_e32 v28, 2, v28
	v_cvt_f64_f32_e32 v[50:51], v26
	v_cvt_f64_f32_e32 v[26:27], v27
	s_delay_alu instid0(VALU_DEP_3) | instskip(SKIP_1) | instid1(VALU_DEP_1)
	v_ashrrev_i32_e32 v29, 31, v28
	s_wait_kmcnt 0x0
	v_lshl_add_u64 v[44:45], v[28:29], 3, s[4:5]
	s_clause 0x1
	global_load_b128 v[28:31], v[44:45], off
	global_load_b128 v[32:35], v[44:45], off offset:16
	s_clause 0x1
	global_load_b128 v[36:39], v[16:17], off offset:32
	global_load_b128 v[40:43], v[16:17], off offset:48
	s_wait_xcnt 0x2
	v_cvt_f64_f32_e32 v[44:45], v20
	v_cvt_f64_f32_e32 v[20:21], v21
	s_wait_xcnt 0x0
	v_add_nc_u64_e32 v[16:17], 0x200, v[16:17]
	s_wait_loadcnt 0x3
	s_delay_alu instid0(VALU_DEP_3) | instskip(NEXT) | instid1(VALU_DEP_3)
	v_fmac_f64_e32 v[4:5], v[44:45], v[28:29]
	v_fmac_f64_e32 v[12:13], v[20:21], v[28:29]
	;; [unrolled: 1-line block ×4, first 2 shown]
	s_wait_loadcnt 0x1
	v_cvt_f64_f32_e32 v[20:21], v36
	v_cvt_f64_f32_e32 v[22:23], v37
	;; [unrolled: 1-line block ×4, first 2 shown]
	s_wait_loadcnt 0x0
	v_cvt_f64_f32_e32 v[38:39], v43
	v_fmac_f64_e32 v[4:5], v[48:49], v[30:31]
	v_fmac_f64_e32 v[12:13], v[24:25], v[30:31]
	;; [unrolled: 1-line block ×4, first 2 shown]
	v_cvt_f64_f32_e32 v[24:25], v40
	v_cvt_f64_f32_e32 v[26:27], v41
	;; [unrolled: 1-line block ×3, first 2 shown]
	v_fmac_f64_e32 v[4:5], v[20:21], v[32:33]
	v_fmac_f64_e32 v[12:13], v[22:23], v[32:33]
	;; [unrolled: 1-line block ×4, first 2 shown]
	s_delay_alu instid0(VALU_DEP_4) | instskip(NEXT) | instid1(VALU_DEP_4)
	v_fmac_f64_e32 v[4:5], v[24:25], v[34:35]
	v_fmac_f64_e32 v[12:13], v[26:27], v[34:35]
	s_delay_alu instid0(VALU_DEP_4) | instskip(NEXT) | instid1(VALU_DEP_4)
	v_fmac_f64_e32 v[6:7], v[30:31], v[34:35]
	v_fmac_f64_e32 v[0:1], v[38:39], v[34:35]
	s_and_not1_b32 exec_lo, exec_lo, s6
	s_cbranch_execnz .LBB151_29
; %bb.30:
	s_or_b32 exec_lo, exec_lo, s6
.LBB151_31:
	s_delay_alu instid0(SALU_CYCLE_1) | instskip(NEXT) | instid1(SALU_CYCLE_1)
	s_or_b32 exec_lo, exec_lo, s2
	s_mov_b32 s2, exec_lo
	v_cmpx_lt_u32_e32 23, v18
	s_cbranch_execz .LBB151_35
; %bb.32:
	s_mov_b32 s6, 0
.LBB151_33:                             ; =>This Inner Loop Header: Depth=1
	s_clause 0x6
	global_load_b128 v[18:21], v[16:17], off
	global_load_b128 v[22:25], v[16:17], off offset:16
	global_load_b128 v[26:29], v[16:17], off offset:32
	;; [unrolled: 1-line block ×6, first 2 shown]
	global_load_b32 v106, v14, s[8:9] scale_offset
	global_load_b128 v[46:49], v[16:17], off offset:560
	s_wait_loadcnt 0x8
	v_cvt_f64_f32_e32 v[50:51], v18
	v_cvt_f64_f32_e32 v[52:53], v19
	s_wait_loadcnt 0x6
	v_cvt_f64_f32_e32 v[66:67], v26
	v_cvt_f64_f32_e32 v[68:69], v27
	;; [unrolled: 1-line block ×5, first 2 shown]
	s_wait_loadcnt 0x1
	v_subrev_nc_u32_e32 v18, s12, v106
	v_cvt_f64_f32_e32 v[60:61], v23
	v_cvt_f64_f32_e32 v[62:63], v24
	;; [unrolled: 1-line block ×4, first 2 shown]
	v_lshlrev_b32_e32 v18, 2, v18
	v_cvt_f64_f32_e32 v[90:91], v38
	s_clause 0x2
	global_load_b32 v28, v14, s[8:9] offset:32 scale_offset
	global_load_b32 v38, v14, s[8:9] offset:64 scale_offset
	;; [unrolled: 1-line block ×3, first 2 shown]
	v_cvt_f64_f32_e32 v[82:83], v34
	v_cvt_f64_f32_e32 v[84:85], v35
	v_ashrrev_i32_e32 v19, 31, v18
	v_cvt_f64_f32_e32 v[72:73], v29
	v_cvt_f64_f32_e32 v[74:75], v30
	v_cvt_f64_f32_e32 v[76:77], v31
	v_cvt_f64_f32_e32 v[78:79], v32
	s_wait_kmcnt 0x0
	v_lshl_add_u64 v[26:27], v[18:19], 3, s[4:5]
	v_cvt_f64_f32_e32 v[80:81], v33
	v_cvt_f64_f32_e32 v[92:93], v39
	;; [unrolled: 1-line block ×4, first 2 shown]
	s_clause 0x1
	global_load_b128 v[18:21], v[26:27], off
	global_load_b128 v[22:25], v[26:27], off offset:16
	v_cvt_f64_f32_e32 v[86:87], v36
	v_cvt_f64_f32_e32 v[88:89], v37
	;; [unrolled: 1-line block ×6, first 2 shown]
	s_wait_xcnt 0x2
	v_add_nc_u32_e32 v14, 32, v14
	s_delay_alu instid0(VALU_DEP_1) | instskip(SKIP_3) | instid1(VALU_DEP_1)
	v_cmp_ge_i32_e32 vcc_lo, v14, v15
	s_or_b32 s6, vcc_lo, s6
	s_wait_loadcnt 0x3
	v_subrev_nc_u32_e32 v38, s12, v38
	v_lshlrev_b32_e32 v38, 2, v38
	s_delay_alu instid0(VALU_DEP_1)
	v_ashrrev_i32_e32 v39, 31, v38
	s_wait_loadcnt 0x1
	v_fmac_f64_e32 v[4:5], v[50:51], v[18:19]
	v_fmac_f64_e32 v[12:13], v[52:53], v[18:19]
	;; [unrolled: 1-line block ×4, first 2 shown]
	v_subrev_nc_u32_e32 v18, s12, v28
	v_lshl_add_u64 v[42:43], v[38:39], 3, s[4:5]
	s_delay_alu instid0(VALU_DEP_2) | instskip(NEXT) | instid1(VALU_DEP_1)
	v_lshlrev_b32_e32 v18, 2, v18
	v_ashrrev_i32_e32 v19, 31, v18
	s_delay_alu instid0(VALU_DEP_1)
	v_lshl_add_u64 v[34:35], v[18:19], 3, s[4:5]
	global_load_b128 v[26:29], v[34:35], off
	v_fmac_f64_e32 v[4:5], v[58:59], v[20:21]
	v_fmac_f64_e32 v[12:13], v[60:61], v[20:21]
	v_fmac_f64_e32 v[6:7], v[62:63], v[20:21]
	v_fmac_f64_e32 v[0:1], v[64:65], v[20:21]
	global_load_b128 v[18:21], v[34:35], off offset:16
	s_clause 0x2
	global_load_b128 v[30:33], v[16:17], off offset:1024
	global_load_b128 v[34:37], v[16:17], off offset:1040
	global_load_b128 v[50:53], v[16:17], off offset:1056
	global_load_b128 v[38:41], v[42:43], off
	v_cvt_f64_f32_e32 v[62:63], v46
	s_clause 0x1
	global_load_b128 v[54:57], v[16:17], off offset:1552
	global_load_b128 v[58:61], v[16:17], off offset:1584
	s_wait_loadcnt 0x8
	v_fmac_f64_e32 v[4:5], v[66:67], v[22:23]
	v_fmac_f64_e32 v[12:13], v[68:69], v[22:23]
	;; [unrolled: 1-line block ×4, first 2 shown]
	v_cvt_f64_f32_e32 v[66:67], v47
	v_cvt_f64_f32_e32 v[68:69], v48
	;; [unrolled: 1-line block ×3, first 2 shown]
	global_load_b128 v[46:49], v[16:17], off offset:1536
	v_fmac_f64_e32 v[4:5], v[74:75], v[24:25]
	v_fmac_f64_e32 v[12:13], v[76:77], v[24:25]
	;; [unrolled: 1-line block ×4, first 2 shown]
	global_load_b128 v[22:25], v[16:17], off offset:1072
	s_wait_loadcnt 0x9
	v_fmac_f64_e32 v[4:5], v[82:83], v[26:27]
	v_fmac_f64_e32 v[12:13], v[84:85], v[26:27]
	;; [unrolled: 1-line block ×4, first 2 shown]
	v_subrev_nc_u32_e32 v26, s12, v107
	s_delay_alu instid0(VALU_DEP_1) | instskip(SKIP_3) | instid1(VALU_DEP_3)
	v_lshlrev_b32_e32 v26, 2, v26
	s_wait_loadcnt 0x7
	v_cvt_f64_f32_e32 v[72:73], v30
	v_cvt_f64_f32_e32 v[74:75], v31
	v_ashrrev_i32_e32 v27, 31, v26
	v_cvt_f64_f32_e32 v[76:77], v32
	v_cvt_f64_f32_e32 v[78:79], v33
	global_load_b128 v[30:33], v[16:17], off offset:1568
	s_wait_xcnt 0x0
	v_add_nc_u64_e32 v[16:17], 0x800, v[16:17]
	v_lshl_add_u64 v[64:65], v[26:27], 3, s[4:5]
	v_fmac_f64_e32 v[4:5], v[90:91], v[28:29]
	v_fmac_f64_e32 v[12:13], v[92:93], v[28:29]
	;; [unrolled: 1-line block ×4, first 2 shown]
	s_clause 0x1
	global_load_b128 v[26:29], v[64:65], off
	global_load_b128 v[42:45], v[42:43], off offset:16
	v_fmac_f64_e32 v[4:5], v[98:99], v[18:19]
	v_fmac_f64_e32 v[12:13], v[100:101], v[18:19]
	v_fmac_f64_e32 v[6:7], v[102:103], v[18:19]
	v_fmac_f64_e32 v[0:1], v[104:105], v[18:19]
	s_wait_loadcnt 0x9
	v_cvt_f64_f32_e32 v[18:19], v34
	v_fmac_f64_e32 v[4:5], v[62:63], v[20:21]
	global_load_b128 v[62:65], v[64:65], off offset:16
	v_fmac_f64_e32 v[12:13], v[66:67], v[20:21]
	v_fmac_f64_e32 v[6:7], v[68:69], v[20:21]
	;; [unrolled: 1-line block ×3, first 2 shown]
	v_cvt_f64_f32_e32 v[20:21], v35
	v_cvt_f64_f32_e32 v[34:35], v36
	;; [unrolled: 1-line block ×3, first 2 shown]
	s_wait_loadcnt 0x9
	v_cvt_f64_f32_e32 v[66:67], v52
	v_cvt_f64_f32_e32 v[52:53], v53
	s_wait_loadcnt 0x8
	v_fmac_f64_e32 v[4:5], v[72:73], v[38:39]
	v_fmac_f64_e32 v[12:13], v[74:75], v[38:39]
	;; [unrolled: 1-line block ×4, first 2 shown]
	v_cvt_f64_f32_e32 v[38:39], v50
	v_cvt_f64_f32_e32 v[50:51], v51
	v_fmac_f64_e32 v[4:5], v[18:19], v[40:41]
	s_wait_loadcnt 0x4
	v_cvt_f64_f32_e32 v[18:19], v22
	v_fmac_f64_e32 v[12:13], v[20:21], v[40:41]
	v_fmac_f64_e32 v[6:7], v[34:35], v[40:41]
	;; [unrolled: 1-line block ×3, first 2 shown]
	v_cvt_f64_f32_e32 v[20:21], v23
	v_cvt_f64_f32_e32 v[22:23], v24
	;; [unrolled: 1-line block ×6, first 2 shown]
	s_wait_loadcnt 0x1
	v_fmac_f64_e32 v[4:5], v[38:39], v[42:43]
	v_fmac_f64_e32 v[12:13], v[50:51], v[42:43]
	;; [unrolled: 1-line block ×4, first 2 shown]
	v_cvt_f64_f32_e32 v[38:39], v48
	v_fmac_f64_e32 v[4:5], v[18:19], v[44:45]
	v_fmac_f64_e32 v[12:13], v[20:21], v[44:45]
	v_fmac_f64_e32 v[6:7], v[22:23], v[44:45]
	v_fmac_f64_e32 v[0:1], v[24:25], v[44:45]
	v_cvt_f64_f32_e32 v[18:19], v54
	v_cvt_f64_f32_e32 v[20:21], v55
	v_cvt_f64_f32_e32 v[22:23], v56
	v_cvt_f64_f32_e32 v[24:25], v57
	v_fmac_f64_e32 v[4:5], v[34:35], v[26:27]
	v_fmac_f64_e32 v[12:13], v[36:37], v[26:27]
	v_fmac_f64_e32 v[6:7], v[38:39], v[26:27]
	v_fmac_f64_e32 v[0:1], v[40:41], v[26:27]
	v_cvt_f64_f32_e32 v[26:27], v30
	v_cvt_f64_f32_e32 v[30:31], v31
	v_cvt_f64_f32_e32 v[34:35], v32
	;; [unrolled: 8-line block ×3, first 2 shown]
	v_cvt_f64_f32_e32 v[24:25], v61
	s_wait_loadcnt 0x0
	v_fmac_f64_e32 v[4:5], v[26:27], v[62:63]
	v_fmac_f64_e32 v[12:13], v[30:31], v[62:63]
	;; [unrolled: 1-line block ×4, first 2 shown]
	s_delay_alu instid0(VALU_DEP_4) | instskip(NEXT) | instid1(VALU_DEP_4)
	v_fmac_f64_e32 v[4:5], v[18:19], v[64:65]
	v_fmac_f64_e32 v[12:13], v[20:21], v[64:65]
	s_delay_alu instid0(VALU_DEP_4) | instskip(NEXT) | instid1(VALU_DEP_4)
	v_fmac_f64_e32 v[6:7], v[22:23], v[64:65]
	v_fmac_f64_e32 v[0:1], v[24:25], v[64:65]
	s_and_not1_b32 exec_lo, exec_lo, s6
	s_cbranch_execnz .LBB151_33
; %bb.34:
	s_or_b32 exec_lo, exec_lo, s6
.LBB151_35:
	s_delay_alu instid0(SALU_CYCLE_1)
	s_or_b32 exec_lo, exec_lo, s2
.LBB151_36:
	s_delay_alu instid0(SALU_CYCLE_1)
	s_or_b32 exec_lo, exec_lo, s3
.LBB151_37:
	v_mbcnt_lo_u32_b32 v24, -1, 0
	s_delay_alu instid0(VALU_DEP_1) | instskip(NEXT) | instid1(VALU_DEP_1)
	v_xor_b32_e32 v14, 4, v24
	v_cmp_gt_i32_e32 vcc_lo, 32, v14
	v_cndmask_b32_e32 v14, v24, v14, vcc_lo
	s_delay_alu instid0(VALU_DEP_1)
	v_lshlrev_b32_e32 v21, 2, v14
	ds_bpermute_b32 v14, v21, v4
	ds_bpermute_b32 v15, v21, v5
	;; [unrolled: 1-line block ×4, first 2 shown]
	s_wait_dscnt 0x2
	v_add_f64_e32 v[4:5], v[4:5], v[14:15]
	s_wait_dscnt 0x0
	v_add_f64_e32 v[14:15], v[12:13], v[16:17]
	ds_bpermute_b32 v18, v21, v6
	ds_bpermute_b32 v19, v21, v7
	;; [unrolled: 1-line block ×4, first 2 shown]
	s_wait_dscnt 0x2
	v_add_f64_e32 v[16:17], v[6:7], v[18:19]
	s_wait_dscnt 0x0
	v_add_f64_e32 v[18:19], v[0:1], v[20:21]
	v_xor_b32_e32 v0, 2, v24
	s_delay_alu instid0(VALU_DEP_1) | instskip(SKIP_1) | instid1(VALU_DEP_1)
	v_cmp_gt_i32_e32 vcc_lo, 32, v0
	v_cndmask_b32_e32 v0, v24, v0, vcc_lo
	v_lshlrev_b32_e32 v12, 2, v0
	ds_bpermute_b32 v6, v12, v14
	ds_bpermute_b32 v7, v12, v15
	;; [unrolled: 1-line block ×6, first 2 shown]
	s_wait_dscnt 0x4
	v_dual_add_f64 v[6:7], v[14:15], v[6:7] :: v_dual_bitop2_b32 v14, 1, v24 bitop3:0x14
	s_delay_alu instid0(VALU_DEP_1) | instskip(SKIP_2) | instid1(VALU_DEP_2)
	v_cmp_gt_i32_e32 vcc_lo, 32, v14
	v_cndmask_b32_e32 v14, v24, v14, vcc_lo
	v_cmp_eq_u32_e32 vcc_lo, 7, v11
	v_lshlrev_b32_e32 v15, 2, v14
	ds_bpermute_b32 v22, v12, v18
	ds_bpermute_b32 v23, v12, v19
	s_wait_dscnt 0x4
	v_add_f64_e32 v[12:13], v[4:5], v[0:1]
	s_wait_dscnt 0x2
	v_add_f64_e32 v[0:1], v[16:17], v[20:21]
	;; [unrolled: 2-line block ×3, first 2 shown]
	ds_bpermute_b32 v18, v15, v6
	ds_bpermute_b32 v19, v15, v7
	ds_bpermute_b32 v20, v15, v12
	ds_bpermute_b32 v21, v15, v13
	ds_bpermute_b32 v16, v15, v0
	ds_bpermute_b32 v17, v15, v1
	ds_bpermute_b32 v14, v15, v4
	ds_bpermute_b32 v15, v15, v5
	s_and_b32 exec_lo, exec_lo, vcc_lo
	s_cbranch_execz .LBB151_10
; %bb.38:
	s_wait_dscnt 0x4
	v_dual_add_f64 v[12:13], v[12:13], v[20:21] :: v_dual_lshlrev_b32 v10, 2, v10
	v_add_f64_e32 v[6:7], v[6:7], v[18:19]
	s_wait_dscnt 0x2
	v_add_f64_e32 v[0:1], v[0:1], v[16:17]
	s_wait_dscnt 0x0
	v_add_f64_e32 v[14:15], v[4:5], v[14:15]
	s_load_b64 s[0:1], s[0:1], 0x50
	s_mov_b32 s2, exec_lo
	s_delay_alu instid0(VALU_DEP_4) | instskip(NEXT) | instid1(VALU_DEP_4)
	v_mul_f64_e32 v[4:5], v[2:3], v[12:13]
	v_mul_f64_e32 v[6:7], v[2:3], v[6:7]
	s_delay_alu instid0(VALU_DEP_4) | instskip(NEXT) | instid1(VALU_DEP_4)
	v_mul_f64_e32 v[0:1], v[2:3], v[0:1]
	v_mul_f64_e32 v[2:3], v[2:3], v[14:15]
	v_cmpx_eq_f64_e32 0, v[8:9]
	s_xor_b32 s2, exec_lo, s2
	s_cbranch_execz .LBB151_40
; %bb.39:
	v_ashrrev_i32_e32 v11, 31, v10
	s_wait_kmcnt 0x0
	s_delay_alu instid0(VALU_DEP_1)
	v_lshl_add_u64 v[8:9], v[10:11], 3, s[0:1]
                                        ; implicit-def: $vgpr10
	s_clause 0x1
	global_store_b128 v[8:9], v[4:7], off
	global_store_b128 v[8:9], v[0:3], off offset:16
                                        ; implicit-def: $vgpr8_vgpr9
                                        ; implicit-def: $vgpr4_vgpr5
                                        ; implicit-def: $vgpr0_vgpr1
.LBB151_40:
	s_wait_xcnt 0x0
	s_and_not1_saveexec_b32 s2, s2
	s_cbranch_execz .LBB151_10
; %bb.41:
	v_ashrrev_i32_e32 v11, 31, v10
	s_wait_kmcnt 0x0
	s_delay_alu instid0(VALU_DEP_1)
	v_lshl_add_u64 v[18:19], v[10:11], 3, s[0:1]
	s_clause 0x1
	global_load_b128 v[10:13], v[18:19], off
	global_load_b128 v[14:17], v[18:19], off offset:16
	s_wait_loadcnt 0x1
	v_fmac_f64_e32 v[4:5], v[8:9], v[10:11]
	v_fmac_f64_e32 v[6:7], v[8:9], v[12:13]
	s_wait_loadcnt 0x0
	v_fmac_f64_e32 v[0:1], v[8:9], v[14:15]
	v_fmac_f64_e32 v[2:3], v[8:9], v[16:17]
	s_clause 0x1
	global_store_b128 v[18:19], v[4:7], off
	global_store_b128 v[18:19], v[0:3], off offset:16
	s_sendmsg sendmsg(MSG_DEALLOC_VGPRS)
	s_endpgm
	.section	.rodata,"a",@progbits
	.p2align	6, 0x0
	.amdhsa_kernel _ZN9rocsparseL18bsrxmvn_4x4_kernelILj128ELj8EdiifddEEvT3_20rocsparse_direction_NS_24const_host_device_scalarIT1_EES1_PKS1_PKT2_SA_S7_PKT4_PKT5_S5_PT6_21rocsparse_index_base_b
		.amdhsa_group_segment_fixed_size 0
		.amdhsa_private_segment_fixed_size 0
		.amdhsa_kernarg_size 96
		.amdhsa_user_sgpr_count 2
		.amdhsa_user_sgpr_dispatch_ptr 0
		.amdhsa_user_sgpr_queue_ptr 0
		.amdhsa_user_sgpr_kernarg_segment_ptr 1
		.amdhsa_user_sgpr_dispatch_id 0
		.amdhsa_user_sgpr_kernarg_preload_length 0
		.amdhsa_user_sgpr_kernarg_preload_offset 0
		.amdhsa_user_sgpr_private_segment_size 0
		.amdhsa_wavefront_size32 1
		.amdhsa_uses_dynamic_stack 0
		.amdhsa_enable_private_segment 0
		.amdhsa_system_sgpr_workgroup_id_x 1
		.amdhsa_system_sgpr_workgroup_id_y 0
		.amdhsa_system_sgpr_workgroup_id_z 0
		.amdhsa_system_sgpr_workgroup_info 0
		.amdhsa_system_vgpr_workitem_id 0
		.amdhsa_next_free_vgpr 108
		.amdhsa_next_free_sgpr 14
		.amdhsa_named_barrier_count 0
		.amdhsa_reserve_vcc 1
		.amdhsa_float_round_mode_32 0
		.amdhsa_float_round_mode_16_64 0
		.amdhsa_float_denorm_mode_32 3
		.amdhsa_float_denorm_mode_16_64 3
		.amdhsa_fp16_overflow 0
		.amdhsa_memory_ordered 1
		.amdhsa_forward_progress 1
		.amdhsa_inst_pref_size 35
		.amdhsa_round_robin_scheduling 0
		.amdhsa_exception_fp_ieee_invalid_op 0
		.amdhsa_exception_fp_denorm_src 0
		.amdhsa_exception_fp_ieee_div_zero 0
		.amdhsa_exception_fp_ieee_overflow 0
		.amdhsa_exception_fp_ieee_underflow 0
		.amdhsa_exception_fp_ieee_inexact 0
		.amdhsa_exception_int_div_zero 0
	.end_amdhsa_kernel
	.section	.text._ZN9rocsparseL18bsrxmvn_4x4_kernelILj128ELj8EdiifddEEvT3_20rocsparse_direction_NS_24const_host_device_scalarIT1_EES1_PKS1_PKT2_SA_S7_PKT4_PKT5_S5_PT6_21rocsparse_index_base_b,"axG",@progbits,_ZN9rocsparseL18bsrxmvn_4x4_kernelILj128ELj8EdiifddEEvT3_20rocsparse_direction_NS_24const_host_device_scalarIT1_EES1_PKS1_PKT2_SA_S7_PKT4_PKT5_S5_PT6_21rocsparse_index_base_b,comdat
.Lfunc_end151:
	.size	_ZN9rocsparseL18bsrxmvn_4x4_kernelILj128ELj8EdiifddEEvT3_20rocsparse_direction_NS_24const_host_device_scalarIT1_EES1_PKS1_PKT2_SA_S7_PKT4_PKT5_S5_PT6_21rocsparse_index_base_b, .Lfunc_end151-_ZN9rocsparseL18bsrxmvn_4x4_kernelILj128ELj8EdiifddEEvT3_20rocsparse_direction_NS_24const_host_device_scalarIT1_EES1_PKS1_PKT2_SA_S7_PKT4_PKT5_S5_PT6_21rocsparse_index_base_b
                                        ; -- End function
	.set _ZN9rocsparseL18bsrxmvn_4x4_kernelILj128ELj8EdiifddEEvT3_20rocsparse_direction_NS_24const_host_device_scalarIT1_EES1_PKS1_PKT2_SA_S7_PKT4_PKT5_S5_PT6_21rocsparse_index_base_b.num_vgpr, 108
	.set _ZN9rocsparseL18bsrxmvn_4x4_kernelILj128ELj8EdiifddEEvT3_20rocsparse_direction_NS_24const_host_device_scalarIT1_EES1_PKS1_PKT2_SA_S7_PKT4_PKT5_S5_PT6_21rocsparse_index_base_b.num_agpr, 0
	.set _ZN9rocsparseL18bsrxmvn_4x4_kernelILj128ELj8EdiifddEEvT3_20rocsparse_direction_NS_24const_host_device_scalarIT1_EES1_PKS1_PKT2_SA_S7_PKT4_PKT5_S5_PT6_21rocsparse_index_base_b.numbered_sgpr, 14
	.set _ZN9rocsparseL18bsrxmvn_4x4_kernelILj128ELj8EdiifddEEvT3_20rocsparse_direction_NS_24const_host_device_scalarIT1_EES1_PKS1_PKT2_SA_S7_PKT4_PKT5_S5_PT6_21rocsparse_index_base_b.num_named_barrier, 0
	.set _ZN9rocsparseL18bsrxmvn_4x4_kernelILj128ELj8EdiifddEEvT3_20rocsparse_direction_NS_24const_host_device_scalarIT1_EES1_PKS1_PKT2_SA_S7_PKT4_PKT5_S5_PT6_21rocsparse_index_base_b.private_seg_size, 0
	.set _ZN9rocsparseL18bsrxmvn_4x4_kernelILj128ELj8EdiifddEEvT3_20rocsparse_direction_NS_24const_host_device_scalarIT1_EES1_PKS1_PKT2_SA_S7_PKT4_PKT5_S5_PT6_21rocsparse_index_base_b.uses_vcc, 1
	.set _ZN9rocsparseL18bsrxmvn_4x4_kernelILj128ELj8EdiifddEEvT3_20rocsparse_direction_NS_24const_host_device_scalarIT1_EES1_PKS1_PKT2_SA_S7_PKT4_PKT5_S5_PT6_21rocsparse_index_base_b.uses_flat_scratch, 0
	.set _ZN9rocsparseL18bsrxmvn_4x4_kernelILj128ELj8EdiifddEEvT3_20rocsparse_direction_NS_24const_host_device_scalarIT1_EES1_PKS1_PKT2_SA_S7_PKT4_PKT5_S5_PT6_21rocsparse_index_base_b.has_dyn_sized_stack, 0
	.set _ZN9rocsparseL18bsrxmvn_4x4_kernelILj128ELj8EdiifddEEvT3_20rocsparse_direction_NS_24const_host_device_scalarIT1_EES1_PKS1_PKT2_SA_S7_PKT4_PKT5_S5_PT6_21rocsparse_index_base_b.has_recursion, 0
	.set _ZN9rocsparseL18bsrxmvn_4x4_kernelILj128ELj8EdiifddEEvT3_20rocsparse_direction_NS_24const_host_device_scalarIT1_EES1_PKS1_PKT2_SA_S7_PKT4_PKT5_S5_PT6_21rocsparse_index_base_b.has_indirect_call, 0
	.section	.AMDGPU.csdata,"",@progbits
; Kernel info:
; codeLenInByte = 4364
; TotalNumSgprs: 16
; NumVgprs: 108
; ScratchSize: 0
; MemoryBound: 0
; FloatMode: 240
; IeeeMode: 1
; LDSByteSize: 0 bytes/workgroup (compile time only)
; SGPRBlocks: 0
; VGPRBlocks: 6
; NumSGPRsForWavesPerEU: 16
; NumVGPRsForWavesPerEU: 108
; NamedBarCnt: 0
; Occupancy: 9
; WaveLimiterHint : 1
; COMPUTE_PGM_RSRC2:SCRATCH_EN: 0
; COMPUTE_PGM_RSRC2:USER_SGPR: 2
; COMPUTE_PGM_RSRC2:TRAP_HANDLER: 0
; COMPUTE_PGM_RSRC2:TGID_X_EN: 1
; COMPUTE_PGM_RSRC2:TGID_Y_EN: 0
; COMPUTE_PGM_RSRC2:TGID_Z_EN: 0
; COMPUTE_PGM_RSRC2:TIDIG_COMP_CNT: 0
	.section	.text._ZN9rocsparseL18bsrxmvn_4x4_kernelILj128ELj16EdiifddEEvT3_20rocsparse_direction_NS_24const_host_device_scalarIT1_EES1_PKS1_PKT2_SA_S7_PKT4_PKT5_S5_PT6_21rocsparse_index_base_b,"axG",@progbits,_ZN9rocsparseL18bsrxmvn_4x4_kernelILj128ELj16EdiifddEEvT3_20rocsparse_direction_NS_24const_host_device_scalarIT1_EES1_PKS1_PKT2_SA_S7_PKT4_PKT5_S5_PT6_21rocsparse_index_base_b,comdat
	.globl	_ZN9rocsparseL18bsrxmvn_4x4_kernelILj128ELj16EdiifddEEvT3_20rocsparse_direction_NS_24const_host_device_scalarIT1_EES1_PKS1_PKT2_SA_S7_PKT4_PKT5_S5_PT6_21rocsparse_index_base_b ; -- Begin function _ZN9rocsparseL18bsrxmvn_4x4_kernelILj128ELj16EdiifddEEvT3_20rocsparse_direction_NS_24const_host_device_scalarIT1_EES1_PKS1_PKT2_SA_S7_PKT4_PKT5_S5_PT6_21rocsparse_index_base_b
	.p2align	8
	.type	_ZN9rocsparseL18bsrxmvn_4x4_kernelILj128ELj16EdiifddEEvT3_20rocsparse_direction_NS_24const_host_device_scalarIT1_EES1_PKS1_PKT2_SA_S7_PKT4_PKT5_S5_PT6_21rocsparse_index_base_b,@function
_ZN9rocsparseL18bsrxmvn_4x4_kernelILj128ELj16EdiifddEEvT3_20rocsparse_direction_NS_24const_host_device_scalarIT1_EES1_PKS1_PKT2_SA_S7_PKT4_PKT5_S5_PT6_21rocsparse_index_base_b: ; @_ZN9rocsparseL18bsrxmvn_4x4_kernelILj128ELj16EdiifddEEvT3_20rocsparse_direction_NS_24const_host_device_scalarIT1_EES1_PKS1_PKT2_SA_S7_PKT4_PKT5_S5_PT6_21rocsparse_index_base_b
; %bb.0:
	s_clause 0x2
	s_load_b64 s[12:13], s[0:1], 0x58
	s_load_b64 s[4:5], s[0:1], 0x8
	s_load_b64 s[2:3], s[0:1], 0x48
	s_wait_kmcnt 0x0
	s_bitcmp1_b32 s13, 0
	v_mov_b64_e32 v[2:3], s[4:5]
	s_cselect_b32 s6, -1, 0
	s_delay_alu instid0(SALU_CYCLE_1)
	s_and_b32 vcc_lo, exec_lo, s6
	s_xor_b32 s6, s6, -1
	s_cbranch_vccnz .LBB152_2
; %bb.1:
	v_mov_b32_e32 v1, 0
	flat_load_b64 v[2:3], v1, s[4:5]
.LBB152_2:
	v_mov_b64_e32 v[8:9], s[2:3]
	s_and_not1_b32 vcc_lo, exec_lo, s6
	s_cbranch_vccnz .LBB152_4
; %bb.3:
	s_wait_xcnt 0x0
	v_mov_b32_e32 v1, 0
	flat_load_b64 v[8:9], v1, s[2:3]
.LBB152_4:
	s_wait_loadcnt_dscnt 0x0
	v_cmp_neq_f64_e32 vcc_lo, 0, v[2:3]
	s_delay_alu instid0(VALU_DEP_2) | instskip(SKIP_1) | instid1(SALU_CYCLE_1)
	v_cmp_neq_f64_e64 s2, 1.0, v[8:9]
	s_or_b32 s2, vcc_lo, s2
	s_and_saveexec_b32 s3, s2
	s_cbranch_execz .LBB152_10
; %bb.5:
	s_clause 0x1
	s_load_b64 s[4:5], s[0:1], 0x18
	s_load_b64 s[2:3], s[0:1], 0x0
	s_bfe_u32 s6, ttmp6, 0x4000c
	s_and_b32 s7, ttmp6, 15
	s_add_co_i32 s6, s6, 1
	s_getreg_b32 s8, hwreg(HW_REG_IB_STS2, 6, 4)
	s_mul_i32 s6, ttmp9, s6
	v_lshrrev_b32_e32 v1, 4, v0
	s_add_co_i32 s7, s7, s6
	s_cmp_eq_u32 s8, 0
	s_cselect_b32 s6, ttmp9, s7
	s_delay_alu instid0(VALU_DEP_1) | instid1(SALU_CYCLE_1)
	v_lshl_or_b32 v10, s6, 3, v1
	s_mov_b32 s6, 0
	s_wait_kmcnt 0x0
	s_cmp_lg_u64 s[4:5], 0
	s_cbranch_scc0 .LBB152_11
; %bb.6:
	s_load_b32 s6, s[0:1], 0x10
	s_mov_b32 s7, 0
                                        ; implicit-def: $vgpr1
	s_wait_kmcnt 0x0
	v_cmp_gt_i32_e32 vcc_lo, s6, v10
	s_mov_b32 s6, 0
	s_and_saveexec_b32 s8, vcc_lo
	s_delay_alu instid0(SALU_CYCLE_1)
	s_xor_b32 s8, exec_lo, s8
	s_cbranch_execz .LBB152_8
; %bb.7:
	global_load_b32 v1, v10, s[4:5] scale_offset
	s_mov_b32 s6, exec_lo
	s_wait_loadcnt 0x0
	v_subrev_nc_u32_e32 v1, s12, v1
.LBB152_8:
	s_or_b32 exec_lo, exec_lo, s8
	s_delay_alu instid0(SALU_CYCLE_1)
	s_and_b32 vcc_lo, exec_lo, s7
	s_cbranch_vccz .LBB152_12
.LBB152_9:
	v_cmp_gt_i32_e32 vcc_lo, s2, v10
	s_and_not1_b32 s2, s6, exec_lo
	s_and_b32 s4, vcc_lo, exec_lo
	s_delay_alu instid0(SALU_CYCLE_1) | instskip(NEXT) | instid1(SALU_CYCLE_1)
	s_or_b32 s6, s2, s4
	s_and_b32 exec_lo, exec_lo, s6
	s_cbranch_execnz .LBB152_13
.LBB152_10:
	s_sendmsg sendmsg(MSG_DEALLOC_VGPRS)
	s_endpgm
.LBB152_11:
                                        ; implicit-def: $vgpr1
	s_cbranch_execnz .LBB152_9
.LBB152_12:
	s_delay_alu instid0(VALU_DEP_1)
	v_mov_b32_e32 v10, v1
	s_and_b32 exec_lo, exec_lo, s6
	s_cbranch_execz .LBB152_10
.LBB152_13:
	s_load_b256 s[4:11], s[0:1], 0x20
	s_wait_kmcnt 0x0
	s_cmp_eq_u64 s[6:7], 0
	global_load_b32 v20, v10, s[4:5] scale_offset
	s_cselect_b32 vcc_lo, -1, 0
	v_ashrrev_i32_e32 v11, 31, v10
	s_cmp_eq_u32 s3, 1
	s_delay_alu instid0(VALU_DEP_1) | instskip(SKIP_1) | instid1(VALU_DEP_2)
	v_lshlrev_b64_e32 v[4:5], 2, v[10:11]
	v_and_b32_e32 v11, 15, v0
	v_add_nc_u64_e32 v[6:7], s[4:5], v[4:5]
	v_add_nc_u64_e32 v[4:5], s[6:7], v[4:5]
	s_wait_xcnt 0x0
	s_load_b64 s[4:5], s[0:1], 0x40
	s_delay_alu instid0(VALU_DEP_2) | instskip(NEXT) | instid1(VALU_DEP_1)
	v_add_nc_u64_e32 v[6:7], 4, v[6:7]
	v_dual_cndmask_b32 v5, v5, v7 :: v_dual_cndmask_b32 v4, v4, v6
	global_load_b32 v4, v[4:5], off
	s_wait_loadcnt 0x1
	v_subrev_nc_u32_e32 v0, s12, v20
	s_delay_alu instid0(VALU_DEP_1) | instskip(NEXT) | instid1(VALU_DEP_1)
	v_add_nc_u32_e32 v14, v0, v11
	v_ashrrev_i32_e32 v15, 31, v14
	s_delay_alu instid0(VALU_DEP_1) | instskip(NEXT) | instid1(VALU_DEP_1)
	v_lshlrev_b64_e32 v[0:1], 6, v[14:15]
	v_add_nc_u64_e32 v[16:17], s[10:11], v[0:1]
	s_wait_loadcnt 0x0
	v_subrev_nc_u32_e32 v15, s12, v4
	s_delay_alu instid0(VALU_DEP_1)
	v_cmp_lt_i32_e64 s2, v14, v15
	s_cbranch_scc1 .LBB152_25
; %bb.14:
	v_mov_b64_e32 v[0:1], 0
	v_mov_b64_e32 v[6:7], 0
	;; [unrolled: 1-line block ×4, first 2 shown]
	s_and_saveexec_b32 s3, s2
	s_cbranch_execz .LBB152_24
; %bb.15:
	v_add_nc_u32_e32 v0, v20, v11
	v_not_b32_e32 v1, v20
	v_mov_b64_e32 v[4:5], 0
	v_mov_b64_e32 v[12:13], 0
	v_mov_b64_e32 v[6:7], 0
	v_subrev_nc_u32_e32 v0, s12, v0
	v_mov_b32_e32 v21, v14
	s_delay_alu instid0(VALU_DEP_2) | instskip(NEXT) | instid1(VALU_DEP_1)
	v_add_max_i32_e64 v0, v0, 16, v15
	v_add3_u32 v0, s12, v0, v1
	s_delay_alu instid0(VALU_DEP_1) | instskip(SKIP_1) | instid1(VALU_DEP_2)
	v_sub_nc_u32_e32 v22, v0, v11
	v_mov_b64_e32 v[0:1], 0
	v_and_b32_e32 v18, 48, v22
	s_delay_alu instid0(VALU_DEP_1)
	v_cmp_ne_u32_e32 vcc_lo, 48, v18
	v_mov_b64_e32 v[18:19], v[16:17]
	s_and_saveexec_b32 s6, vcc_lo
	s_cbranch_execz .LBB152_19
; %bb.16:
	v_lshrrev_b32_e32 v0, 4, v22
	v_mov_b64_e32 v[18:19], v[16:17]
	v_mov_b64_e32 v[6:7], 0
	;; [unrolled: 1-line block ×3, first 2 shown]
	s_mov_b32 s7, 0
	v_add_nc_u32_e32 v4, 1, v0
	v_mov_b64_e32 v[0:1], 0
	s_delay_alu instid0(VALU_DEP_2) | instskip(SKIP_1) | instid1(VALU_DEP_2)
	v_and_b32_e32 v21, 3, v4
	v_mov_b64_e32 v[4:5], 0
	v_dual_sub_nc_u32 v23, 0, v21 :: v_dual_mov_b32 v21, v14
.LBB152_17:                             ; =>This Inner Loop Header: Depth=1
	global_load_b32 v40, v21, s[8:9] scale_offset
	s_clause 0x3
	global_load_b128 v[24:27], v[18:19], off
	global_load_b128 v[28:31], v[18:19], off offset:16
	global_load_b128 v[32:35], v[18:19], off offset:32
	global_load_b128 v[36:39], v[18:19], off offset:48
	s_wait_xcnt 0x0
	v_add_nc_u64_e32 v[18:19], 0x400, v[18:19]
	v_add_co_u32 v23, s10, v23, 1
	s_or_b32 s7, s10, s7
	v_add_nc_u32_e32 v21, 16, v21
	s_wait_loadcnt 0x4
	v_subrev_nc_u32_e32 v40, s12, v40
	s_wait_loadcnt 0x2
	v_cvt_f64_f32_e32 v[50:51], v28
	s_wait_loadcnt 0x1
	v_cvt_f64_f32_e32 v[52:53], v32
	;; [unrolled: 2-line block ×3, first 2 shown]
	v_lshlrev_b32_e32 v40, 2, v40
	v_cvt_f64_f32_e32 v[28:29], v29
	v_cvt_f64_f32_e32 v[32:33], v33
	;; [unrolled: 1-line block ×3, first 2 shown]
	s_delay_alu instid0(VALU_DEP_4) | instskip(SKIP_1) | instid1(VALU_DEP_1)
	v_ashrrev_i32_e32 v41, 31, v40
	s_wait_kmcnt 0x0
	v_lshl_add_u64 v[48:49], v[40:41], 3, s[4:5]
	s_clause 0x1
	global_load_b128 v[40:43], v[48:49], off
	global_load_b128 v[44:47], v[48:49], off offset:16
	s_wait_xcnt 0x0
	v_cvt_f64_f32_e32 v[48:49], v24
	v_cvt_f64_f32_e32 v[24:25], v25
	s_wait_loadcnt 0x1
	s_delay_alu instid0(VALU_DEP_2)
	v_fmac_f64_e32 v[4:5], v[48:49], v[40:41]
	v_fmac_f64_e32 v[12:13], v[50:51], v[40:41]
	;; [unrolled: 1-line block ×4, first 2 shown]
	v_cvt_f64_f32_e32 v[40:41], v26
	v_cvt_f64_f32_e32 v[48:49], v30
	;; [unrolled: 1-line block ×4, first 2 shown]
	v_fmac_f64_e32 v[4:5], v[24:25], v[42:43]
	v_fmac_f64_e32 v[12:13], v[28:29], v[42:43]
	;; [unrolled: 1-line block ×4, first 2 shown]
	v_cvt_f64_f32_e32 v[24:25], v27
	v_cvt_f64_f32_e32 v[26:27], v31
	;; [unrolled: 1-line block ×4, first 2 shown]
	s_wait_loadcnt 0x0
	v_fmac_f64_e32 v[4:5], v[40:41], v[44:45]
	v_fmac_f64_e32 v[12:13], v[48:49], v[44:45]
	v_fmac_f64_e32 v[6:7], v[50:51], v[44:45]
	v_fmac_f64_e32 v[0:1], v[52:53], v[44:45]
	s_delay_alu instid0(VALU_DEP_4) | instskip(NEXT) | instid1(VALU_DEP_4)
	v_fmac_f64_e32 v[4:5], v[24:25], v[46:47]
	v_fmac_f64_e32 v[12:13], v[26:27], v[46:47]
	s_delay_alu instid0(VALU_DEP_4) | instskip(NEXT) | instid1(VALU_DEP_4)
	v_fmac_f64_e32 v[6:7], v[28:29], v[46:47]
	v_fmac_f64_e32 v[0:1], v[30:31], v[46:47]
	s_and_not1_b32 exec_lo, exec_lo, s7
	s_cbranch_execnz .LBB152_17
; %bb.18:
	s_or_b32 exec_lo, exec_lo, s7
.LBB152_19:
	s_delay_alu instid0(SALU_CYCLE_1) | instskip(NEXT) | instid1(SALU_CYCLE_1)
	s_or_b32 exec_lo, exec_lo, s6
	s_mov_b32 s6, exec_lo
	v_cmpx_lt_u32_e32 47, v22
	s_cbranch_execz .LBB152_23
; %bb.20:
	s_mov_b32 s7, 0
.LBB152_21:                             ; =>This Inner Loop Header: Depth=1
	s_clause 0x1
	global_load_b32 v38, v21, s[8:9] scale_offset
	global_load_b32 v64, v21, s[8:9] offset:64 scale_offset
	s_clause 0x3
	global_load_b128 v[22:25], v[18:19], off
	global_load_b128 v[26:29], v[18:19], off offset:16
	global_load_b128 v[30:33], v[18:19], off offset:48
	global_load_b128 v[34:37], v[18:19], off offset:32
	s_clause 0x1
	global_load_b32 v98, v21, s[8:9] offset:128 scale_offset
	global_load_b32 v102, v21, s[8:9] offset:192 scale_offset
	s_wait_xcnt 0x0
	v_add_nc_u32_e32 v21, 64, v21
	s_delay_alu instid0(VALU_DEP_1)
	v_cmp_ge_i32_e32 vcc_lo, v21, v15
	s_or_b32 s7, vcc_lo, s7
	s_wait_loadcnt 0x7
	v_subrev_nc_u32_e32 v38, s12, v38
	s_wait_loadcnt 0x4
	v_cvt_f64_f32_e32 v[92:93], v26
	s_wait_loadcnt 0x3
	v_cvt_f64_f32_e32 v[96:97], v30
	v_lshlrev_b32_e32 v38, 2, v38
	s_wait_loadcnt 0x1
	v_subrev_nc_u32_e32 v26, s12, v98
	v_cvt_f64_f32_e32 v[94:95], v34
	v_cvt_f64_f32_e32 v[100:101], v33
	v_ashrrev_i32_e32 v39, 31, v38
	s_wait_kmcnt 0x0
	s_delay_alu instid0(VALU_DEP_1)
	v_lshl_add_u64 v[62:63], v[38:39], 3, s[4:5]
	s_clause 0x1
	global_load_b128 v[38:41], v[62:63], off
	global_load_b128 v[42:45], v[62:63], off offset:16
	s_clause 0x3
	global_load_b128 v[46:49], v[18:19], off offset:1024
	global_load_b128 v[50:53], v[18:19], off offset:1040
	;; [unrolled: 1-line block ×4, first 2 shown]
	s_wait_xcnt 0x4
	v_subrev_nc_u32_e32 v62, s12, v64
	s_delay_alu instid0(VALU_DEP_1) | instskip(NEXT) | instid1(VALU_DEP_1)
	v_lshlrev_b32_e32 v62, 2, v62
	v_ashrrev_i32_e32 v63, 31, v62
	s_delay_alu instid0(VALU_DEP_1)
	v_lshl_add_u64 v[90:91], v[62:63], 3, s[4:5]
	global_load_b128 v[62:65], v[90:91], off
	s_clause 0x4
	global_load_b128 v[66:69], v[18:19], off offset:2096
	global_load_b128 v[70:73], v[18:19], off offset:2080
	;; [unrolled: 1-line block ×6, first 2 shown]
	s_wait_xcnt 0x0
	v_cvt_f64_f32_e32 v[90:91], v22
	v_cvt_f64_f32_e32 v[22:23], v23
	s_wait_loadcnt 0xc
	s_delay_alu instid0(VALU_DEP_2)
	v_fmac_f64_e32 v[4:5], v[90:91], v[38:39]
	v_lshlrev_b32_e32 v90, 2, v26
	v_fmac_f64_e32 v[12:13], v[92:93], v[38:39]
	v_cvt_f64_f32_e32 v[26:27], v27
	v_fmac_f64_e32 v[6:7], v[94:95], v[38:39]
	v_fmac_f64_e32 v[0:1], v[96:97], v[38:39]
	v_ashrrev_i32_e32 v91, 31, v90
	v_cvt_f64_f32_e32 v[96:97], v36
	v_cvt_f64_f32_e32 v[94:95], v29
	s_delay_alu instid0(VALU_DEP_3)
	v_lshl_add_u64 v[98:99], v[90:91], 3, s[4:5]
	global_load_b128 v[90:93], v[98:99], off
	v_fmac_f64_e32 v[4:5], v[22:23], v[40:41]
	v_cvt_f64_f32_e32 v[22:23], v35
	v_cvt_f64_f32_e32 v[34:35], v25
	v_fmac_f64_e32 v[12:13], v[26:27], v[40:41]
	v_cvt_f64_f32_e32 v[26:27], v31
	v_cvt_f64_f32_e32 v[30:31], v28
	v_fmac_f64_e32 v[6:7], v[22:23], v[40:41]
	s_delay_alu instid0(VALU_DEP_3)
	v_fmac_f64_e32 v[0:1], v[26:27], v[40:41]
	v_cvt_f64_f32_e32 v[26:27], v24
	global_load_b128 v[22:25], v[98:99], off offset:16
	global_load_b128 v[38:41], v[18:19], off offset:3072
	s_wait_xcnt 0x1
	v_cvt_f64_f32_e32 v[98:99], v37
	v_cvt_f64_f32_e32 v[36:37], v32
	s_wait_loadcnt 0xe
	v_fmac_f64_e32 v[12:13], v[30:31], v[42:43]
	global_load_b128 v[30:33], v[18:19], off offset:3120
	v_fmac_f64_e32 v[6:7], v[96:97], v[42:43]
	v_subrev_nc_u32_e32 v96, s12, v102
	v_fmac_f64_e32 v[4:5], v[26:27], v[42:43]
	global_load_b128 v[26:29], v[18:19], off offset:3104
	v_lshlrev_b32_e32 v96, 2, v96
	s_wait_xcnt 0x0
	v_add_nc_u64_e32 v[18:19], 0x1000, v[18:19]
	v_fmac_f64_e32 v[0:1], v[36:37], v[42:43]
	v_fmac_f64_e32 v[12:13], v[94:95], v[44:45]
	s_wait_loadcnt 0xf
	v_cvt_f64_f32_e32 v[42:43], v46
	v_ashrrev_i32_e32 v97, 31, v96
	s_wait_loadcnt 0xe
	v_cvt_f64_f32_e32 v[94:95], v50
	v_cvt_f64_f32_e32 v[46:47], v47
	;; [unrolled: 1-line block ×3, first 2 shown]
	v_lshl_add_u64 v[96:97], v[96:97], 3, s[4:5]
	v_fmac_f64_e32 v[6:7], v[98:99], v[44:45]
	s_wait_loadcnt 0xc
	v_cvt_f64_f32_e32 v[98:99], v58
	v_cvt_f64_f32_e32 v[58:59], v59
	v_fmac_f64_e32 v[4:5], v[34:35], v[44:45]
	global_load_b128 v[34:37], v[96:97], off
	v_fmac_f64_e32 v[0:1], v[100:101], v[44:45]
	v_cvt_f64_f32_e32 v[44:45], v54
	v_cvt_f64_f32_e32 v[54:55], v55
	s_wait_loadcnt 0xc
	v_fmac_f64_e32 v[12:13], v[94:95], v[62:63]
	v_fmac_f64_e32 v[4:5], v[42:43], v[62:63]
	;; [unrolled: 1-line block ×4, first 2 shown]
	global_load_b128 v[42:45], v[96:97], off offset:16
	v_fmac_f64_e32 v[12:13], v[50:51], v[64:65]
	v_cvt_f64_f32_e32 v[50:51], v52
	v_cvt_f64_f32_e32 v[52:53], v53
	v_fmac_f64_e32 v[4:5], v[46:47], v[64:65]
	v_cvt_f64_f32_e32 v[46:47], v48
	v_cvt_f64_f32_e32 v[48:49], v49
	v_fmac_f64_e32 v[0:1], v[58:59], v[64:65]
	v_fmac_f64_e32 v[6:7], v[54:55], v[64:65]
	v_cvt_f64_f32_e32 v[54:55], v56
	v_cvt_f64_f32_e32 v[58:59], v60
	;; [unrolled: 1-line block ×4, first 2 shown]
	s_wait_loadcnt 0x7
	v_fmac_f64_e32 v[12:13], v[50:51], v[86:87]
	v_cvt_f64_f32_e32 v[50:51], v74
	v_fmac_f64_e32 v[4:5], v[46:47], v[86:87]
	v_cvt_f64_f32_e32 v[46:47], v78
	v_fmac_f64_e32 v[6:7], v[54:55], v[86:87]
	v_fmac_f64_e32 v[0:1], v[58:59], v[86:87]
	v_cvt_f64_f32_e32 v[54:55], v70
	v_cvt_f64_f32_e32 v[58:59], v66
	v_fmac_f64_e32 v[12:13], v[52:53], v[88:89]
	v_cvt_f64_f32_e32 v[52:53], v75
	v_fmac_f64_e32 v[4:5], v[48:49], v[88:89]
	;; [unrolled: 2-line block ×3, first 2 shown]
	v_fmac_f64_e32 v[0:1], v[60:61], v[88:89]
	v_cvt_f64_f32_e32 v[56:57], v71
	v_cvt_f64_f32_e32 v[60:61], v67
	s_wait_loadcnt 0x6
	v_fmac_f64_e32 v[4:5], v[46:47], v[90:91]
	v_fmac_f64_e32 v[12:13], v[50:51], v[90:91]
	;; [unrolled: 1-line block ×4, first 2 shown]
	v_cvt_f64_f32_e32 v[46:47], v80
	v_cvt_f64_f32_e32 v[50:51], v76
	;; [unrolled: 1-line block ×4, first 2 shown]
	v_fmac_f64_e32 v[4:5], v[48:49], v[92:93]
	v_fmac_f64_e32 v[12:13], v[52:53], v[92:93]
	;; [unrolled: 1-line block ×4, first 2 shown]
	v_cvt_f64_f32_e32 v[48:49], v81
	v_cvt_f64_f32_e32 v[52:53], v77
	;; [unrolled: 1-line block ×4, first 2 shown]
	s_wait_loadcnt 0x5
	v_fmac_f64_e32 v[4:5], v[46:47], v[22:23]
	v_fmac_f64_e32 v[12:13], v[50:51], v[22:23]
	;; [unrolled: 1-line block ×4, first 2 shown]
	s_wait_loadcnt 0x4
	v_cvt_f64_f32_e32 v[22:23], v38
	v_cvt_f64_f32_e32 v[46:47], v82
	s_wait_loadcnt 0x3
	v_cvt_f64_f32_e32 v[54:55], v30
	v_cvt_f64_f32_e32 v[30:31], v31
	;; [unrolled: 3-line block ×3, first 2 shown]
	v_fmac_f64_e32 v[4:5], v[48:49], v[24:25]
	v_fmac_f64_e32 v[12:13], v[52:53], v[24:25]
	;; [unrolled: 1-line block ×4, first 2 shown]
	v_cvt_f64_f32_e32 v[24:25], v39
	v_cvt_f64_f32_e32 v[38:39], v83
	;; [unrolled: 1-line block ×3, first 2 shown]
	s_wait_loadcnt 0x1
	v_fmac_f64_e32 v[4:5], v[22:23], v[34:35]
	v_fmac_f64_e32 v[12:13], v[46:47], v[34:35]
	;; [unrolled: 1-line block ×4, first 2 shown]
	v_cvt_f64_f32_e32 v[22:23], v40
	v_cvt_f64_f32_e32 v[34:35], v84
	;; [unrolled: 1-line block ×4, first 2 shown]
	v_fmac_f64_e32 v[4:5], v[24:25], v[36:37]
	v_fmac_f64_e32 v[12:13], v[38:39], v[36:37]
	;; [unrolled: 1-line block ×4, first 2 shown]
	v_cvt_f64_f32_e32 v[24:25], v41
	v_cvt_f64_f32_e32 v[26:27], v85
	;; [unrolled: 1-line block ×3, first 2 shown]
	s_wait_loadcnt 0x0
	v_fmac_f64_e32 v[4:5], v[22:23], v[42:43]
	v_fmac_f64_e32 v[12:13], v[34:35], v[42:43]
	;; [unrolled: 1-line block ×4, first 2 shown]
	s_delay_alu instid0(VALU_DEP_4) | instskip(NEXT) | instid1(VALU_DEP_4)
	v_fmac_f64_e32 v[4:5], v[24:25], v[44:45]
	v_fmac_f64_e32 v[12:13], v[26:27], v[44:45]
	s_delay_alu instid0(VALU_DEP_4) | instskip(NEXT) | instid1(VALU_DEP_4)
	v_fmac_f64_e32 v[6:7], v[28:29], v[44:45]
	v_fmac_f64_e32 v[0:1], v[30:31], v[44:45]
	s_and_not1_b32 exec_lo, exec_lo, s7
	s_cbranch_execnz .LBB152_21
; %bb.22:
	s_or_b32 exec_lo, exec_lo, s7
.LBB152_23:
	s_delay_alu instid0(SALU_CYCLE_1)
	s_or_b32 exec_lo, exec_lo, s6
.LBB152_24:
	s_delay_alu instid0(SALU_CYCLE_1)
	s_or_b32 exec_lo, exec_lo, s3
	s_cbranch_execz .LBB152_26
	s_branch .LBB152_37
.LBB152_25:
                                        ; implicit-def: $vgpr0_vgpr1
                                        ; implicit-def: $vgpr6_vgpr7
                                        ; implicit-def: $vgpr12_vgpr13
                                        ; implicit-def: $vgpr4_vgpr5
.LBB152_26:
	v_mov_b64_e32 v[0:1], 0
	v_mov_b64_e32 v[6:7], 0
	;; [unrolled: 1-line block ×4, first 2 shown]
	s_and_saveexec_b32 s3, s2
	s_cbranch_execz .LBB152_36
; %bb.27:
	v_add_nc_u32_e32 v0, v20, v11
	v_not_b32_e32 v1, v20
	v_mov_b64_e32 v[4:5], 0
	v_mov_b64_e32 v[12:13], 0
	;; [unrolled: 1-line block ×3, first 2 shown]
	v_subrev_nc_u32_e32 v0, s12, v0
	s_mov_b32 s2, exec_lo
	s_delay_alu instid0(VALU_DEP_1) | instskip(NEXT) | instid1(VALU_DEP_1)
	v_add_max_i32_e64 v0, v0, 16, v15
	v_add3_u32 v0, s12, v0, v1
	s_delay_alu instid0(VALU_DEP_1) | instskip(SKIP_1) | instid1(VALU_DEP_2)
	v_sub_nc_u32_e32 v18, v0, v11
	v_mov_b64_e32 v[0:1], 0
	v_and_b32_e32 v19, 48, v18
	s_delay_alu instid0(VALU_DEP_1)
	v_cmpx_ne_u32_e32 48, v19
	s_cbranch_execz .LBB152_31
; %bb.28:
	v_lshrrev_b32_e32 v0, 4, v18
	v_mov_b64_e32 v[6:7], 0
	v_mov_b64_e32 v[12:13], 0
	;; [unrolled: 1-line block ×3, first 2 shown]
	s_mov_b32 s6, 0
	v_add_nc_u32_e32 v0, 1, v0
	s_delay_alu instid0(VALU_DEP_1) | instskip(SKIP_1) | instid1(VALU_DEP_2)
	v_and_b32_e32 v19, 3, v0
	v_mov_b64_e32 v[0:1], 0
	v_sub_nc_u32_e32 v19, 0, v19
.LBB152_29:                             ; =>This Inner Loop Header: Depth=1
	global_load_b32 v28, v14, s[8:9] scale_offset
	s_clause 0x1
	global_load_b128 v[20:23], v[16:17], off
	global_load_b128 v[24:27], v[16:17], off offset:16
	v_add_co_u32 v19, s7, v19, 1
	s_or_b32 s6, s7, s6
	s_wait_xcnt 0x2
	v_add_nc_u32_e32 v14, 16, v14
	s_wait_loadcnt 0x2
	v_subrev_nc_u32_e32 v28, s12, v28
	s_wait_loadcnt 0x1
	v_cvt_f64_f32_e32 v[46:47], v22
	v_cvt_f64_f32_e32 v[22:23], v23
	s_wait_loadcnt 0x0
	v_cvt_f64_f32_e32 v[48:49], v24
	v_cvt_f64_f32_e32 v[24:25], v25
	v_lshlrev_b32_e32 v28, 2, v28
	v_cvt_f64_f32_e32 v[50:51], v26
	v_cvt_f64_f32_e32 v[26:27], v27
	s_delay_alu instid0(VALU_DEP_3) | instskip(SKIP_1) | instid1(VALU_DEP_1)
	v_ashrrev_i32_e32 v29, 31, v28
	s_wait_kmcnt 0x0
	v_lshl_add_u64 v[44:45], v[28:29], 3, s[4:5]
	s_clause 0x1
	global_load_b128 v[28:31], v[44:45], off
	global_load_b128 v[32:35], v[44:45], off offset:16
	s_clause 0x1
	global_load_b128 v[36:39], v[16:17], off offset:32
	global_load_b128 v[40:43], v[16:17], off offset:48
	s_wait_xcnt 0x2
	v_cvt_f64_f32_e32 v[44:45], v20
	v_cvt_f64_f32_e32 v[20:21], v21
	s_wait_xcnt 0x0
	v_add_nc_u64_e32 v[16:17], 0x400, v[16:17]
	s_wait_loadcnt 0x3
	s_delay_alu instid0(VALU_DEP_3) | instskip(NEXT) | instid1(VALU_DEP_3)
	v_fmac_f64_e32 v[4:5], v[44:45], v[28:29]
	v_fmac_f64_e32 v[12:13], v[20:21], v[28:29]
	v_fmac_f64_e32 v[6:7], v[46:47], v[28:29]
	v_fmac_f64_e32 v[0:1], v[22:23], v[28:29]
	s_wait_loadcnt 0x1
	v_cvt_f64_f32_e32 v[20:21], v36
	v_cvt_f64_f32_e32 v[22:23], v37
	;; [unrolled: 1-line block ×4, first 2 shown]
	s_wait_loadcnt 0x0
	v_cvt_f64_f32_e32 v[38:39], v43
	v_fmac_f64_e32 v[4:5], v[48:49], v[30:31]
	v_fmac_f64_e32 v[12:13], v[24:25], v[30:31]
	;; [unrolled: 1-line block ×4, first 2 shown]
	v_cvt_f64_f32_e32 v[24:25], v40
	v_cvt_f64_f32_e32 v[26:27], v41
	;; [unrolled: 1-line block ×3, first 2 shown]
	v_fmac_f64_e32 v[4:5], v[20:21], v[32:33]
	v_fmac_f64_e32 v[12:13], v[22:23], v[32:33]
	;; [unrolled: 1-line block ×4, first 2 shown]
	s_delay_alu instid0(VALU_DEP_4) | instskip(NEXT) | instid1(VALU_DEP_4)
	v_fmac_f64_e32 v[4:5], v[24:25], v[34:35]
	v_fmac_f64_e32 v[12:13], v[26:27], v[34:35]
	s_delay_alu instid0(VALU_DEP_4) | instskip(NEXT) | instid1(VALU_DEP_4)
	v_fmac_f64_e32 v[6:7], v[30:31], v[34:35]
	v_fmac_f64_e32 v[0:1], v[38:39], v[34:35]
	s_and_not1_b32 exec_lo, exec_lo, s6
	s_cbranch_execnz .LBB152_29
; %bb.30:
	s_or_b32 exec_lo, exec_lo, s6
.LBB152_31:
	s_delay_alu instid0(SALU_CYCLE_1) | instskip(NEXT) | instid1(SALU_CYCLE_1)
	s_or_b32 exec_lo, exec_lo, s2
	s_mov_b32 s2, exec_lo
	v_cmpx_lt_u32_e32 47, v18
	s_cbranch_execz .LBB152_35
; %bb.32:
	s_mov_b32 s6, 0
.LBB152_33:                             ; =>This Inner Loop Header: Depth=1
	s_clause 0x6
	global_load_b128 v[18:21], v[16:17], off
	global_load_b128 v[22:25], v[16:17], off offset:16
	global_load_b128 v[26:29], v[16:17], off offset:32
	;; [unrolled: 1-line block ×6, first 2 shown]
	global_load_b32 v106, v14, s[8:9] scale_offset
	global_load_b128 v[46:49], v[16:17], off offset:1072
	s_wait_loadcnt 0x8
	v_cvt_f64_f32_e32 v[50:51], v18
	v_cvt_f64_f32_e32 v[52:53], v19
	s_wait_loadcnt 0x6
	v_cvt_f64_f32_e32 v[66:67], v26
	v_cvt_f64_f32_e32 v[68:69], v27
	;; [unrolled: 1-line block ×5, first 2 shown]
	s_wait_loadcnt 0x1
	v_subrev_nc_u32_e32 v18, s12, v106
	v_cvt_f64_f32_e32 v[60:61], v23
	v_cvt_f64_f32_e32 v[62:63], v24
	;; [unrolled: 1-line block ×4, first 2 shown]
	v_lshlrev_b32_e32 v18, 2, v18
	v_cvt_f64_f32_e32 v[90:91], v38
	s_clause 0x2
	global_load_b32 v28, v14, s[8:9] offset:64 scale_offset
	global_load_b32 v38, v14, s[8:9] offset:128 scale_offset
	;; [unrolled: 1-line block ×3, first 2 shown]
	v_cvt_f64_f32_e32 v[82:83], v34
	v_cvt_f64_f32_e32 v[84:85], v35
	v_ashrrev_i32_e32 v19, 31, v18
	v_cvt_f64_f32_e32 v[72:73], v29
	v_cvt_f64_f32_e32 v[74:75], v30
	;; [unrolled: 1-line block ×4, first 2 shown]
	s_wait_kmcnt 0x0
	v_lshl_add_u64 v[26:27], v[18:19], 3, s[4:5]
	v_cvt_f64_f32_e32 v[80:81], v33
	v_cvt_f64_f32_e32 v[92:93], v39
	;; [unrolled: 1-line block ×4, first 2 shown]
	s_clause 0x1
	global_load_b128 v[18:21], v[26:27], off
	global_load_b128 v[22:25], v[26:27], off offset:16
	v_cvt_f64_f32_e32 v[86:87], v36
	v_cvt_f64_f32_e32 v[88:89], v37
	;; [unrolled: 1-line block ×6, first 2 shown]
	s_wait_xcnt 0x2
	v_add_nc_u32_e32 v14, 64, v14
	s_delay_alu instid0(VALU_DEP_1) | instskip(SKIP_3) | instid1(VALU_DEP_1)
	v_cmp_ge_i32_e32 vcc_lo, v14, v15
	s_or_b32 s6, vcc_lo, s6
	s_wait_loadcnt 0x3
	v_subrev_nc_u32_e32 v38, s12, v38
	v_lshlrev_b32_e32 v38, 2, v38
	s_delay_alu instid0(VALU_DEP_1)
	v_ashrrev_i32_e32 v39, 31, v38
	s_wait_loadcnt 0x1
	v_fmac_f64_e32 v[4:5], v[50:51], v[18:19]
	v_fmac_f64_e32 v[12:13], v[52:53], v[18:19]
	;; [unrolled: 1-line block ×4, first 2 shown]
	v_subrev_nc_u32_e32 v18, s12, v28
	v_lshl_add_u64 v[42:43], v[38:39], 3, s[4:5]
	s_delay_alu instid0(VALU_DEP_2) | instskip(NEXT) | instid1(VALU_DEP_1)
	v_lshlrev_b32_e32 v18, 2, v18
	v_ashrrev_i32_e32 v19, 31, v18
	s_delay_alu instid0(VALU_DEP_1)
	v_lshl_add_u64 v[34:35], v[18:19], 3, s[4:5]
	global_load_b128 v[26:29], v[34:35], off
	v_fmac_f64_e32 v[4:5], v[58:59], v[20:21]
	v_fmac_f64_e32 v[12:13], v[60:61], v[20:21]
	;; [unrolled: 1-line block ×4, first 2 shown]
	global_load_b128 v[18:21], v[34:35], off offset:16
	s_clause 0x2
	global_load_b128 v[30:33], v[16:17], off offset:2048
	global_load_b128 v[34:37], v[16:17], off offset:2064
	global_load_b128 v[50:53], v[16:17], off offset:2080
	global_load_b128 v[38:41], v[42:43], off
	v_cvt_f64_f32_e32 v[62:63], v46
	s_clause 0x1
	global_load_b128 v[54:57], v[16:17], off offset:3088
	global_load_b128 v[58:61], v[16:17], off offset:3120
	s_wait_loadcnt 0x8
	v_fmac_f64_e32 v[4:5], v[66:67], v[22:23]
	v_fmac_f64_e32 v[12:13], v[68:69], v[22:23]
	;; [unrolled: 1-line block ×4, first 2 shown]
	v_cvt_f64_f32_e32 v[66:67], v47
	v_cvt_f64_f32_e32 v[68:69], v48
	;; [unrolled: 1-line block ×3, first 2 shown]
	global_load_b128 v[46:49], v[16:17], off offset:3072
	v_fmac_f64_e32 v[4:5], v[74:75], v[24:25]
	v_fmac_f64_e32 v[12:13], v[76:77], v[24:25]
	;; [unrolled: 1-line block ×4, first 2 shown]
	global_load_b128 v[22:25], v[16:17], off offset:2096
	s_wait_loadcnt 0x9
	v_fmac_f64_e32 v[4:5], v[82:83], v[26:27]
	v_fmac_f64_e32 v[12:13], v[84:85], v[26:27]
	;; [unrolled: 1-line block ×4, first 2 shown]
	v_subrev_nc_u32_e32 v26, s12, v107
	s_delay_alu instid0(VALU_DEP_1) | instskip(SKIP_3) | instid1(VALU_DEP_3)
	v_lshlrev_b32_e32 v26, 2, v26
	s_wait_loadcnt 0x7
	v_cvt_f64_f32_e32 v[72:73], v30
	v_cvt_f64_f32_e32 v[74:75], v31
	v_ashrrev_i32_e32 v27, 31, v26
	v_cvt_f64_f32_e32 v[76:77], v32
	v_cvt_f64_f32_e32 v[78:79], v33
	global_load_b128 v[30:33], v[16:17], off offset:3104
	s_wait_xcnt 0x0
	v_add_nc_u64_e32 v[16:17], 0x1000, v[16:17]
	v_lshl_add_u64 v[64:65], v[26:27], 3, s[4:5]
	v_fmac_f64_e32 v[4:5], v[90:91], v[28:29]
	v_fmac_f64_e32 v[12:13], v[92:93], v[28:29]
	;; [unrolled: 1-line block ×4, first 2 shown]
	s_clause 0x1
	global_load_b128 v[26:29], v[64:65], off
	global_load_b128 v[42:45], v[42:43], off offset:16
	v_fmac_f64_e32 v[4:5], v[98:99], v[18:19]
	v_fmac_f64_e32 v[12:13], v[100:101], v[18:19]
	;; [unrolled: 1-line block ×4, first 2 shown]
	s_wait_loadcnt 0x9
	v_cvt_f64_f32_e32 v[18:19], v34
	v_fmac_f64_e32 v[4:5], v[62:63], v[20:21]
	global_load_b128 v[62:65], v[64:65], off offset:16
	v_fmac_f64_e32 v[12:13], v[66:67], v[20:21]
	v_fmac_f64_e32 v[6:7], v[68:69], v[20:21]
	;; [unrolled: 1-line block ×3, first 2 shown]
	v_cvt_f64_f32_e32 v[20:21], v35
	v_cvt_f64_f32_e32 v[34:35], v36
	;; [unrolled: 1-line block ×3, first 2 shown]
	s_wait_loadcnt 0x9
	v_cvt_f64_f32_e32 v[66:67], v52
	v_cvt_f64_f32_e32 v[52:53], v53
	s_wait_loadcnt 0x8
	v_fmac_f64_e32 v[4:5], v[72:73], v[38:39]
	v_fmac_f64_e32 v[12:13], v[74:75], v[38:39]
	;; [unrolled: 1-line block ×4, first 2 shown]
	v_cvt_f64_f32_e32 v[38:39], v50
	v_cvt_f64_f32_e32 v[50:51], v51
	v_fmac_f64_e32 v[4:5], v[18:19], v[40:41]
	s_wait_loadcnt 0x4
	v_cvt_f64_f32_e32 v[18:19], v22
	v_fmac_f64_e32 v[12:13], v[20:21], v[40:41]
	v_fmac_f64_e32 v[6:7], v[34:35], v[40:41]
	;; [unrolled: 1-line block ×3, first 2 shown]
	v_cvt_f64_f32_e32 v[20:21], v23
	v_cvt_f64_f32_e32 v[22:23], v24
	;; [unrolled: 1-line block ×6, first 2 shown]
	s_wait_loadcnt 0x1
	v_fmac_f64_e32 v[4:5], v[38:39], v[42:43]
	v_fmac_f64_e32 v[12:13], v[50:51], v[42:43]
	;; [unrolled: 1-line block ×4, first 2 shown]
	v_cvt_f64_f32_e32 v[38:39], v48
	v_fmac_f64_e32 v[4:5], v[18:19], v[44:45]
	v_fmac_f64_e32 v[12:13], v[20:21], v[44:45]
	v_fmac_f64_e32 v[6:7], v[22:23], v[44:45]
	v_fmac_f64_e32 v[0:1], v[24:25], v[44:45]
	v_cvt_f64_f32_e32 v[18:19], v54
	v_cvt_f64_f32_e32 v[20:21], v55
	v_cvt_f64_f32_e32 v[22:23], v56
	v_cvt_f64_f32_e32 v[24:25], v57
	v_fmac_f64_e32 v[4:5], v[34:35], v[26:27]
	v_fmac_f64_e32 v[12:13], v[36:37], v[26:27]
	v_fmac_f64_e32 v[6:7], v[38:39], v[26:27]
	v_fmac_f64_e32 v[0:1], v[40:41], v[26:27]
	v_cvt_f64_f32_e32 v[26:27], v30
	v_cvt_f64_f32_e32 v[30:31], v31
	v_cvt_f64_f32_e32 v[34:35], v32
	v_cvt_f64_f32_e32 v[32:33], v33
	v_fmac_f64_e32 v[4:5], v[18:19], v[28:29]
	v_fmac_f64_e32 v[12:13], v[20:21], v[28:29]
	v_fmac_f64_e32 v[6:7], v[22:23], v[28:29]
	v_fmac_f64_e32 v[0:1], v[24:25], v[28:29]
	v_cvt_f64_f32_e32 v[18:19], v58
	v_cvt_f64_f32_e32 v[20:21], v59
	v_cvt_f64_f32_e32 v[22:23], v60
	v_cvt_f64_f32_e32 v[24:25], v61
	s_wait_loadcnt 0x0
	v_fmac_f64_e32 v[4:5], v[26:27], v[62:63]
	v_fmac_f64_e32 v[12:13], v[30:31], v[62:63]
	;; [unrolled: 1-line block ×4, first 2 shown]
	s_delay_alu instid0(VALU_DEP_4) | instskip(NEXT) | instid1(VALU_DEP_4)
	v_fmac_f64_e32 v[4:5], v[18:19], v[64:65]
	v_fmac_f64_e32 v[12:13], v[20:21], v[64:65]
	s_delay_alu instid0(VALU_DEP_4) | instskip(NEXT) | instid1(VALU_DEP_4)
	v_fmac_f64_e32 v[6:7], v[22:23], v[64:65]
	v_fmac_f64_e32 v[0:1], v[24:25], v[64:65]
	s_and_not1_b32 exec_lo, exec_lo, s6
	s_cbranch_execnz .LBB152_33
; %bb.34:
	s_or_b32 exec_lo, exec_lo, s6
.LBB152_35:
	s_delay_alu instid0(SALU_CYCLE_1)
	s_or_b32 exec_lo, exec_lo, s2
.LBB152_36:
	s_delay_alu instid0(SALU_CYCLE_1)
	s_or_b32 exec_lo, exec_lo, s3
.LBB152_37:
	v_mbcnt_lo_u32_b32 v24, -1, 0
	s_delay_alu instid0(VALU_DEP_1) | instskip(NEXT) | instid1(VALU_DEP_1)
	v_xor_b32_e32 v14, 8, v24
	v_cmp_gt_i32_e32 vcc_lo, 32, v14
	v_cndmask_b32_e32 v14, v24, v14, vcc_lo
	s_delay_alu instid0(VALU_DEP_1)
	v_lshlrev_b32_e32 v21, 2, v14
	ds_bpermute_b32 v16, v21, v12
	ds_bpermute_b32 v17, v21, v13
	s_wait_dscnt 0x0
	v_add_f64_e32 v[12:13], v[12:13], v[16:17]
	ds_bpermute_b32 v14, v21, v4
	ds_bpermute_b32 v15, v21, v5
	;; [unrolled: 1-line block ×6, first 2 shown]
	s_wait_dscnt 0x4
	v_dual_add_f64 v[4:5], v[4:5], v[14:15] :: v_dual_bitop2_b32 v14, 4, v24 bitop3:0x14
	s_wait_dscnt 0x2
	v_add_f64_e32 v[6:7], v[6:7], v[18:19]
	s_delay_alu instid0(VALU_DEP_2) | instskip(SKIP_2) | instid1(VALU_DEP_1)
	v_cmp_gt_i32_e32 vcc_lo, 32, v14
	v_cndmask_b32_e32 v14, v24, v14, vcc_lo
	s_wait_dscnt 0x0
	v_dual_add_f64 v[0:1], v[0:1], v[20:21] :: v_dual_lshlrev_b32 v21, 2, v14
	ds_bpermute_b32 v16, v21, v12
	ds_bpermute_b32 v17, v21, v13
	;; [unrolled: 1-line block ×8, first 2 shown]
	s_wait_dscnt 0x4
	v_add_f64_e32 v[4:5], v[4:5], v[14:15]
	v_add_f64_e32 v[14:15], v[12:13], v[16:17]
	s_wait_dscnt 0x2
	v_add_f64_e32 v[16:17], v[6:7], v[18:19]
	s_wait_dscnt 0x0
	v_add_f64_e32 v[18:19], v[0:1], v[20:21]
	v_xor_b32_e32 v0, 2, v24
	s_delay_alu instid0(VALU_DEP_1) | instskip(SKIP_1) | instid1(VALU_DEP_1)
	v_cmp_gt_i32_e32 vcc_lo, 32, v0
	v_cndmask_b32_e32 v0, v24, v0, vcc_lo
	v_lshlrev_b32_e32 v12, 2, v0
	ds_bpermute_b32 v6, v12, v14
	ds_bpermute_b32 v7, v12, v15
	;; [unrolled: 1-line block ×4, first 2 shown]
	s_wait_dscnt 0x2
	v_dual_add_f64 v[6:7], v[14:15], v[6:7] :: v_dual_bitop2_b32 v14, 1, v24 bitop3:0x14
	ds_bpermute_b32 v20, v12, v16
	ds_bpermute_b32 v21, v12, v17
	v_cmp_gt_i32_e32 vcc_lo, 32, v14
	v_cndmask_b32_e32 v14, v24, v14, vcc_lo
	v_cmp_eq_u32_e32 vcc_lo, 15, v11
	s_delay_alu instid0(VALU_DEP_2)
	v_lshlrev_b32_e32 v15, 2, v14
	ds_bpermute_b32 v22, v12, v18
	ds_bpermute_b32 v23, v12, v19
	s_wait_dscnt 0x4
	v_add_f64_e32 v[12:13], v[4:5], v[0:1]
	s_wait_dscnt 0x2
	v_add_f64_e32 v[0:1], v[16:17], v[20:21]
	;; [unrolled: 2-line block ×3, first 2 shown]
	ds_bpermute_b32 v18, v15, v6
	ds_bpermute_b32 v19, v15, v7
	;; [unrolled: 1-line block ×8, first 2 shown]
	s_and_b32 exec_lo, exec_lo, vcc_lo
	s_cbranch_execz .LBB152_10
; %bb.38:
	s_wait_dscnt 0x4
	v_dual_add_f64 v[12:13], v[12:13], v[20:21] :: v_dual_lshlrev_b32 v10, 2, v10
	v_add_f64_e32 v[6:7], v[6:7], v[18:19]
	s_wait_dscnt 0x2
	v_add_f64_e32 v[0:1], v[0:1], v[16:17]
	s_wait_dscnt 0x0
	v_add_f64_e32 v[14:15], v[4:5], v[14:15]
	s_load_b64 s[0:1], s[0:1], 0x50
	s_mov_b32 s2, exec_lo
	s_delay_alu instid0(VALU_DEP_4) | instskip(NEXT) | instid1(VALU_DEP_4)
	v_mul_f64_e32 v[4:5], v[2:3], v[12:13]
	v_mul_f64_e32 v[6:7], v[2:3], v[6:7]
	s_delay_alu instid0(VALU_DEP_4) | instskip(NEXT) | instid1(VALU_DEP_4)
	v_mul_f64_e32 v[0:1], v[2:3], v[0:1]
	v_mul_f64_e32 v[2:3], v[2:3], v[14:15]
	v_cmpx_eq_f64_e32 0, v[8:9]
	s_xor_b32 s2, exec_lo, s2
	s_cbranch_execz .LBB152_40
; %bb.39:
	v_ashrrev_i32_e32 v11, 31, v10
	s_wait_kmcnt 0x0
	s_delay_alu instid0(VALU_DEP_1)
	v_lshl_add_u64 v[8:9], v[10:11], 3, s[0:1]
                                        ; implicit-def: $vgpr10
	s_clause 0x1
	global_store_b128 v[8:9], v[4:7], off
	global_store_b128 v[8:9], v[0:3], off offset:16
                                        ; implicit-def: $vgpr8_vgpr9
                                        ; implicit-def: $vgpr4_vgpr5
                                        ; implicit-def: $vgpr0_vgpr1
.LBB152_40:
	s_wait_xcnt 0x0
	s_and_not1_saveexec_b32 s2, s2
	s_cbranch_execz .LBB152_10
; %bb.41:
	v_ashrrev_i32_e32 v11, 31, v10
	s_wait_kmcnt 0x0
	s_delay_alu instid0(VALU_DEP_1)
	v_lshl_add_u64 v[18:19], v[10:11], 3, s[0:1]
	s_clause 0x1
	global_load_b128 v[10:13], v[18:19], off
	global_load_b128 v[14:17], v[18:19], off offset:16
	s_wait_loadcnt 0x1
	v_fmac_f64_e32 v[4:5], v[8:9], v[10:11]
	v_fmac_f64_e32 v[6:7], v[8:9], v[12:13]
	s_wait_loadcnt 0x0
	v_fmac_f64_e32 v[0:1], v[8:9], v[14:15]
	v_fmac_f64_e32 v[2:3], v[8:9], v[16:17]
	s_clause 0x1
	global_store_b128 v[18:19], v[4:7], off
	global_store_b128 v[18:19], v[0:3], off offset:16
	s_sendmsg sendmsg(MSG_DEALLOC_VGPRS)
	s_endpgm
	.section	.rodata,"a",@progbits
	.p2align	6, 0x0
	.amdhsa_kernel _ZN9rocsparseL18bsrxmvn_4x4_kernelILj128ELj16EdiifddEEvT3_20rocsparse_direction_NS_24const_host_device_scalarIT1_EES1_PKS1_PKT2_SA_S7_PKT4_PKT5_S5_PT6_21rocsparse_index_base_b
		.amdhsa_group_segment_fixed_size 0
		.amdhsa_private_segment_fixed_size 0
		.amdhsa_kernarg_size 96
		.amdhsa_user_sgpr_count 2
		.amdhsa_user_sgpr_dispatch_ptr 0
		.amdhsa_user_sgpr_queue_ptr 0
		.amdhsa_user_sgpr_kernarg_segment_ptr 1
		.amdhsa_user_sgpr_dispatch_id 0
		.amdhsa_user_sgpr_kernarg_preload_length 0
		.amdhsa_user_sgpr_kernarg_preload_offset 0
		.amdhsa_user_sgpr_private_segment_size 0
		.amdhsa_wavefront_size32 1
		.amdhsa_uses_dynamic_stack 0
		.amdhsa_enable_private_segment 0
		.amdhsa_system_sgpr_workgroup_id_x 1
		.amdhsa_system_sgpr_workgroup_id_y 0
		.amdhsa_system_sgpr_workgroup_id_z 0
		.amdhsa_system_sgpr_workgroup_info 0
		.amdhsa_system_vgpr_workitem_id 0
		.amdhsa_next_free_vgpr 108
		.amdhsa_next_free_sgpr 14
		.amdhsa_named_barrier_count 0
		.amdhsa_reserve_vcc 1
		.amdhsa_float_round_mode_32 0
		.amdhsa_float_round_mode_16_64 0
		.amdhsa_float_denorm_mode_32 3
		.amdhsa_float_denorm_mode_16_64 3
		.amdhsa_fp16_overflow 0
		.amdhsa_memory_ordered 1
		.amdhsa_forward_progress 1
		.amdhsa_inst_pref_size 36
		.amdhsa_round_robin_scheduling 0
		.amdhsa_exception_fp_ieee_invalid_op 0
		.amdhsa_exception_fp_denorm_src 0
		.amdhsa_exception_fp_ieee_div_zero 0
		.amdhsa_exception_fp_ieee_overflow 0
		.amdhsa_exception_fp_ieee_underflow 0
		.amdhsa_exception_fp_ieee_inexact 0
		.amdhsa_exception_int_div_zero 0
	.end_amdhsa_kernel
	.section	.text._ZN9rocsparseL18bsrxmvn_4x4_kernelILj128ELj16EdiifddEEvT3_20rocsparse_direction_NS_24const_host_device_scalarIT1_EES1_PKS1_PKT2_SA_S7_PKT4_PKT5_S5_PT6_21rocsparse_index_base_b,"axG",@progbits,_ZN9rocsparseL18bsrxmvn_4x4_kernelILj128ELj16EdiifddEEvT3_20rocsparse_direction_NS_24const_host_device_scalarIT1_EES1_PKS1_PKT2_SA_S7_PKT4_PKT5_S5_PT6_21rocsparse_index_base_b,comdat
.Lfunc_end152:
	.size	_ZN9rocsparseL18bsrxmvn_4x4_kernelILj128ELj16EdiifddEEvT3_20rocsparse_direction_NS_24const_host_device_scalarIT1_EES1_PKS1_PKT2_SA_S7_PKT4_PKT5_S5_PT6_21rocsparse_index_base_b, .Lfunc_end152-_ZN9rocsparseL18bsrxmvn_4x4_kernelILj128ELj16EdiifddEEvT3_20rocsparse_direction_NS_24const_host_device_scalarIT1_EES1_PKS1_PKT2_SA_S7_PKT4_PKT5_S5_PT6_21rocsparse_index_base_b
                                        ; -- End function
	.set _ZN9rocsparseL18bsrxmvn_4x4_kernelILj128ELj16EdiifddEEvT3_20rocsparse_direction_NS_24const_host_device_scalarIT1_EES1_PKS1_PKT2_SA_S7_PKT4_PKT5_S5_PT6_21rocsparse_index_base_b.num_vgpr, 108
	.set _ZN9rocsparseL18bsrxmvn_4x4_kernelILj128ELj16EdiifddEEvT3_20rocsparse_direction_NS_24const_host_device_scalarIT1_EES1_PKS1_PKT2_SA_S7_PKT4_PKT5_S5_PT6_21rocsparse_index_base_b.num_agpr, 0
	.set _ZN9rocsparseL18bsrxmvn_4x4_kernelILj128ELj16EdiifddEEvT3_20rocsparse_direction_NS_24const_host_device_scalarIT1_EES1_PKS1_PKT2_SA_S7_PKT4_PKT5_S5_PT6_21rocsparse_index_base_b.numbered_sgpr, 14
	.set _ZN9rocsparseL18bsrxmvn_4x4_kernelILj128ELj16EdiifddEEvT3_20rocsparse_direction_NS_24const_host_device_scalarIT1_EES1_PKS1_PKT2_SA_S7_PKT4_PKT5_S5_PT6_21rocsparse_index_base_b.num_named_barrier, 0
	.set _ZN9rocsparseL18bsrxmvn_4x4_kernelILj128ELj16EdiifddEEvT3_20rocsparse_direction_NS_24const_host_device_scalarIT1_EES1_PKS1_PKT2_SA_S7_PKT4_PKT5_S5_PT6_21rocsparse_index_base_b.private_seg_size, 0
	.set _ZN9rocsparseL18bsrxmvn_4x4_kernelILj128ELj16EdiifddEEvT3_20rocsparse_direction_NS_24const_host_device_scalarIT1_EES1_PKS1_PKT2_SA_S7_PKT4_PKT5_S5_PT6_21rocsparse_index_base_b.uses_vcc, 1
	.set _ZN9rocsparseL18bsrxmvn_4x4_kernelILj128ELj16EdiifddEEvT3_20rocsparse_direction_NS_24const_host_device_scalarIT1_EES1_PKS1_PKT2_SA_S7_PKT4_PKT5_S5_PT6_21rocsparse_index_base_b.uses_flat_scratch, 0
	.set _ZN9rocsparseL18bsrxmvn_4x4_kernelILj128ELj16EdiifddEEvT3_20rocsparse_direction_NS_24const_host_device_scalarIT1_EES1_PKS1_PKT2_SA_S7_PKT4_PKT5_S5_PT6_21rocsparse_index_base_b.has_dyn_sized_stack, 0
	.set _ZN9rocsparseL18bsrxmvn_4x4_kernelILj128ELj16EdiifddEEvT3_20rocsparse_direction_NS_24const_host_device_scalarIT1_EES1_PKS1_PKT2_SA_S7_PKT4_PKT5_S5_PT6_21rocsparse_index_base_b.has_recursion, 0
	.set _ZN9rocsparseL18bsrxmvn_4x4_kernelILj128ELj16EdiifddEEvT3_20rocsparse_direction_NS_24const_host_device_scalarIT1_EES1_PKS1_PKT2_SA_S7_PKT4_PKT5_S5_PT6_21rocsparse_index_base_b.has_indirect_call, 0
	.section	.AMDGPU.csdata,"",@progbits
; Kernel info:
; codeLenInByte = 4484
; TotalNumSgprs: 16
; NumVgprs: 108
; ScratchSize: 0
; MemoryBound: 0
; FloatMode: 240
; IeeeMode: 1
; LDSByteSize: 0 bytes/workgroup (compile time only)
; SGPRBlocks: 0
; VGPRBlocks: 6
; NumSGPRsForWavesPerEU: 16
; NumVGPRsForWavesPerEU: 108
; NamedBarCnt: 0
; Occupancy: 9
; WaveLimiterHint : 1
; COMPUTE_PGM_RSRC2:SCRATCH_EN: 0
; COMPUTE_PGM_RSRC2:USER_SGPR: 2
; COMPUTE_PGM_RSRC2:TRAP_HANDLER: 0
; COMPUTE_PGM_RSRC2:TGID_X_EN: 1
; COMPUTE_PGM_RSRC2:TGID_Y_EN: 0
; COMPUTE_PGM_RSRC2:TGID_Z_EN: 0
; COMPUTE_PGM_RSRC2:TIDIG_COMP_CNT: 0
	.section	.text._ZN9rocsparseL18bsrxmvn_4x4_kernelILj128ELj32EdiifddEEvT3_20rocsparse_direction_NS_24const_host_device_scalarIT1_EES1_PKS1_PKT2_SA_S7_PKT4_PKT5_S5_PT6_21rocsparse_index_base_b,"axG",@progbits,_ZN9rocsparseL18bsrxmvn_4x4_kernelILj128ELj32EdiifddEEvT3_20rocsparse_direction_NS_24const_host_device_scalarIT1_EES1_PKS1_PKT2_SA_S7_PKT4_PKT5_S5_PT6_21rocsparse_index_base_b,comdat
	.globl	_ZN9rocsparseL18bsrxmvn_4x4_kernelILj128ELj32EdiifddEEvT3_20rocsparse_direction_NS_24const_host_device_scalarIT1_EES1_PKS1_PKT2_SA_S7_PKT4_PKT5_S5_PT6_21rocsparse_index_base_b ; -- Begin function _ZN9rocsparseL18bsrxmvn_4x4_kernelILj128ELj32EdiifddEEvT3_20rocsparse_direction_NS_24const_host_device_scalarIT1_EES1_PKS1_PKT2_SA_S7_PKT4_PKT5_S5_PT6_21rocsparse_index_base_b
	.p2align	8
	.type	_ZN9rocsparseL18bsrxmvn_4x4_kernelILj128ELj32EdiifddEEvT3_20rocsparse_direction_NS_24const_host_device_scalarIT1_EES1_PKS1_PKT2_SA_S7_PKT4_PKT5_S5_PT6_21rocsparse_index_base_b,@function
_ZN9rocsparseL18bsrxmvn_4x4_kernelILj128ELj32EdiifddEEvT3_20rocsparse_direction_NS_24const_host_device_scalarIT1_EES1_PKS1_PKT2_SA_S7_PKT4_PKT5_S5_PT6_21rocsparse_index_base_b: ; @_ZN9rocsparseL18bsrxmvn_4x4_kernelILj128ELj32EdiifddEEvT3_20rocsparse_direction_NS_24const_host_device_scalarIT1_EES1_PKS1_PKT2_SA_S7_PKT4_PKT5_S5_PT6_21rocsparse_index_base_b
; %bb.0:
	s_clause 0x2
	s_load_b64 s[12:13], s[0:1], 0x58
	s_load_b64 s[4:5], s[0:1], 0x8
	;; [unrolled: 1-line block ×3, first 2 shown]
	s_wait_kmcnt 0x0
	s_bitcmp1_b32 s13, 0
	v_mov_b64_e32 v[2:3], s[4:5]
	s_cselect_b32 s6, -1, 0
	s_delay_alu instid0(SALU_CYCLE_1)
	s_and_b32 vcc_lo, exec_lo, s6
	s_xor_b32 s6, s6, -1
	s_cbranch_vccnz .LBB153_2
; %bb.1:
	v_mov_b32_e32 v1, 0
	flat_load_b64 v[2:3], v1, s[4:5]
.LBB153_2:
	v_mov_b64_e32 v[8:9], s[2:3]
	s_and_not1_b32 vcc_lo, exec_lo, s6
	s_cbranch_vccnz .LBB153_4
; %bb.3:
	s_wait_xcnt 0x0
	v_mov_b32_e32 v1, 0
	flat_load_b64 v[8:9], v1, s[2:3]
.LBB153_4:
	s_wait_loadcnt_dscnt 0x0
	v_cmp_neq_f64_e32 vcc_lo, 0, v[2:3]
	s_delay_alu instid0(VALU_DEP_2) | instskip(SKIP_1) | instid1(SALU_CYCLE_1)
	v_cmp_neq_f64_e64 s2, 1.0, v[8:9]
	s_or_b32 s2, vcc_lo, s2
	s_and_saveexec_b32 s3, s2
	s_cbranch_execz .LBB153_10
; %bb.5:
	s_clause 0x1
	s_load_b64 s[4:5], s[0:1], 0x18
	s_load_b64 s[2:3], s[0:1], 0x0
	s_bfe_u32 s6, ttmp6, 0x4000c
	s_and_b32 s7, ttmp6, 15
	s_add_co_i32 s6, s6, 1
	s_getreg_b32 s8, hwreg(HW_REG_IB_STS2, 6, 4)
	s_mul_i32 s6, ttmp9, s6
	v_lshrrev_b32_e32 v1, 5, v0
	s_add_co_i32 s7, s7, s6
	s_cmp_eq_u32 s8, 0
	s_cselect_b32 s6, ttmp9, s7
	s_delay_alu instid0(VALU_DEP_1) | instid1(SALU_CYCLE_1)
	v_lshl_or_b32 v10, s6, 2, v1
	s_mov_b32 s6, 0
	s_wait_kmcnt 0x0
	s_cmp_lg_u64 s[4:5], 0
	s_cbranch_scc0 .LBB153_11
; %bb.6:
	s_load_b32 s6, s[0:1], 0x10
	s_mov_b32 s7, 0
                                        ; implicit-def: $vgpr1
	s_wait_kmcnt 0x0
	v_cmp_gt_i32_e32 vcc_lo, s6, v10
	s_mov_b32 s6, 0
	s_and_saveexec_b32 s8, vcc_lo
	s_delay_alu instid0(SALU_CYCLE_1)
	s_xor_b32 s8, exec_lo, s8
	s_cbranch_execz .LBB153_8
; %bb.7:
	global_load_b32 v1, v10, s[4:5] scale_offset
	s_mov_b32 s6, exec_lo
	s_wait_loadcnt 0x0
	v_subrev_nc_u32_e32 v1, s12, v1
.LBB153_8:
	s_or_b32 exec_lo, exec_lo, s8
	s_delay_alu instid0(SALU_CYCLE_1)
	s_and_b32 vcc_lo, exec_lo, s7
	s_cbranch_vccz .LBB153_12
.LBB153_9:
	v_cmp_gt_i32_e32 vcc_lo, s2, v10
	s_and_not1_b32 s2, s6, exec_lo
	s_and_b32 s4, vcc_lo, exec_lo
	s_delay_alu instid0(SALU_CYCLE_1) | instskip(NEXT) | instid1(SALU_CYCLE_1)
	s_or_b32 s6, s2, s4
	s_and_b32 exec_lo, exec_lo, s6
	s_cbranch_execnz .LBB153_13
.LBB153_10:
	s_sendmsg sendmsg(MSG_DEALLOC_VGPRS)
	s_endpgm
.LBB153_11:
                                        ; implicit-def: $vgpr1
	s_cbranch_execnz .LBB153_9
.LBB153_12:
	s_delay_alu instid0(VALU_DEP_1)
	v_mov_b32_e32 v10, v1
	s_and_b32 exec_lo, exec_lo, s6
	s_cbranch_execz .LBB153_10
.LBB153_13:
	s_load_b256 s[4:11], s[0:1], 0x20
	s_wait_kmcnt 0x0
	s_cmp_eq_u64 s[6:7], 0
	global_load_b32 v20, v10, s[4:5] scale_offset
	s_cselect_b32 vcc_lo, -1, 0
	v_ashrrev_i32_e32 v11, 31, v10
	s_cmp_eq_u32 s3, 1
	s_delay_alu instid0(VALU_DEP_1) | instskip(SKIP_1) | instid1(VALU_DEP_2)
	v_lshlrev_b64_e32 v[4:5], 2, v[10:11]
	v_and_b32_e32 v11, 31, v0
	v_add_nc_u64_e32 v[6:7], s[4:5], v[4:5]
	v_add_nc_u64_e32 v[4:5], s[6:7], v[4:5]
	s_wait_xcnt 0x0
	s_load_b64 s[4:5], s[0:1], 0x40
	s_delay_alu instid0(VALU_DEP_2) | instskip(NEXT) | instid1(VALU_DEP_1)
	v_add_nc_u64_e32 v[6:7], 4, v[6:7]
	v_dual_cndmask_b32 v5, v5, v7 :: v_dual_cndmask_b32 v4, v4, v6
	global_load_b32 v4, v[4:5], off
	s_wait_loadcnt 0x1
	v_subrev_nc_u32_e32 v0, s12, v20
	s_delay_alu instid0(VALU_DEP_1) | instskip(NEXT) | instid1(VALU_DEP_1)
	v_add_nc_u32_e32 v14, v0, v11
	v_ashrrev_i32_e32 v15, 31, v14
	s_delay_alu instid0(VALU_DEP_1) | instskip(NEXT) | instid1(VALU_DEP_1)
	v_lshlrev_b64_e32 v[0:1], 6, v[14:15]
	v_add_nc_u64_e32 v[16:17], s[10:11], v[0:1]
	s_wait_loadcnt 0x0
	v_subrev_nc_u32_e32 v15, s12, v4
	s_delay_alu instid0(VALU_DEP_1)
	v_cmp_lt_i32_e64 s2, v14, v15
	s_cbranch_scc1 .LBB153_25
; %bb.14:
	v_mov_b64_e32 v[0:1], 0
	v_mov_b64_e32 v[6:7], 0
	;; [unrolled: 1-line block ×4, first 2 shown]
	s_and_saveexec_b32 s3, s2
	s_cbranch_execz .LBB153_24
; %bb.15:
	v_dual_mov_b32 v21, v14 :: v_dual_add_nc_u32 v0, v20, v11
	v_not_b32_e32 v1, v20
	v_mov_b64_e32 v[4:5], 0
	v_mov_b64_e32 v[12:13], 0
	s_delay_alu instid0(VALU_DEP_4) | instskip(SKIP_1) | instid1(VALU_DEP_2)
	v_subrev_nc_u32_e32 v0, s12, v0
	v_mov_b64_e32 v[6:7], 0
	v_add_max_i32_e64 v0, v0, 32, v15
	s_delay_alu instid0(VALU_DEP_1) | instskip(NEXT) | instid1(VALU_DEP_1)
	v_add3_u32 v0, s12, v0, v1
	v_sub_nc_u32_e32 v22, v0, v11
	v_mov_b64_e32 v[0:1], 0
	s_delay_alu instid0(VALU_DEP_2) | instskip(NEXT) | instid1(VALU_DEP_1)
	v_and_b32_e32 v18, 0x60, v22
	v_cmp_ne_u32_e32 vcc_lo, 0x60, v18
	v_mov_b64_e32 v[18:19], v[16:17]
	s_and_saveexec_b32 s6, vcc_lo
	s_cbranch_execz .LBB153_19
; %bb.16:
	v_lshrrev_b32_e32 v0, 5, v22
	v_mov_b64_e32 v[18:19], v[16:17]
	v_mov_b64_e32 v[6:7], 0
	;; [unrolled: 1-line block ×3, first 2 shown]
	s_mov_b32 s7, 0
	v_add_nc_u32_e32 v4, 1, v0
	v_mov_b64_e32 v[0:1], 0
	s_delay_alu instid0(VALU_DEP_2) | instskip(SKIP_1) | instid1(VALU_DEP_2)
	v_and_b32_e32 v21, 3, v4
	v_mov_b64_e32 v[4:5], 0
	v_dual_sub_nc_u32 v23, 0, v21 :: v_dual_mov_b32 v21, v14
.LBB153_17:                             ; =>This Inner Loop Header: Depth=1
	global_load_b32 v40, v21, s[8:9] scale_offset
	s_clause 0x3
	global_load_b128 v[24:27], v[18:19], off
	global_load_b128 v[28:31], v[18:19], off offset:16
	global_load_b128 v[32:35], v[18:19], off offset:32
	;; [unrolled: 1-line block ×3, first 2 shown]
	s_wait_xcnt 0x0
	v_add_nc_u64_e32 v[18:19], 0x800, v[18:19]
	v_add_co_u32 v23, s10, v23, 1
	s_or_b32 s7, s10, s7
	v_add_nc_u32_e32 v21, 32, v21
	s_wait_loadcnt 0x4
	v_subrev_nc_u32_e32 v40, s12, v40
	s_wait_loadcnt 0x2
	v_cvt_f64_f32_e32 v[50:51], v28
	s_wait_loadcnt 0x1
	v_cvt_f64_f32_e32 v[52:53], v32
	;; [unrolled: 2-line block ×3, first 2 shown]
	v_lshlrev_b32_e32 v40, 2, v40
	v_cvt_f64_f32_e32 v[28:29], v29
	v_cvt_f64_f32_e32 v[32:33], v33
	;; [unrolled: 1-line block ×3, first 2 shown]
	s_delay_alu instid0(VALU_DEP_4) | instskip(SKIP_1) | instid1(VALU_DEP_1)
	v_ashrrev_i32_e32 v41, 31, v40
	s_wait_kmcnt 0x0
	v_lshl_add_u64 v[48:49], v[40:41], 3, s[4:5]
	s_clause 0x1
	global_load_b128 v[40:43], v[48:49], off
	global_load_b128 v[44:47], v[48:49], off offset:16
	s_wait_xcnt 0x0
	v_cvt_f64_f32_e32 v[48:49], v24
	v_cvt_f64_f32_e32 v[24:25], v25
	s_wait_loadcnt 0x1
	s_delay_alu instid0(VALU_DEP_2)
	v_fmac_f64_e32 v[4:5], v[48:49], v[40:41]
	v_fmac_f64_e32 v[12:13], v[50:51], v[40:41]
	;; [unrolled: 1-line block ×4, first 2 shown]
	v_cvt_f64_f32_e32 v[40:41], v26
	v_cvt_f64_f32_e32 v[48:49], v30
	;; [unrolled: 1-line block ×4, first 2 shown]
	v_fmac_f64_e32 v[4:5], v[24:25], v[42:43]
	v_fmac_f64_e32 v[12:13], v[28:29], v[42:43]
	;; [unrolled: 1-line block ×4, first 2 shown]
	v_cvt_f64_f32_e32 v[24:25], v27
	v_cvt_f64_f32_e32 v[26:27], v31
	;; [unrolled: 1-line block ×4, first 2 shown]
	s_wait_loadcnt 0x0
	v_fmac_f64_e32 v[4:5], v[40:41], v[44:45]
	v_fmac_f64_e32 v[12:13], v[48:49], v[44:45]
	;; [unrolled: 1-line block ×4, first 2 shown]
	s_delay_alu instid0(VALU_DEP_4) | instskip(NEXT) | instid1(VALU_DEP_4)
	v_fmac_f64_e32 v[4:5], v[24:25], v[46:47]
	v_fmac_f64_e32 v[12:13], v[26:27], v[46:47]
	s_delay_alu instid0(VALU_DEP_4) | instskip(NEXT) | instid1(VALU_DEP_4)
	v_fmac_f64_e32 v[6:7], v[28:29], v[46:47]
	v_fmac_f64_e32 v[0:1], v[30:31], v[46:47]
	s_and_not1_b32 exec_lo, exec_lo, s7
	s_cbranch_execnz .LBB153_17
; %bb.18:
	s_or_b32 exec_lo, exec_lo, s7
.LBB153_19:
	s_delay_alu instid0(SALU_CYCLE_1) | instskip(NEXT) | instid1(SALU_CYCLE_1)
	s_or_b32 exec_lo, exec_lo, s6
	s_mov_b32 s6, exec_lo
	v_cmpx_lt_u32_e32 0x5f, v22
	s_cbranch_execz .LBB153_23
; %bb.20:
	s_mov_b32 s7, 0
.LBB153_21:                             ; =>This Inner Loop Header: Depth=1
	s_clause 0x1
	global_load_b32 v38, v21, s[8:9] scale_offset
	global_load_b32 v64, v21, s[8:9] offset:128 scale_offset
	s_clause 0x3
	global_load_b128 v[22:25], v[18:19], off
	global_load_b128 v[26:29], v[18:19], off offset:16
	global_load_b128 v[30:33], v[18:19], off offset:48
	;; [unrolled: 1-line block ×3, first 2 shown]
	s_clause 0x1
	global_load_b32 v98, v21, s[8:9] offset:256 scale_offset
	global_load_b32 v102, v21, s[8:9] offset:384 scale_offset
	s_wait_xcnt 0x0
	v_add_nc_u32_e32 v21, 0x80, v21
	s_delay_alu instid0(VALU_DEP_1)
	v_cmp_ge_i32_e32 vcc_lo, v21, v15
	s_or_b32 s7, vcc_lo, s7
	s_wait_loadcnt 0x7
	v_subrev_nc_u32_e32 v38, s12, v38
	s_wait_loadcnt 0x4
	v_cvt_f64_f32_e32 v[92:93], v26
	s_wait_loadcnt 0x3
	v_cvt_f64_f32_e32 v[96:97], v30
	v_lshlrev_b32_e32 v38, 2, v38
	s_wait_loadcnt 0x1
	v_subrev_nc_u32_e32 v26, s12, v98
	v_cvt_f64_f32_e32 v[94:95], v34
	v_cvt_f64_f32_e32 v[100:101], v33
	v_ashrrev_i32_e32 v39, 31, v38
	s_wait_kmcnt 0x0
	s_delay_alu instid0(VALU_DEP_1)
	v_lshl_add_u64 v[62:63], v[38:39], 3, s[4:5]
	s_clause 0x1
	global_load_b128 v[38:41], v[62:63], off
	global_load_b128 v[42:45], v[62:63], off offset:16
	s_clause 0x3
	global_load_b128 v[46:49], v[18:19], off offset:2048
	global_load_b128 v[50:53], v[18:19], off offset:2064
	;; [unrolled: 1-line block ×4, first 2 shown]
	s_wait_xcnt 0x4
	v_subrev_nc_u32_e32 v62, s12, v64
	s_delay_alu instid0(VALU_DEP_1) | instskip(NEXT) | instid1(VALU_DEP_1)
	v_lshlrev_b32_e32 v62, 2, v62
	v_ashrrev_i32_e32 v63, 31, v62
	s_delay_alu instid0(VALU_DEP_1)
	v_lshl_add_u64 v[90:91], v[62:63], 3, s[4:5]
	global_load_b128 v[62:65], v[90:91], off
	s_clause 0x4
	global_load_b128 v[66:69], v[18:19], off offset:4144
	global_load_b128 v[70:73], v[18:19], off offset:4128
	;; [unrolled: 1-line block ×6, first 2 shown]
	s_wait_xcnt 0x0
	v_cvt_f64_f32_e32 v[90:91], v22
	v_cvt_f64_f32_e32 v[22:23], v23
	s_wait_loadcnt 0xc
	s_delay_alu instid0(VALU_DEP_2)
	v_fmac_f64_e32 v[4:5], v[90:91], v[38:39]
	v_lshlrev_b32_e32 v90, 2, v26
	v_fmac_f64_e32 v[12:13], v[92:93], v[38:39]
	v_cvt_f64_f32_e32 v[26:27], v27
	v_fmac_f64_e32 v[6:7], v[94:95], v[38:39]
	v_fmac_f64_e32 v[0:1], v[96:97], v[38:39]
	v_ashrrev_i32_e32 v91, 31, v90
	v_cvt_f64_f32_e32 v[96:97], v36
	v_cvt_f64_f32_e32 v[94:95], v29
	s_delay_alu instid0(VALU_DEP_3)
	v_lshl_add_u64 v[98:99], v[90:91], 3, s[4:5]
	global_load_b128 v[90:93], v[98:99], off
	v_fmac_f64_e32 v[4:5], v[22:23], v[40:41]
	v_cvt_f64_f32_e32 v[22:23], v35
	v_cvt_f64_f32_e32 v[34:35], v25
	v_fmac_f64_e32 v[12:13], v[26:27], v[40:41]
	v_cvt_f64_f32_e32 v[26:27], v31
	v_cvt_f64_f32_e32 v[30:31], v28
	v_fmac_f64_e32 v[6:7], v[22:23], v[40:41]
	s_delay_alu instid0(VALU_DEP_3)
	v_fmac_f64_e32 v[0:1], v[26:27], v[40:41]
	v_cvt_f64_f32_e32 v[26:27], v24
	global_load_b128 v[22:25], v[98:99], off offset:16
	global_load_b128 v[38:41], v[18:19], off offset:6144
	s_wait_xcnt 0x1
	v_cvt_f64_f32_e32 v[98:99], v37
	v_cvt_f64_f32_e32 v[36:37], v32
	s_wait_loadcnt 0xe
	v_fmac_f64_e32 v[12:13], v[30:31], v[42:43]
	global_load_b128 v[30:33], v[18:19], off offset:6192
	v_fmac_f64_e32 v[6:7], v[96:97], v[42:43]
	v_subrev_nc_u32_e32 v96, s12, v102
	v_fmac_f64_e32 v[4:5], v[26:27], v[42:43]
	global_load_b128 v[26:29], v[18:19], off offset:6176
	v_lshlrev_b32_e32 v96, 2, v96
	s_wait_xcnt 0x0
	v_add_nc_u64_e32 v[18:19], 0x2000, v[18:19]
	v_fmac_f64_e32 v[0:1], v[36:37], v[42:43]
	v_fmac_f64_e32 v[12:13], v[94:95], v[44:45]
	s_wait_loadcnt 0xf
	v_cvt_f64_f32_e32 v[42:43], v46
	v_ashrrev_i32_e32 v97, 31, v96
	s_wait_loadcnt 0xe
	v_cvt_f64_f32_e32 v[94:95], v50
	v_cvt_f64_f32_e32 v[46:47], v47
	;; [unrolled: 1-line block ×3, first 2 shown]
	v_lshl_add_u64 v[96:97], v[96:97], 3, s[4:5]
	v_fmac_f64_e32 v[6:7], v[98:99], v[44:45]
	s_wait_loadcnt 0xc
	v_cvt_f64_f32_e32 v[98:99], v58
	v_cvt_f64_f32_e32 v[58:59], v59
	v_fmac_f64_e32 v[4:5], v[34:35], v[44:45]
	global_load_b128 v[34:37], v[96:97], off
	v_fmac_f64_e32 v[0:1], v[100:101], v[44:45]
	v_cvt_f64_f32_e32 v[44:45], v54
	v_cvt_f64_f32_e32 v[54:55], v55
	s_wait_loadcnt 0xc
	v_fmac_f64_e32 v[12:13], v[94:95], v[62:63]
	v_fmac_f64_e32 v[4:5], v[42:43], v[62:63]
	;; [unrolled: 1-line block ×4, first 2 shown]
	global_load_b128 v[42:45], v[96:97], off offset:16
	v_fmac_f64_e32 v[12:13], v[50:51], v[64:65]
	v_cvt_f64_f32_e32 v[50:51], v52
	v_cvt_f64_f32_e32 v[52:53], v53
	v_fmac_f64_e32 v[4:5], v[46:47], v[64:65]
	v_cvt_f64_f32_e32 v[46:47], v48
	v_cvt_f64_f32_e32 v[48:49], v49
	v_fmac_f64_e32 v[0:1], v[58:59], v[64:65]
	v_fmac_f64_e32 v[6:7], v[54:55], v[64:65]
	v_cvt_f64_f32_e32 v[54:55], v56
	v_cvt_f64_f32_e32 v[58:59], v60
	v_cvt_f64_f32_e32 v[56:57], v57
	v_cvt_f64_f32_e32 v[60:61], v61
	s_wait_loadcnt 0x7
	v_fmac_f64_e32 v[12:13], v[50:51], v[86:87]
	v_cvt_f64_f32_e32 v[50:51], v74
	v_fmac_f64_e32 v[4:5], v[46:47], v[86:87]
	v_cvt_f64_f32_e32 v[46:47], v78
	v_fmac_f64_e32 v[6:7], v[54:55], v[86:87]
	v_fmac_f64_e32 v[0:1], v[58:59], v[86:87]
	v_cvt_f64_f32_e32 v[54:55], v70
	v_cvt_f64_f32_e32 v[58:59], v66
	v_fmac_f64_e32 v[12:13], v[52:53], v[88:89]
	v_cvt_f64_f32_e32 v[52:53], v75
	v_fmac_f64_e32 v[4:5], v[48:49], v[88:89]
	;; [unrolled: 2-line block ×3, first 2 shown]
	v_fmac_f64_e32 v[0:1], v[60:61], v[88:89]
	v_cvt_f64_f32_e32 v[56:57], v71
	v_cvt_f64_f32_e32 v[60:61], v67
	s_wait_loadcnt 0x6
	v_fmac_f64_e32 v[4:5], v[46:47], v[90:91]
	v_fmac_f64_e32 v[12:13], v[50:51], v[90:91]
	v_fmac_f64_e32 v[6:7], v[54:55], v[90:91]
	v_fmac_f64_e32 v[0:1], v[58:59], v[90:91]
	v_cvt_f64_f32_e32 v[46:47], v80
	v_cvt_f64_f32_e32 v[50:51], v76
	;; [unrolled: 1-line block ×4, first 2 shown]
	v_fmac_f64_e32 v[4:5], v[48:49], v[92:93]
	v_fmac_f64_e32 v[12:13], v[52:53], v[92:93]
	;; [unrolled: 1-line block ×4, first 2 shown]
	v_cvt_f64_f32_e32 v[48:49], v81
	v_cvt_f64_f32_e32 v[52:53], v77
	;; [unrolled: 1-line block ×4, first 2 shown]
	s_wait_loadcnt 0x5
	v_fmac_f64_e32 v[4:5], v[46:47], v[22:23]
	v_fmac_f64_e32 v[12:13], v[50:51], v[22:23]
	;; [unrolled: 1-line block ×4, first 2 shown]
	s_wait_loadcnt 0x4
	v_cvt_f64_f32_e32 v[22:23], v38
	v_cvt_f64_f32_e32 v[46:47], v82
	s_wait_loadcnt 0x3
	v_cvt_f64_f32_e32 v[54:55], v30
	v_cvt_f64_f32_e32 v[30:31], v31
	;; [unrolled: 3-line block ×3, first 2 shown]
	v_fmac_f64_e32 v[4:5], v[48:49], v[24:25]
	v_fmac_f64_e32 v[12:13], v[52:53], v[24:25]
	;; [unrolled: 1-line block ×4, first 2 shown]
	v_cvt_f64_f32_e32 v[24:25], v39
	v_cvt_f64_f32_e32 v[38:39], v83
	;; [unrolled: 1-line block ×3, first 2 shown]
	s_wait_loadcnt 0x1
	v_fmac_f64_e32 v[4:5], v[22:23], v[34:35]
	v_fmac_f64_e32 v[12:13], v[46:47], v[34:35]
	;; [unrolled: 1-line block ×4, first 2 shown]
	v_cvt_f64_f32_e32 v[22:23], v40
	v_cvt_f64_f32_e32 v[34:35], v84
	;; [unrolled: 1-line block ×4, first 2 shown]
	v_fmac_f64_e32 v[4:5], v[24:25], v[36:37]
	v_fmac_f64_e32 v[12:13], v[38:39], v[36:37]
	v_fmac_f64_e32 v[6:7], v[26:27], v[36:37]
	v_fmac_f64_e32 v[0:1], v[30:31], v[36:37]
	v_cvt_f64_f32_e32 v[24:25], v41
	v_cvt_f64_f32_e32 v[26:27], v85
	;; [unrolled: 1-line block ×3, first 2 shown]
	s_wait_loadcnt 0x0
	v_fmac_f64_e32 v[4:5], v[22:23], v[42:43]
	v_fmac_f64_e32 v[12:13], v[34:35], v[42:43]
	v_fmac_f64_e32 v[6:7], v[46:47], v[42:43]
	v_fmac_f64_e32 v[0:1], v[48:49], v[42:43]
	s_delay_alu instid0(VALU_DEP_4) | instskip(NEXT) | instid1(VALU_DEP_4)
	v_fmac_f64_e32 v[4:5], v[24:25], v[44:45]
	v_fmac_f64_e32 v[12:13], v[26:27], v[44:45]
	s_delay_alu instid0(VALU_DEP_4) | instskip(NEXT) | instid1(VALU_DEP_4)
	v_fmac_f64_e32 v[6:7], v[28:29], v[44:45]
	v_fmac_f64_e32 v[0:1], v[30:31], v[44:45]
	s_and_not1_b32 exec_lo, exec_lo, s7
	s_cbranch_execnz .LBB153_21
; %bb.22:
	s_or_b32 exec_lo, exec_lo, s7
.LBB153_23:
	s_delay_alu instid0(SALU_CYCLE_1)
	s_or_b32 exec_lo, exec_lo, s6
.LBB153_24:
	s_delay_alu instid0(SALU_CYCLE_1)
	s_or_b32 exec_lo, exec_lo, s3
	s_cbranch_execz .LBB153_26
	s_branch .LBB153_37
.LBB153_25:
                                        ; implicit-def: $vgpr0_vgpr1
                                        ; implicit-def: $vgpr6_vgpr7
                                        ; implicit-def: $vgpr12_vgpr13
                                        ; implicit-def: $vgpr4_vgpr5
.LBB153_26:
	v_mov_b64_e32 v[0:1], 0
	v_mov_b64_e32 v[6:7], 0
	;; [unrolled: 1-line block ×4, first 2 shown]
	s_and_saveexec_b32 s3, s2
	s_cbranch_execz .LBB153_36
; %bb.27:
	v_add_nc_u32_e32 v0, v20, v11
	v_not_b32_e32 v1, v20
	v_mov_b64_e32 v[4:5], 0
	v_mov_b64_e32 v[12:13], 0
	;; [unrolled: 1-line block ×3, first 2 shown]
	v_subrev_nc_u32_e32 v0, s12, v0
	s_mov_b32 s2, exec_lo
	s_delay_alu instid0(VALU_DEP_1) | instskip(NEXT) | instid1(VALU_DEP_1)
	v_add_max_i32_e64 v0, v0, 32, v15
	v_add3_u32 v0, s12, v0, v1
	s_delay_alu instid0(VALU_DEP_1) | instskip(SKIP_1) | instid1(VALU_DEP_2)
	v_sub_nc_u32_e32 v18, v0, v11
	v_mov_b64_e32 v[0:1], 0
	v_and_b32_e32 v19, 0x60, v18
	s_delay_alu instid0(VALU_DEP_1)
	v_cmpx_ne_u32_e32 0x60, v19
	s_cbranch_execz .LBB153_31
; %bb.28:
	v_lshrrev_b32_e32 v0, 5, v18
	v_mov_b64_e32 v[6:7], 0
	v_mov_b64_e32 v[12:13], 0
	;; [unrolled: 1-line block ×3, first 2 shown]
	s_mov_b32 s6, 0
	v_add_nc_u32_e32 v0, 1, v0
	s_delay_alu instid0(VALU_DEP_1) | instskip(SKIP_1) | instid1(VALU_DEP_2)
	v_and_b32_e32 v19, 3, v0
	v_mov_b64_e32 v[0:1], 0
	v_sub_nc_u32_e32 v19, 0, v19
.LBB153_29:                             ; =>This Inner Loop Header: Depth=1
	global_load_b32 v28, v14, s[8:9] scale_offset
	s_clause 0x1
	global_load_b128 v[20:23], v[16:17], off
	global_load_b128 v[24:27], v[16:17], off offset:16
	v_add_co_u32 v19, s7, v19, 1
	s_or_b32 s6, s7, s6
	s_wait_xcnt 0x2
	v_add_nc_u32_e32 v14, 32, v14
	s_wait_loadcnt 0x2
	v_subrev_nc_u32_e32 v28, s12, v28
	s_wait_loadcnt 0x1
	v_cvt_f64_f32_e32 v[46:47], v22
	v_cvt_f64_f32_e32 v[22:23], v23
	s_wait_loadcnt 0x0
	v_cvt_f64_f32_e32 v[48:49], v24
	v_cvt_f64_f32_e32 v[24:25], v25
	v_lshlrev_b32_e32 v28, 2, v28
	v_cvt_f64_f32_e32 v[50:51], v26
	v_cvt_f64_f32_e32 v[26:27], v27
	s_delay_alu instid0(VALU_DEP_3) | instskip(SKIP_1) | instid1(VALU_DEP_1)
	v_ashrrev_i32_e32 v29, 31, v28
	s_wait_kmcnt 0x0
	v_lshl_add_u64 v[44:45], v[28:29], 3, s[4:5]
	s_clause 0x1
	global_load_b128 v[28:31], v[44:45], off
	global_load_b128 v[32:35], v[44:45], off offset:16
	s_clause 0x1
	global_load_b128 v[36:39], v[16:17], off offset:32
	global_load_b128 v[40:43], v[16:17], off offset:48
	s_wait_xcnt 0x2
	v_cvt_f64_f32_e32 v[44:45], v20
	v_cvt_f64_f32_e32 v[20:21], v21
	s_wait_xcnt 0x0
	v_add_nc_u64_e32 v[16:17], 0x800, v[16:17]
	s_wait_loadcnt 0x3
	s_delay_alu instid0(VALU_DEP_3) | instskip(NEXT) | instid1(VALU_DEP_3)
	v_fmac_f64_e32 v[4:5], v[44:45], v[28:29]
	v_fmac_f64_e32 v[12:13], v[20:21], v[28:29]
	;; [unrolled: 1-line block ×4, first 2 shown]
	s_wait_loadcnt 0x1
	v_cvt_f64_f32_e32 v[20:21], v36
	v_cvt_f64_f32_e32 v[22:23], v37
	v_cvt_f64_f32_e32 v[28:29], v38
	v_cvt_f64_f32_e32 v[36:37], v39
	s_wait_loadcnt 0x0
	v_cvt_f64_f32_e32 v[38:39], v43
	v_fmac_f64_e32 v[4:5], v[48:49], v[30:31]
	v_fmac_f64_e32 v[12:13], v[24:25], v[30:31]
	;; [unrolled: 1-line block ×4, first 2 shown]
	v_cvt_f64_f32_e32 v[24:25], v40
	v_cvt_f64_f32_e32 v[26:27], v41
	;; [unrolled: 1-line block ×3, first 2 shown]
	v_fmac_f64_e32 v[4:5], v[20:21], v[32:33]
	v_fmac_f64_e32 v[12:13], v[22:23], v[32:33]
	;; [unrolled: 1-line block ×4, first 2 shown]
	s_delay_alu instid0(VALU_DEP_4) | instskip(NEXT) | instid1(VALU_DEP_4)
	v_fmac_f64_e32 v[4:5], v[24:25], v[34:35]
	v_fmac_f64_e32 v[12:13], v[26:27], v[34:35]
	s_delay_alu instid0(VALU_DEP_4) | instskip(NEXT) | instid1(VALU_DEP_4)
	v_fmac_f64_e32 v[6:7], v[30:31], v[34:35]
	v_fmac_f64_e32 v[0:1], v[38:39], v[34:35]
	s_and_not1_b32 exec_lo, exec_lo, s6
	s_cbranch_execnz .LBB153_29
; %bb.30:
	s_or_b32 exec_lo, exec_lo, s6
.LBB153_31:
	s_delay_alu instid0(SALU_CYCLE_1) | instskip(NEXT) | instid1(SALU_CYCLE_1)
	s_or_b32 exec_lo, exec_lo, s2
	s_mov_b32 s2, exec_lo
	v_cmpx_lt_u32_e32 0x5f, v18
	s_cbranch_execz .LBB153_35
; %bb.32:
	s_mov_b32 s6, 0
.LBB153_33:                             ; =>This Inner Loop Header: Depth=1
	s_clause 0x6
	global_load_b128 v[18:21], v[16:17], off
	global_load_b128 v[22:25], v[16:17], off offset:16
	global_load_b128 v[26:29], v[16:17], off offset:32
	;; [unrolled: 1-line block ×6, first 2 shown]
	global_load_b32 v106, v14, s[8:9] scale_offset
	global_load_b128 v[46:49], v[16:17], off offset:2096
	s_wait_loadcnt 0x8
	v_cvt_f64_f32_e32 v[50:51], v18
	v_cvt_f64_f32_e32 v[52:53], v19
	s_wait_loadcnt 0x6
	v_cvt_f64_f32_e32 v[66:67], v26
	v_cvt_f64_f32_e32 v[68:69], v27
	;; [unrolled: 1-line block ×5, first 2 shown]
	s_wait_loadcnt 0x1
	v_subrev_nc_u32_e32 v18, s12, v106
	v_cvt_f64_f32_e32 v[60:61], v23
	v_cvt_f64_f32_e32 v[62:63], v24
	;; [unrolled: 1-line block ×4, first 2 shown]
	v_lshlrev_b32_e32 v18, 2, v18
	v_cvt_f64_f32_e32 v[90:91], v38
	s_clause 0x2
	global_load_b32 v28, v14, s[8:9] offset:128 scale_offset
	global_load_b32 v38, v14, s[8:9] offset:256 scale_offset
	;; [unrolled: 1-line block ×3, first 2 shown]
	v_cvt_f64_f32_e32 v[82:83], v34
	v_cvt_f64_f32_e32 v[84:85], v35
	v_ashrrev_i32_e32 v19, 31, v18
	v_cvt_f64_f32_e32 v[72:73], v29
	v_cvt_f64_f32_e32 v[74:75], v30
	;; [unrolled: 1-line block ×4, first 2 shown]
	s_wait_kmcnt 0x0
	v_lshl_add_u64 v[26:27], v[18:19], 3, s[4:5]
	v_cvt_f64_f32_e32 v[80:81], v33
	v_cvt_f64_f32_e32 v[92:93], v39
	;; [unrolled: 1-line block ×4, first 2 shown]
	s_clause 0x1
	global_load_b128 v[18:21], v[26:27], off
	global_load_b128 v[22:25], v[26:27], off offset:16
	v_cvt_f64_f32_e32 v[86:87], v36
	v_cvt_f64_f32_e32 v[88:89], v37
	;; [unrolled: 1-line block ×6, first 2 shown]
	s_wait_xcnt 0x2
	v_add_nc_u32_e32 v14, 0x80, v14
	s_delay_alu instid0(VALU_DEP_1) | instskip(SKIP_3) | instid1(VALU_DEP_1)
	v_cmp_ge_i32_e32 vcc_lo, v14, v15
	s_or_b32 s6, vcc_lo, s6
	s_wait_loadcnt 0x3
	v_subrev_nc_u32_e32 v38, s12, v38
	v_lshlrev_b32_e32 v38, 2, v38
	s_delay_alu instid0(VALU_DEP_1)
	v_ashrrev_i32_e32 v39, 31, v38
	s_wait_loadcnt 0x1
	v_fmac_f64_e32 v[4:5], v[50:51], v[18:19]
	v_fmac_f64_e32 v[12:13], v[52:53], v[18:19]
	;; [unrolled: 1-line block ×4, first 2 shown]
	v_subrev_nc_u32_e32 v18, s12, v28
	v_lshl_add_u64 v[42:43], v[38:39], 3, s[4:5]
	s_delay_alu instid0(VALU_DEP_2) | instskip(NEXT) | instid1(VALU_DEP_1)
	v_lshlrev_b32_e32 v18, 2, v18
	v_ashrrev_i32_e32 v19, 31, v18
	s_delay_alu instid0(VALU_DEP_1)
	v_lshl_add_u64 v[34:35], v[18:19], 3, s[4:5]
	global_load_b128 v[26:29], v[34:35], off
	v_fmac_f64_e32 v[4:5], v[58:59], v[20:21]
	v_fmac_f64_e32 v[12:13], v[60:61], v[20:21]
	;; [unrolled: 1-line block ×4, first 2 shown]
	global_load_b128 v[18:21], v[34:35], off offset:16
	s_clause 0x2
	global_load_b128 v[30:33], v[16:17], off offset:4096
	global_load_b128 v[34:37], v[16:17], off offset:4112
	;; [unrolled: 1-line block ×3, first 2 shown]
	global_load_b128 v[38:41], v[42:43], off
	v_cvt_f64_f32_e32 v[62:63], v46
	s_clause 0x1
	global_load_b128 v[54:57], v[16:17], off offset:6160
	global_load_b128 v[58:61], v[16:17], off offset:6192
	s_wait_loadcnt 0x8
	v_fmac_f64_e32 v[4:5], v[66:67], v[22:23]
	v_fmac_f64_e32 v[12:13], v[68:69], v[22:23]
	;; [unrolled: 1-line block ×4, first 2 shown]
	v_cvt_f64_f32_e32 v[66:67], v47
	v_cvt_f64_f32_e32 v[68:69], v48
	v_cvt_f64_f32_e32 v[70:71], v49
	global_load_b128 v[46:49], v[16:17], off offset:6144
	v_fmac_f64_e32 v[4:5], v[74:75], v[24:25]
	v_fmac_f64_e32 v[12:13], v[76:77], v[24:25]
	;; [unrolled: 1-line block ×4, first 2 shown]
	global_load_b128 v[22:25], v[16:17], off offset:4144
	s_wait_loadcnt 0x9
	v_fmac_f64_e32 v[4:5], v[82:83], v[26:27]
	v_fmac_f64_e32 v[12:13], v[84:85], v[26:27]
	;; [unrolled: 1-line block ×4, first 2 shown]
	v_subrev_nc_u32_e32 v26, s12, v107
	s_delay_alu instid0(VALU_DEP_1) | instskip(SKIP_3) | instid1(VALU_DEP_3)
	v_lshlrev_b32_e32 v26, 2, v26
	s_wait_loadcnt 0x7
	v_cvt_f64_f32_e32 v[72:73], v30
	v_cvt_f64_f32_e32 v[74:75], v31
	v_ashrrev_i32_e32 v27, 31, v26
	v_cvt_f64_f32_e32 v[76:77], v32
	v_cvt_f64_f32_e32 v[78:79], v33
	global_load_b128 v[30:33], v[16:17], off offset:6176
	s_wait_xcnt 0x0
	v_add_nc_u64_e32 v[16:17], 0x2000, v[16:17]
	v_lshl_add_u64 v[64:65], v[26:27], 3, s[4:5]
	v_fmac_f64_e32 v[4:5], v[90:91], v[28:29]
	v_fmac_f64_e32 v[12:13], v[92:93], v[28:29]
	;; [unrolled: 1-line block ×4, first 2 shown]
	s_clause 0x1
	global_load_b128 v[26:29], v[64:65], off
	global_load_b128 v[42:45], v[42:43], off offset:16
	v_fmac_f64_e32 v[4:5], v[98:99], v[18:19]
	v_fmac_f64_e32 v[12:13], v[100:101], v[18:19]
	;; [unrolled: 1-line block ×4, first 2 shown]
	s_wait_loadcnt 0x9
	v_cvt_f64_f32_e32 v[18:19], v34
	v_fmac_f64_e32 v[4:5], v[62:63], v[20:21]
	global_load_b128 v[62:65], v[64:65], off offset:16
	v_fmac_f64_e32 v[12:13], v[66:67], v[20:21]
	v_fmac_f64_e32 v[6:7], v[68:69], v[20:21]
	;; [unrolled: 1-line block ×3, first 2 shown]
	v_cvt_f64_f32_e32 v[20:21], v35
	v_cvt_f64_f32_e32 v[34:35], v36
	;; [unrolled: 1-line block ×3, first 2 shown]
	s_wait_loadcnt 0x9
	v_cvt_f64_f32_e32 v[66:67], v52
	v_cvt_f64_f32_e32 v[52:53], v53
	s_wait_loadcnt 0x8
	v_fmac_f64_e32 v[4:5], v[72:73], v[38:39]
	v_fmac_f64_e32 v[12:13], v[74:75], v[38:39]
	;; [unrolled: 1-line block ×4, first 2 shown]
	v_cvt_f64_f32_e32 v[38:39], v50
	v_cvt_f64_f32_e32 v[50:51], v51
	v_fmac_f64_e32 v[4:5], v[18:19], v[40:41]
	s_wait_loadcnt 0x4
	v_cvt_f64_f32_e32 v[18:19], v22
	v_fmac_f64_e32 v[12:13], v[20:21], v[40:41]
	v_fmac_f64_e32 v[6:7], v[34:35], v[40:41]
	;; [unrolled: 1-line block ×3, first 2 shown]
	v_cvt_f64_f32_e32 v[20:21], v23
	v_cvt_f64_f32_e32 v[22:23], v24
	v_cvt_f64_f32_e32 v[24:25], v25
	v_cvt_f64_f32_e32 v[34:35], v46
	v_cvt_f64_f32_e32 v[36:37], v47
	v_cvt_f64_f32_e32 v[40:41], v49
	s_wait_loadcnt 0x1
	v_fmac_f64_e32 v[4:5], v[38:39], v[42:43]
	v_fmac_f64_e32 v[12:13], v[50:51], v[42:43]
	;; [unrolled: 1-line block ×4, first 2 shown]
	v_cvt_f64_f32_e32 v[38:39], v48
	v_fmac_f64_e32 v[4:5], v[18:19], v[44:45]
	v_fmac_f64_e32 v[12:13], v[20:21], v[44:45]
	v_fmac_f64_e32 v[6:7], v[22:23], v[44:45]
	v_fmac_f64_e32 v[0:1], v[24:25], v[44:45]
	v_cvt_f64_f32_e32 v[18:19], v54
	v_cvt_f64_f32_e32 v[20:21], v55
	v_cvt_f64_f32_e32 v[22:23], v56
	v_cvt_f64_f32_e32 v[24:25], v57
	v_fmac_f64_e32 v[4:5], v[34:35], v[26:27]
	v_fmac_f64_e32 v[12:13], v[36:37], v[26:27]
	v_fmac_f64_e32 v[6:7], v[38:39], v[26:27]
	v_fmac_f64_e32 v[0:1], v[40:41], v[26:27]
	v_cvt_f64_f32_e32 v[26:27], v30
	v_cvt_f64_f32_e32 v[30:31], v31
	v_cvt_f64_f32_e32 v[34:35], v32
	;; [unrolled: 8-line block ×3, first 2 shown]
	v_cvt_f64_f32_e32 v[24:25], v61
	s_wait_loadcnt 0x0
	v_fmac_f64_e32 v[4:5], v[26:27], v[62:63]
	v_fmac_f64_e32 v[12:13], v[30:31], v[62:63]
	v_fmac_f64_e32 v[6:7], v[34:35], v[62:63]
	v_fmac_f64_e32 v[0:1], v[32:33], v[62:63]
	s_delay_alu instid0(VALU_DEP_4) | instskip(NEXT) | instid1(VALU_DEP_4)
	v_fmac_f64_e32 v[4:5], v[18:19], v[64:65]
	v_fmac_f64_e32 v[12:13], v[20:21], v[64:65]
	s_delay_alu instid0(VALU_DEP_4) | instskip(NEXT) | instid1(VALU_DEP_4)
	v_fmac_f64_e32 v[6:7], v[22:23], v[64:65]
	v_fmac_f64_e32 v[0:1], v[24:25], v[64:65]
	s_and_not1_b32 exec_lo, exec_lo, s6
	s_cbranch_execnz .LBB153_33
; %bb.34:
	s_or_b32 exec_lo, exec_lo, s6
.LBB153_35:
	s_delay_alu instid0(SALU_CYCLE_1)
	s_or_b32 exec_lo, exec_lo, s2
.LBB153_36:
	s_delay_alu instid0(SALU_CYCLE_1)
	s_or_b32 exec_lo, exec_lo, s3
.LBB153_37:
	v_mbcnt_lo_u32_b32 v24, -1, 0
	s_delay_alu instid0(VALU_DEP_1) | instskip(NEXT) | instid1(VALU_DEP_1)
	v_xor_b32_e32 v14, 16, v24
	v_cmp_gt_i32_e32 vcc_lo, 32, v14
	v_cndmask_b32_e32 v14, v24, v14, vcc_lo
	s_delay_alu instid0(VALU_DEP_1)
	v_lshlrev_b32_e32 v21, 2, v14
	ds_bpermute_b32 v16, v21, v12
	ds_bpermute_b32 v17, v21, v13
	s_wait_dscnt 0x0
	v_add_f64_e32 v[12:13], v[12:13], v[16:17]
	ds_bpermute_b32 v14, v21, v4
	ds_bpermute_b32 v15, v21, v5
	;; [unrolled: 1-line block ×6, first 2 shown]
	s_wait_dscnt 0x4
	v_dual_add_f64 v[4:5], v[4:5], v[14:15] :: v_dual_bitop2_b32 v14, 8, v24 bitop3:0x14
	s_wait_dscnt 0x2
	v_add_f64_e32 v[6:7], v[6:7], v[18:19]
	s_delay_alu instid0(VALU_DEP_2) | instskip(SKIP_2) | instid1(VALU_DEP_1)
	v_cmp_gt_i32_e32 vcc_lo, 32, v14
	v_cndmask_b32_e32 v14, v24, v14, vcc_lo
	s_wait_dscnt 0x0
	v_dual_add_f64 v[0:1], v[0:1], v[20:21] :: v_dual_lshlrev_b32 v21, 2, v14
	ds_bpermute_b32 v16, v21, v12
	ds_bpermute_b32 v17, v21, v13
	;; [unrolled: 1-line block ×8, first 2 shown]
	s_wait_dscnt 0x4
	v_dual_add_f64 v[4:5], v[4:5], v[14:15] :: v_dual_bitop2_b32 v14, 4, v24 bitop3:0x14
	s_wait_dscnt 0x2
	v_add_f64_e32 v[6:7], v[6:7], v[18:19]
	s_delay_alu instid0(VALU_DEP_2) | instskip(SKIP_3) | instid1(VALU_DEP_2)
	v_cmp_gt_i32_e32 vcc_lo, 32, v14
	v_cndmask_b32_e32 v14, v24, v14, vcc_lo
	v_add_f64_e32 v[12:13], v[12:13], v[16:17]
	s_wait_dscnt 0x0
	v_dual_add_f64 v[0:1], v[0:1], v[20:21] :: v_dual_lshlrev_b32 v21, 2, v14
	ds_bpermute_b32 v14, v21, v4
	ds_bpermute_b32 v15, v21, v5
	ds_bpermute_b32 v18, v21, v6
	ds_bpermute_b32 v19, v21, v7
	ds_bpermute_b32 v16, v21, v12
	ds_bpermute_b32 v17, v21, v13
	ds_bpermute_b32 v20, v21, v0
	ds_bpermute_b32 v21, v21, v1
	s_wait_dscnt 0x6
	v_add_f64_e32 v[4:5], v[4:5], v[14:15]
	s_wait_dscnt 0x2
	v_add_f64_e32 v[14:15], v[12:13], v[16:17]
	v_add_f64_e32 v[16:17], v[6:7], v[18:19]
	s_wait_dscnt 0x0
	v_add_f64_e32 v[18:19], v[0:1], v[20:21]
	v_xor_b32_e32 v0, 2, v24
	s_delay_alu instid0(VALU_DEP_1) | instskip(SKIP_1) | instid1(VALU_DEP_1)
	v_cmp_gt_i32_e32 vcc_lo, 32, v0
	v_cndmask_b32_e32 v0, v24, v0, vcc_lo
	v_lshlrev_b32_e32 v12, 2, v0
	ds_bpermute_b32 v6, v12, v14
	ds_bpermute_b32 v7, v12, v15
	ds_bpermute_b32 v20, v12, v16
	ds_bpermute_b32 v21, v12, v17
	ds_bpermute_b32 v22, v12, v18
	ds_bpermute_b32 v23, v12, v19
	s_wait_dscnt 0x4
	v_dual_add_f64 v[6:7], v[14:15], v[6:7] :: v_dual_bitop2_b32 v14, 1, v24 bitop3:0x14
	ds_bpermute_b32 v0, v12, v4
	ds_bpermute_b32 v1, v12, v5
	v_cmp_gt_i32_e32 vcc_lo, 32, v14
	v_cndmask_b32_e32 v14, v24, v14, vcc_lo
	v_cmp_eq_u32_e32 vcc_lo, 31, v11
	s_wait_dscnt 0x0
	s_delay_alu instid0(VALU_DEP_2)
	v_dual_add_f64 v[12:13], v[4:5], v[0:1] :: v_dual_lshlrev_b32 v15, 2, v14
	v_add_f64_e32 v[0:1], v[16:17], v[20:21]
	v_add_f64_e32 v[4:5], v[18:19], v[22:23]
	ds_bpermute_b32 v18, v15, v6
	ds_bpermute_b32 v19, v15, v7
	;; [unrolled: 1-line block ×8, first 2 shown]
	s_and_b32 exec_lo, exec_lo, vcc_lo
	s_cbranch_execz .LBB153_10
; %bb.38:
	s_wait_dscnt 0x4
	v_dual_add_f64 v[12:13], v[12:13], v[20:21] :: v_dual_lshlrev_b32 v10, 2, v10
	v_add_f64_e32 v[6:7], v[6:7], v[18:19]
	s_wait_dscnt 0x2
	v_add_f64_e32 v[0:1], v[0:1], v[16:17]
	s_wait_dscnt 0x0
	v_add_f64_e32 v[14:15], v[4:5], v[14:15]
	s_load_b64 s[0:1], s[0:1], 0x50
	s_mov_b32 s2, exec_lo
	s_delay_alu instid0(VALU_DEP_4) | instskip(NEXT) | instid1(VALU_DEP_4)
	v_mul_f64_e32 v[4:5], v[2:3], v[12:13]
	v_mul_f64_e32 v[6:7], v[2:3], v[6:7]
	s_delay_alu instid0(VALU_DEP_4) | instskip(NEXT) | instid1(VALU_DEP_4)
	v_mul_f64_e32 v[0:1], v[2:3], v[0:1]
	v_mul_f64_e32 v[2:3], v[2:3], v[14:15]
	v_cmpx_eq_f64_e32 0, v[8:9]
	s_xor_b32 s2, exec_lo, s2
	s_cbranch_execz .LBB153_40
; %bb.39:
	v_ashrrev_i32_e32 v11, 31, v10
	s_wait_kmcnt 0x0
	s_delay_alu instid0(VALU_DEP_1)
	v_lshl_add_u64 v[8:9], v[10:11], 3, s[0:1]
                                        ; implicit-def: $vgpr10
	s_clause 0x1
	global_store_b128 v[8:9], v[4:7], off
	global_store_b128 v[8:9], v[0:3], off offset:16
                                        ; implicit-def: $vgpr8_vgpr9
                                        ; implicit-def: $vgpr4_vgpr5
                                        ; implicit-def: $vgpr0_vgpr1
.LBB153_40:
	s_wait_xcnt 0x0
	s_and_not1_saveexec_b32 s2, s2
	s_cbranch_execz .LBB153_10
; %bb.41:
	v_ashrrev_i32_e32 v11, 31, v10
	s_wait_kmcnt 0x0
	s_delay_alu instid0(VALU_DEP_1)
	v_lshl_add_u64 v[18:19], v[10:11], 3, s[0:1]
	s_clause 0x1
	global_load_b128 v[10:13], v[18:19], off
	global_load_b128 v[14:17], v[18:19], off offset:16
	s_wait_loadcnt 0x1
	v_fmac_f64_e32 v[4:5], v[8:9], v[10:11]
	v_fmac_f64_e32 v[6:7], v[8:9], v[12:13]
	s_wait_loadcnt 0x0
	v_fmac_f64_e32 v[0:1], v[8:9], v[14:15]
	v_fmac_f64_e32 v[2:3], v[8:9], v[16:17]
	s_clause 0x1
	global_store_b128 v[18:19], v[4:7], off
	global_store_b128 v[18:19], v[0:3], off offset:16
	s_sendmsg sendmsg(MSG_DEALLOC_VGPRS)
	s_endpgm
	.section	.rodata,"a",@progbits
	.p2align	6, 0x0
	.amdhsa_kernel _ZN9rocsparseL18bsrxmvn_4x4_kernelILj128ELj32EdiifddEEvT3_20rocsparse_direction_NS_24const_host_device_scalarIT1_EES1_PKS1_PKT2_SA_S7_PKT4_PKT5_S5_PT6_21rocsparse_index_base_b
		.amdhsa_group_segment_fixed_size 0
		.amdhsa_private_segment_fixed_size 0
		.amdhsa_kernarg_size 96
		.amdhsa_user_sgpr_count 2
		.amdhsa_user_sgpr_dispatch_ptr 0
		.amdhsa_user_sgpr_queue_ptr 0
		.amdhsa_user_sgpr_kernarg_segment_ptr 1
		.amdhsa_user_sgpr_dispatch_id 0
		.amdhsa_user_sgpr_kernarg_preload_length 0
		.amdhsa_user_sgpr_kernarg_preload_offset 0
		.amdhsa_user_sgpr_private_segment_size 0
		.amdhsa_wavefront_size32 1
		.amdhsa_uses_dynamic_stack 0
		.amdhsa_enable_private_segment 0
		.amdhsa_system_sgpr_workgroup_id_x 1
		.amdhsa_system_sgpr_workgroup_id_y 0
		.amdhsa_system_sgpr_workgroup_id_z 0
		.amdhsa_system_sgpr_workgroup_info 0
		.amdhsa_system_vgpr_workitem_id 0
		.amdhsa_next_free_vgpr 108
		.amdhsa_next_free_sgpr 14
		.amdhsa_named_barrier_count 0
		.amdhsa_reserve_vcc 1
		.amdhsa_float_round_mode_32 0
		.amdhsa_float_round_mode_16_64 0
		.amdhsa_float_denorm_mode_32 3
		.amdhsa_float_denorm_mode_16_64 3
		.amdhsa_fp16_overflow 0
		.amdhsa_memory_ordered 1
		.amdhsa_forward_progress 1
		.amdhsa_inst_pref_size 37
		.amdhsa_round_robin_scheduling 0
		.amdhsa_exception_fp_ieee_invalid_op 0
		.amdhsa_exception_fp_denorm_src 0
		.amdhsa_exception_fp_ieee_div_zero 0
		.amdhsa_exception_fp_ieee_overflow 0
		.amdhsa_exception_fp_ieee_underflow 0
		.amdhsa_exception_fp_ieee_inexact 0
		.amdhsa_exception_int_div_zero 0
	.end_amdhsa_kernel
	.section	.text._ZN9rocsparseL18bsrxmvn_4x4_kernelILj128ELj32EdiifddEEvT3_20rocsparse_direction_NS_24const_host_device_scalarIT1_EES1_PKS1_PKT2_SA_S7_PKT4_PKT5_S5_PT6_21rocsparse_index_base_b,"axG",@progbits,_ZN9rocsparseL18bsrxmvn_4x4_kernelILj128ELj32EdiifddEEvT3_20rocsparse_direction_NS_24const_host_device_scalarIT1_EES1_PKS1_PKT2_SA_S7_PKT4_PKT5_S5_PT6_21rocsparse_index_base_b,comdat
.Lfunc_end153:
	.size	_ZN9rocsparseL18bsrxmvn_4x4_kernelILj128ELj32EdiifddEEvT3_20rocsparse_direction_NS_24const_host_device_scalarIT1_EES1_PKS1_PKT2_SA_S7_PKT4_PKT5_S5_PT6_21rocsparse_index_base_b, .Lfunc_end153-_ZN9rocsparseL18bsrxmvn_4x4_kernelILj128ELj32EdiifddEEvT3_20rocsparse_direction_NS_24const_host_device_scalarIT1_EES1_PKS1_PKT2_SA_S7_PKT4_PKT5_S5_PT6_21rocsparse_index_base_b
                                        ; -- End function
	.set _ZN9rocsparseL18bsrxmvn_4x4_kernelILj128ELj32EdiifddEEvT3_20rocsparse_direction_NS_24const_host_device_scalarIT1_EES1_PKS1_PKT2_SA_S7_PKT4_PKT5_S5_PT6_21rocsparse_index_base_b.num_vgpr, 108
	.set _ZN9rocsparseL18bsrxmvn_4x4_kernelILj128ELj32EdiifddEEvT3_20rocsparse_direction_NS_24const_host_device_scalarIT1_EES1_PKS1_PKT2_SA_S7_PKT4_PKT5_S5_PT6_21rocsparse_index_base_b.num_agpr, 0
	.set _ZN9rocsparseL18bsrxmvn_4x4_kernelILj128ELj32EdiifddEEvT3_20rocsparse_direction_NS_24const_host_device_scalarIT1_EES1_PKS1_PKT2_SA_S7_PKT4_PKT5_S5_PT6_21rocsparse_index_base_b.numbered_sgpr, 14
	.set _ZN9rocsparseL18bsrxmvn_4x4_kernelILj128ELj32EdiifddEEvT3_20rocsparse_direction_NS_24const_host_device_scalarIT1_EES1_PKS1_PKT2_SA_S7_PKT4_PKT5_S5_PT6_21rocsparse_index_base_b.num_named_barrier, 0
	.set _ZN9rocsparseL18bsrxmvn_4x4_kernelILj128ELj32EdiifddEEvT3_20rocsparse_direction_NS_24const_host_device_scalarIT1_EES1_PKS1_PKT2_SA_S7_PKT4_PKT5_S5_PT6_21rocsparse_index_base_b.private_seg_size, 0
	.set _ZN9rocsparseL18bsrxmvn_4x4_kernelILj128ELj32EdiifddEEvT3_20rocsparse_direction_NS_24const_host_device_scalarIT1_EES1_PKS1_PKT2_SA_S7_PKT4_PKT5_S5_PT6_21rocsparse_index_base_b.uses_vcc, 1
	.set _ZN9rocsparseL18bsrxmvn_4x4_kernelILj128ELj32EdiifddEEvT3_20rocsparse_direction_NS_24const_host_device_scalarIT1_EES1_PKS1_PKT2_SA_S7_PKT4_PKT5_S5_PT6_21rocsparse_index_base_b.uses_flat_scratch, 0
	.set _ZN9rocsparseL18bsrxmvn_4x4_kernelILj128ELj32EdiifddEEvT3_20rocsparse_direction_NS_24const_host_device_scalarIT1_EES1_PKS1_PKT2_SA_S7_PKT4_PKT5_S5_PT6_21rocsparse_index_base_b.has_dyn_sized_stack, 0
	.set _ZN9rocsparseL18bsrxmvn_4x4_kernelILj128ELj32EdiifddEEvT3_20rocsparse_direction_NS_24const_host_device_scalarIT1_EES1_PKS1_PKT2_SA_S7_PKT4_PKT5_S5_PT6_21rocsparse_index_base_b.has_recursion, 0
	.set _ZN9rocsparseL18bsrxmvn_4x4_kernelILj128ELj32EdiifddEEvT3_20rocsparse_direction_NS_24const_host_device_scalarIT1_EES1_PKS1_PKT2_SA_S7_PKT4_PKT5_S5_PT6_21rocsparse_index_base_b.has_indirect_call, 0
	.section	.AMDGPU.csdata,"",@progbits
; Kernel info:
; codeLenInByte = 4632
; TotalNumSgprs: 16
; NumVgprs: 108
; ScratchSize: 0
; MemoryBound: 0
; FloatMode: 240
; IeeeMode: 1
; LDSByteSize: 0 bytes/workgroup (compile time only)
; SGPRBlocks: 0
; VGPRBlocks: 6
; NumSGPRsForWavesPerEU: 16
; NumVGPRsForWavesPerEU: 108
; NamedBarCnt: 0
; Occupancy: 9
; WaveLimiterHint : 1
; COMPUTE_PGM_RSRC2:SCRATCH_EN: 0
; COMPUTE_PGM_RSRC2:USER_SGPR: 2
; COMPUTE_PGM_RSRC2:TRAP_HANDLER: 0
; COMPUTE_PGM_RSRC2:TGID_X_EN: 1
; COMPUTE_PGM_RSRC2:TGID_Y_EN: 0
; COMPUTE_PGM_RSRC2:TGID_Z_EN: 0
; COMPUTE_PGM_RSRC2:TIDIG_COMP_CNT: 0
	.section	.text._ZN9rocsparseL18bsrxmvn_4x4_kernelILj128ELj64EdiifddEEvT3_20rocsparse_direction_NS_24const_host_device_scalarIT1_EES1_PKS1_PKT2_SA_S7_PKT4_PKT5_S5_PT6_21rocsparse_index_base_b,"axG",@progbits,_ZN9rocsparseL18bsrxmvn_4x4_kernelILj128ELj64EdiifddEEvT3_20rocsparse_direction_NS_24const_host_device_scalarIT1_EES1_PKS1_PKT2_SA_S7_PKT4_PKT5_S5_PT6_21rocsparse_index_base_b,comdat
	.globl	_ZN9rocsparseL18bsrxmvn_4x4_kernelILj128ELj64EdiifddEEvT3_20rocsparse_direction_NS_24const_host_device_scalarIT1_EES1_PKS1_PKT2_SA_S7_PKT4_PKT5_S5_PT6_21rocsparse_index_base_b ; -- Begin function _ZN9rocsparseL18bsrxmvn_4x4_kernelILj128ELj64EdiifddEEvT3_20rocsparse_direction_NS_24const_host_device_scalarIT1_EES1_PKS1_PKT2_SA_S7_PKT4_PKT5_S5_PT6_21rocsparse_index_base_b
	.p2align	8
	.type	_ZN9rocsparseL18bsrxmvn_4x4_kernelILj128ELj64EdiifddEEvT3_20rocsparse_direction_NS_24const_host_device_scalarIT1_EES1_PKS1_PKT2_SA_S7_PKT4_PKT5_S5_PT6_21rocsparse_index_base_b,@function
_ZN9rocsparseL18bsrxmvn_4x4_kernelILj128ELj64EdiifddEEvT3_20rocsparse_direction_NS_24const_host_device_scalarIT1_EES1_PKS1_PKT2_SA_S7_PKT4_PKT5_S5_PT6_21rocsparse_index_base_b: ; @_ZN9rocsparseL18bsrxmvn_4x4_kernelILj128ELj64EdiifddEEvT3_20rocsparse_direction_NS_24const_host_device_scalarIT1_EES1_PKS1_PKT2_SA_S7_PKT4_PKT5_S5_PT6_21rocsparse_index_base_b
; %bb.0:
	s_clause 0x2
	s_load_b64 s[12:13], s[0:1], 0x58
	s_load_b64 s[4:5], s[0:1], 0x8
	;; [unrolled: 1-line block ×3, first 2 shown]
	s_wait_kmcnt 0x0
	s_bitcmp1_b32 s13, 0
	v_mov_b64_e32 v[2:3], s[4:5]
	s_cselect_b32 s6, -1, 0
	s_delay_alu instid0(SALU_CYCLE_1)
	s_and_b32 vcc_lo, exec_lo, s6
	s_xor_b32 s6, s6, -1
	s_cbranch_vccnz .LBB154_2
; %bb.1:
	v_mov_b32_e32 v1, 0
	flat_load_b64 v[2:3], v1, s[4:5]
.LBB154_2:
	v_mov_b64_e32 v[8:9], s[2:3]
	s_and_not1_b32 vcc_lo, exec_lo, s6
	s_cbranch_vccnz .LBB154_4
; %bb.3:
	s_wait_xcnt 0x0
	v_mov_b32_e32 v1, 0
	flat_load_b64 v[8:9], v1, s[2:3]
.LBB154_4:
	s_wait_loadcnt_dscnt 0x0
	v_cmp_neq_f64_e32 vcc_lo, 0, v[2:3]
	s_delay_alu instid0(VALU_DEP_2) | instskip(SKIP_1) | instid1(SALU_CYCLE_1)
	v_cmp_neq_f64_e64 s2, 1.0, v[8:9]
	s_or_b32 s2, vcc_lo, s2
	s_and_saveexec_b32 s3, s2
	s_cbranch_execz .LBB154_10
; %bb.5:
	s_clause 0x1
	s_load_b64 s[4:5], s[0:1], 0x18
	s_load_b64 s[2:3], s[0:1], 0x0
	s_bfe_u32 s6, ttmp6, 0x4000c
	s_and_b32 s7, ttmp6, 15
	s_add_co_i32 s6, s6, 1
	s_getreg_b32 s8, hwreg(HW_REG_IB_STS2, 6, 4)
	s_mul_i32 s6, ttmp9, s6
	v_lshrrev_b32_e32 v1, 6, v0
	s_add_co_i32 s7, s7, s6
	s_cmp_eq_u32 s8, 0
	s_cselect_b32 s6, ttmp9, s7
	s_delay_alu instid0(VALU_DEP_1) | instid1(SALU_CYCLE_1)
	v_lshl_or_b32 v10, s6, 1, v1
	s_mov_b32 s6, 0
	s_wait_kmcnt 0x0
	s_cmp_lg_u64 s[4:5], 0
	s_cbranch_scc0 .LBB154_11
; %bb.6:
	s_load_b32 s6, s[0:1], 0x10
	s_mov_b32 s7, 0
                                        ; implicit-def: $vgpr1
	s_wait_kmcnt 0x0
	v_cmp_gt_i32_e32 vcc_lo, s6, v10
	s_mov_b32 s6, 0
	s_and_saveexec_b32 s8, vcc_lo
	s_delay_alu instid0(SALU_CYCLE_1)
	s_xor_b32 s8, exec_lo, s8
	s_cbranch_execz .LBB154_8
; %bb.7:
	global_load_b32 v1, v10, s[4:5] scale_offset
	s_mov_b32 s6, exec_lo
	s_wait_loadcnt 0x0
	v_subrev_nc_u32_e32 v1, s12, v1
.LBB154_8:
	s_or_b32 exec_lo, exec_lo, s8
	s_delay_alu instid0(SALU_CYCLE_1)
	s_and_b32 vcc_lo, exec_lo, s7
	s_cbranch_vccz .LBB154_12
.LBB154_9:
	v_cmp_gt_i32_e32 vcc_lo, s2, v10
	s_and_not1_b32 s2, s6, exec_lo
	s_and_b32 s4, vcc_lo, exec_lo
	s_delay_alu instid0(SALU_CYCLE_1) | instskip(NEXT) | instid1(SALU_CYCLE_1)
	s_or_b32 s6, s2, s4
	s_and_b32 exec_lo, exec_lo, s6
	s_cbranch_execnz .LBB154_13
.LBB154_10:
	s_sendmsg sendmsg(MSG_DEALLOC_VGPRS)
	s_endpgm
.LBB154_11:
                                        ; implicit-def: $vgpr1
	s_cbranch_execnz .LBB154_9
.LBB154_12:
	s_delay_alu instid0(VALU_DEP_1)
	v_mov_b32_e32 v10, v1
	s_and_b32 exec_lo, exec_lo, s6
	s_cbranch_execz .LBB154_10
.LBB154_13:
	s_load_b256 s[4:11], s[0:1], 0x20
	s_wait_kmcnt 0x0
	s_cmp_eq_u64 s[6:7], 0
	global_load_b32 v20, v10, s[4:5] scale_offset
	s_cselect_b32 vcc_lo, -1, 0
	v_ashrrev_i32_e32 v11, 31, v10
	s_cmp_eq_u32 s3, 1
	s_delay_alu instid0(VALU_DEP_1) | instskip(SKIP_1) | instid1(VALU_DEP_2)
	v_lshlrev_b64_e32 v[4:5], 2, v[10:11]
	v_and_b32_e32 v11, 63, v0
	v_add_nc_u64_e32 v[6:7], s[4:5], v[4:5]
	v_add_nc_u64_e32 v[4:5], s[6:7], v[4:5]
	s_wait_xcnt 0x0
	s_load_b64 s[4:5], s[0:1], 0x40
	s_delay_alu instid0(VALU_DEP_2) | instskip(NEXT) | instid1(VALU_DEP_1)
	v_add_nc_u64_e32 v[6:7], 4, v[6:7]
	v_dual_cndmask_b32 v5, v5, v7 :: v_dual_cndmask_b32 v4, v4, v6
	global_load_b32 v4, v[4:5], off
	s_wait_loadcnt 0x1
	v_subrev_nc_u32_e32 v0, s12, v20
	s_delay_alu instid0(VALU_DEP_1) | instskip(NEXT) | instid1(VALU_DEP_1)
	v_add_nc_u32_e32 v14, v0, v11
	v_ashrrev_i32_e32 v15, 31, v14
	s_delay_alu instid0(VALU_DEP_1) | instskip(NEXT) | instid1(VALU_DEP_1)
	v_lshlrev_b64_e32 v[0:1], 6, v[14:15]
	v_add_nc_u64_e32 v[16:17], s[10:11], v[0:1]
	s_wait_loadcnt 0x0
	v_subrev_nc_u32_e32 v15, s12, v4
	s_delay_alu instid0(VALU_DEP_1)
	v_cmp_lt_i32_e64 s2, v14, v15
	s_cbranch_scc1 .LBB154_25
; %bb.14:
	v_mov_b64_e32 v[0:1], 0
	v_mov_b64_e32 v[6:7], 0
	;; [unrolled: 1-line block ×4, first 2 shown]
	s_and_saveexec_b32 s3, s2
	s_cbranch_execz .LBB154_24
; %bb.15:
	v_dual_mov_b32 v21, v14 :: v_dual_add_nc_u32 v0, v20, v11
	v_not_b32_e32 v1, v20
	v_mov_b64_e32 v[4:5], 0
	v_mov_b64_e32 v[12:13], 0
	s_delay_alu instid0(VALU_DEP_4) | instskip(SKIP_1) | instid1(VALU_DEP_2)
	v_subrev_nc_u32_e32 v0, s12, v0
	v_mov_b64_e32 v[6:7], 0
	v_add_max_i32_e64 v0, v0, 64, v15
	s_delay_alu instid0(VALU_DEP_1) | instskip(NEXT) | instid1(VALU_DEP_1)
	v_add3_u32 v0, s12, v0, v1
	v_sub_nc_u32_e32 v22, v0, v11
	v_mov_b64_e32 v[0:1], 0
	s_delay_alu instid0(VALU_DEP_2) | instskip(NEXT) | instid1(VALU_DEP_1)
	v_and_b32_e32 v18, 0xc0, v22
	v_cmp_ne_u32_e32 vcc_lo, 0xc0, v18
	v_mov_b64_e32 v[18:19], v[16:17]
	s_and_saveexec_b32 s6, vcc_lo
	s_cbranch_execz .LBB154_19
; %bb.16:
	v_lshrrev_b32_e32 v0, 6, v22
	v_mov_b64_e32 v[18:19], v[16:17]
	v_mov_b64_e32 v[6:7], 0
	;; [unrolled: 1-line block ×3, first 2 shown]
	s_mov_b32 s7, 0
	v_add_nc_u32_e32 v4, 1, v0
	v_mov_b64_e32 v[0:1], 0
	s_delay_alu instid0(VALU_DEP_2) | instskip(SKIP_1) | instid1(VALU_DEP_2)
	v_and_b32_e32 v21, 3, v4
	v_mov_b64_e32 v[4:5], 0
	v_dual_sub_nc_u32 v23, 0, v21 :: v_dual_mov_b32 v21, v14
.LBB154_17:                             ; =>This Inner Loop Header: Depth=1
	global_load_b32 v40, v21, s[8:9] scale_offset
	s_clause 0x3
	global_load_b128 v[24:27], v[18:19], off
	global_load_b128 v[28:31], v[18:19], off offset:16
	global_load_b128 v[32:35], v[18:19], off offset:32
	;; [unrolled: 1-line block ×3, first 2 shown]
	s_wait_xcnt 0x0
	v_add_nc_u64_e32 v[18:19], 0x1000, v[18:19]
	v_add_co_u32 v23, s10, v23, 1
	s_or_b32 s7, s10, s7
	v_add_nc_u32_e32 v21, 64, v21
	s_wait_loadcnt 0x4
	v_subrev_nc_u32_e32 v40, s12, v40
	s_wait_loadcnt 0x2
	v_cvt_f64_f32_e32 v[50:51], v28
	s_wait_loadcnt 0x1
	v_cvt_f64_f32_e32 v[52:53], v32
	;; [unrolled: 2-line block ×3, first 2 shown]
	v_lshlrev_b32_e32 v40, 2, v40
	v_cvt_f64_f32_e32 v[28:29], v29
	v_cvt_f64_f32_e32 v[32:33], v33
	v_cvt_f64_f32_e32 v[36:37], v37
	s_delay_alu instid0(VALU_DEP_4) | instskip(SKIP_1) | instid1(VALU_DEP_1)
	v_ashrrev_i32_e32 v41, 31, v40
	s_wait_kmcnt 0x0
	v_lshl_add_u64 v[48:49], v[40:41], 3, s[4:5]
	s_clause 0x1
	global_load_b128 v[40:43], v[48:49], off
	global_load_b128 v[44:47], v[48:49], off offset:16
	s_wait_xcnt 0x0
	v_cvt_f64_f32_e32 v[48:49], v24
	v_cvt_f64_f32_e32 v[24:25], v25
	s_wait_loadcnt 0x1
	s_delay_alu instid0(VALU_DEP_2)
	v_fmac_f64_e32 v[4:5], v[48:49], v[40:41]
	v_fmac_f64_e32 v[12:13], v[50:51], v[40:41]
	;; [unrolled: 1-line block ×4, first 2 shown]
	v_cvt_f64_f32_e32 v[40:41], v26
	v_cvt_f64_f32_e32 v[48:49], v30
	;; [unrolled: 1-line block ×4, first 2 shown]
	v_fmac_f64_e32 v[4:5], v[24:25], v[42:43]
	v_fmac_f64_e32 v[12:13], v[28:29], v[42:43]
	;; [unrolled: 1-line block ×4, first 2 shown]
	v_cvt_f64_f32_e32 v[24:25], v27
	v_cvt_f64_f32_e32 v[26:27], v31
	;; [unrolled: 1-line block ×4, first 2 shown]
	s_wait_loadcnt 0x0
	v_fmac_f64_e32 v[4:5], v[40:41], v[44:45]
	v_fmac_f64_e32 v[12:13], v[48:49], v[44:45]
	;; [unrolled: 1-line block ×4, first 2 shown]
	s_delay_alu instid0(VALU_DEP_4) | instskip(NEXT) | instid1(VALU_DEP_4)
	v_fmac_f64_e32 v[4:5], v[24:25], v[46:47]
	v_fmac_f64_e32 v[12:13], v[26:27], v[46:47]
	s_delay_alu instid0(VALU_DEP_4) | instskip(NEXT) | instid1(VALU_DEP_4)
	v_fmac_f64_e32 v[6:7], v[28:29], v[46:47]
	v_fmac_f64_e32 v[0:1], v[30:31], v[46:47]
	s_and_not1_b32 exec_lo, exec_lo, s7
	s_cbranch_execnz .LBB154_17
; %bb.18:
	s_or_b32 exec_lo, exec_lo, s7
.LBB154_19:
	s_delay_alu instid0(SALU_CYCLE_1) | instskip(NEXT) | instid1(SALU_CYCLE_1)
	s_or_b32 exec_lo, exec_lo, s6
	s_mov_b32 s6, exec_lo
	v_cmpx_lt_u32_e32 0xbf, v22
	s_cbranch_execz .LBB154_23
; %bb.20:
	s_mov_b32 s7, 0
.LBB154_21:                             ; =>This Inner Loop Header: Depth=1
	s_clause 0x1
	global_load_b32 v38, v21, s[8:9] scale_offset
	global_load_b32 v64, v21, s[8:9] offset:256 scale_offset
	s_clause 0x3
	global_load_b128 v[22:25], v[18:19], off
	global_load_b128 v[26:29], v[18:19], off offset:16
	global_load_b128 v[30:33], v[18:19], off offset:48
	;; [unrolled: 1-line block ×3, first 2 shown]
	s_clause 0x1
	global_load_b32 v98, v21, s[8:9] offset:512 scale_offset
	global_load_b32 v102, v21, s[8:9] offset:768 scale_offset
	s_wait_xcnt 0x0
	v_add_nc_u32_e32 v21, 0x100, v21
	s_delay_alu instid0(VALU_DEP_1)
	v_cmp_ge_i32_e32 vcc_lo, v21, v15
	s_or_b32 s7, vcc_lo, s7
	s_wait_loadcnt 0x7
	v_subrev_nc_u32_e32 v38, s12, v38
	s_wait_loadcnt 0x4
	v_cvt_f64_f32_e32 v[92:93], v26
	s_wait_loadcnt 0x3
	v_cvt_f64_f32_e32 v[96:97], v30
	v_lshlrev_b32_e32 v38, 2, v38
	s_wait_loadcnt 0x1
	v_subrev_nc_u32_e32 v26, s12, v98
	v_cvt_f64_f32_e32 v[94:95], v34
	v_cvt_f64_f32_e32 v[100:101], v33
	v_ashrrev_i32_e32 v39, 31, v38
	s_wait_kmcnt 0x0
	s_delay_alu instid0(VALU_DEP_1)
	v_lshl_add_u64 v[62:63], v[38:39], 3, s[4:5]
	s_clause 0x1
	global_load_b128 v[38:41], v[62:63], off
	global_load_b128 v[42:45], v[62:63], off offset:16
	s_clause 0x3
	global_load_b128 v[46:49], v[18:19], off offset:4096
	global_load_b128 v[50:53], v[18:19], off offset:4112
	;; [unrolled: 1-line block ×4, first 2 shown]
	s_wait_xcnt 0x4
	v_subrev_nc_u32_e32 v62, s12, v64
	s_delay_alu instid0(VALU_DEP_1) | instskip(NEXT) | instid1(VALU_DEP_1)
	v_lshlrev_b32_e32 v62, 2, v62
	v_ashrrev_i32_e32 v63, 31, v62
	s_delay_alu instid0(VALU_DEP_1)
	v_lshl_add_u64 v[90:91], v[62:63], 3, s[4:5]
	global_load_b128 v[62:65], v[90:91], off
	s_clause 0x4
	global_load_b128 v[66:69], v[18:19], off offset:8240
	global_load_b128 v[70:73], v[18:19], off offset:8224
	global_load_b128 v[74:77], v[18:19], off offset:8208
	global_load_b128 v[78:81], v[18:19], off offset:8192
	global_load_b128 v[82:85], v[18:19], off offset:12304
	global_load_b128 v[86:89], v[90:91], off offset:16
	s_wait_xcnt 0x0
	v_cvt_f64_f32_e32 v[90:91], v22
	v_cvt_f64_f32_e32 v[22:23], v23
	s_wait_loadcnt 0xc
	s_delay_alu instid0(VALU_DEP_2)
	v_fmac_f64_e32 v[4:5], v[90:91], v[38:39]
	v_lshlrev_b32_e32 v90, 2, v26
	v_fmac_f64_e32 v[12:13], v[92:93], v[38:39]
	v_cvt_f64_f32_e32 v[26:27], v27
	v_fmac_f64_e32 v[6:7], v[94:95], v[38:39]
	v_fmac_f64_e32 v[0:1], v[96:97], v[38:39]
	v_ashrrev_i32_e32 v91, 31, v90
	v_cvt_f64_f32_e32 v[96:97], v36
	v_cvt_f64_f32_e32 v[94:95], v29
	s_delay_alu instid0(VALU_DEP_3)
	v_lshl_add_u64 v[98:99], v[90:91], 3, s[4:5]
	global_load_b128 v[90:93], v[98:99], off
	v_fmac_f64_e32 v[4:5], v[22:23], v[40:41]
	v_cvt_f64_f32_e32 v[22:23], v35
	v_cvt_f64_f32_e32 v[34:35], v25
	v_fmac_f64_e32 v[12:13], v[26:27], v[40:41]
	v_cvt_f64_f32_e32 v[26:27], v31
	v_cvt_f64_f32_e32 v[30:31], v28
	v_fmac_f64_e32 v[6:7], v[22:23], v[40:41]
	s_delay_alu instid0(VALU_DEP_3)
	v_fmac_f64_e32 v[0:1], v[26:27], v[40:41]
	v_cvt_f64_f32_e32 v[26:27], v24
	global_load_b128 v[22:25], v[98:99], off offset:16
	global_load_b128 v[38:41], v[18:19], off offset:12288
	s_wait_xcnt 0x1
	v_cvt_f64_f32_e32 v[98:99], v37
	v_cvt_f64_f32_e32 v[36:37], v32
	s_wait_loadcnt 0xe
	v_fmac_f64_e32 v[12:13], v[30:31], v[42:43]
	global_load_b128 v[30:33], v[18:19], off offset:12336
	v_fmac_f64_e32 v[6:7], v[96:97], v[42:43]
	v_subrev_nc_u32_e32 v96, s12, v102
	v_fmac_f64_e32 v[4:5], v[26:27], v[42:43]
	global_load_b128 v[26:29], v[18:19], off offset:12320
	v_lshlrev_b32_e32 v96, 2, v96
	s_wait_xcnt 0x0
	v_add_nc_u64_e32 v[18:19], 0x4000, v[18:19]
	v_fmac_f64_e32 v[0:1], v[36:37], v[42:43]
	v_fmac_f64_e32 v[12:13], v[94:95], v[44:45]
	s_wait_loadcnt 0xf
	v_cvt_f64_f32_e32 v[42:43], v46
	v_ashrrev_i32_e32 v97, 31, v96
	s_wait_loadcnt 0xe
	v_cvt_f64_f32_e32 v[94:95], v50
	v_cvt_f64_f32_e32 v[46:47], v47
	;; [unrolled: 1-line block ×3, first 2 shown]
	v_lshl_add_u64 v[96:97], v[96:97], 3, s[4:5]
	v_fmac_f64_e32 v[6:7], v[98:99], v[44:45]
	s_wait_loadcnt 0xc
	v_cvt_f64_f32_e32 v[98:99], v58
	v_cvt_f64_f32_e32 v[58:59], v59
	v_fmac_f64_e32 v[4:5], v[34:35], v[44:45]
	global_load_b128 v[34:37], v[96:97], off
	v_fmac_f64_e32 v[0:1], v[100:101], v[44:45]
	v_cvt_f64_f32_e32 v[44:45], v54
	v_cvt_f64_f32_e32 v[54:55], v55
	s_wait_loadcnt 0xc
	v_fmac_f64_e32 v[12:13], v[94:95], v[62:63]
	v_fmac_f64_e32 v[4:5], v[42:43], v[62:63]
	;; [unrolled: 1-line block ×4, first 2 shown]
	global_load_b128 v[42:45], v[96:97], off offset:16
	v_fmac_f64_e32 v[12:13], v[50:51], v[64:65]
	v_cvt_f64_f32_e32 v[50:51], v52
	v_cvt_f64_f32_e32 v[52:53], v53
	v_fmac_f64_e32 v[4:5], v[46:47], v[64:65]
	v_cvt_f64_f32_e32 v[46:47], v48
	v_cvt_f64_f32_e32 v[48:49], v49
	v_fmac_f64_e32 v[0:1], v[58:59], v[64:65]
	v_fmac_f64_e32 v[6:7], v[54:55], v[64:65]
	v_cvt_f64_f32_e32 v[54:55], v56
	v_cvt_f64_f32_e32 v[58:59], v60
	;; [unrolled: 1-line block ×4, first 2 shown]
	s_wait_loadcnt 0x7
	v_fmac_f64_e32 v[12:13], v[50:51], v[86:87]
	v_cvt_f64_f32_e32 v[50:51], v74
	v_fmac_f64_e32 v[4:5], v[46:47], v[86:87]
	v_cvt_f64_f32_e32 v[46:47], v78
	v_fmac_f64_e32 v[6:7], v[54:55], v[86:87]
	v_fmac_f64_e32 v[0:1], v[58:59], v[86:87]
	v_cvt_f64_f32_e32 v[54:55], v70
	v_cvt_f64_f32_e32 v[58:59], v66
	v_fmac_f64_e32 v[12:13], v[52:53], v[88:89]
	v_cvt_f64_f32_e32 v[52:53], v75
	v_fmac_f64_e32 v[4:5], v[48:49], v[88:89]
	;; [unrolled: 2-line block ×3, first 2 shown]
	v_fmac_f64_e32 v[0:1], v[60:61], v[88:89]
	v_cvt_f64_f32_e32 v[56:57], v71
	v_cvt_f64_f32_e32 v[60:61], v67
	s_wait_loadcnt 0x6
	v_fmac_f64_e32 v[4:5], v[46:47], v[90:91]
	v_fmac_f64_e32 v[12:13], v[50:51], v[90:91]
	;; [unrolled: 1-line block ×4, first 2 shown]
	v_cvt_f64_f32_e32 v[46:47], v80
	v_cvt_f64_f32_e32 v[50:51], v76
	;; [unrolled: 1-line block ×4, first 2 shown]
	v_fmac_f64_e32 v[4:5], v[48:49], v[92:93]
	v_fmac_f64_e32 v[12:13], v[52:53], v[92:93]
	;; [unrolled: 1-line block ×4, first 2 shown]
	v_cvt_f64_f32_e32 v[48:49], v81
	v_cvt_f64_f32_e32 v[52:53], v77
	;; [unrolled: 1-line block ×4, first 2 shown]
	s_wait_loadcnt 0x5
	v_fmac_f64_e32 v[4:5], v[46:47], v[22:23]
	v_fmac_f64_e32 v[12:13], v[50:51], v[22:23]
	;; [unrolled: 1-line block ×4, first 2 shown]
	s_wait_loadcnt 0x4
	v_cvt_f64_f32_e32 v[22:23], v38
	v_cvt_f64_f32_e32 v[46:47], v82
	s_wait_loadcnt 0x3
	v_cvt_f64_f32_e32 v[54:55], v30
	v_cvt_f64_f32_e32 v[30:31], v31
	;; [unrolled: 3-line block ×3, first 2 shown]
	v_fmac_f64_e32 v[4:5], v[48:49], v[24:25]
	v_fmac_f64_e32 v[12:13], v[52:53], v[24:25]
	;; [unrolled: 1-line block ×4, first 2 shown]
	v_cvt_f64_f32_e32 v[24:25], v39
	v_cvt_f64_f32_e32 v[38:39], v83
	;; [unrolled: 1-line block ×3, first 2 shown]
	s_wait_loadcnt 0x1
	v_fmac_f64_e32 v[4:5], v[22:23], v[34:35]
	v_fmac_f64_e32 v[12:13], v[46:47], v[34:35]
	;; [unrolled: 1-line block ×4, first 2 shown]
	v_cvt_f64_f32_e32 v[22:23], v40
	v_cvt_f64_f32_e32 v[34:35], v84
	;; [unrolled: 1-line block ×4, first 2 shown]
	v_fmac_f64_e32 v[4:5], v[24:25], v[36:37]
	v_fmac_f64_e32 v[12:13], v[38:39], v[36:37]
	;; [unrolled: 1-line block ×4, first 2 shown]
	v_cvt_f64_f32_e32 v[24:25], v41
	v_cvt_f64_f32_e32 v[26:27], v85
	;; [unrolled: 1-line block ×3, first 2 shown]
	s_wait_loadcnt 0x0
	v_fmac_f64_e32 v[4:5], v[22:23], v[42:43]
	v_fmac_f64_e32 v[12:13], v[34:35], v[42:43]
	;; [unrolled: 1-line block ×4, first 2 shown]
	s_delay_alu instid0(VALU_DEP_4) | instskip(NEXT) | instid1(VALU_DEP_4)
	v_fmac_f64_e32 v[4:5], v[24:25], v[44:45]
	v_fmac_f64_e32 v[12:13], v[26:27], v[44:45]
	s_delay_alu instid0(VALU_DEP_4) | instskip(NEXT) | instid1(VALU_DEP_4)
	v_fmac_f64_e32 v[6:7], v[28:29], v[44:45]
	v_fmac_f64_e32 v[0:1], v[30:31], v[44:45]
	s_and_not1_b32 exec_lo, exec_lo, s7
	s_cbranch_execnz .LBB154_21
; %bb.22:
	s_or_b32 exec_lo, exec_lo, s7
.LBB154_23:
	s_delay_alu instid0(SALU_CYCLE_1)
	s_or_b32 exec_lo, exec_lo, s6
.LBB154_24:
	s_delay_alu instid0(SALU_CYCLE_1)
	s_or_b32 exec_lo, exec_lo, s3
	s_cbranch_execz .LBB154_26
	s_branch .LBB154_37
.LBB154_25:
                                        ; implicit-def: $vgpr0_vgpr1
                                        ; implicit-def: $vgpr6_vgpr7
                                        ; implicit-def: $vgpr12_vgpr13
                                        ; implicit-def: $vgpr4_vgpr5
.LBB154_26:
	v_mov_b64_e32 v[0:1], 0
	v_mov_b64_e32 v[6:7], 0
	;; [unrolled: 1-line block ×4, first 2 shown]
	s_and_saveexec_b32 s3, s2
	s_cbranch_execz .LBB154_36
; %bb.27:
	v_add_nc_u32_e32 v0, v20, v11
	v_not_b32_e32 v1, v20
	v_mov_b64_e32 v[4:5], 0
	v_mov_b64_e32 v[12:13], 0
	;; [unrolled: 1-line block ×3, first 2 shown]
	v_subrev_nc_u32_e32 v0, s12, v0
	s_mov_b32 s2, exec_lo
	s_delay_alu instid0(VALU_DEP_1) | instskip(NEXT) | instid1(VALU_DEP_1)
	v_add_max_i32_e64 v0, v0, 64, v15
	v_add3_u32 v0, s12, v0, v1
	s_delay_alu instid0(VALU_DEP_1) | instskip(SKIP_1) | instid1(VALU_DEP_2)
	v_sub_nc_u32_e32 v18, v0, v11
	v_mov_b64_e32 v[0:1], 0
	v_and_b32_e32 v19, 0xc0, v18
	s_delay_alu instid0(VALU_DEP_1)
	v_cmpx_ne_u32_e32 0xc0, v19
	s_cbranch_execz .LBB154_31
; %bb.28:
	v_lshrrev_b32_e32 v0, 6, v18
	v_mov_b64_e32 v[6:7], 0
	v_mov_b64_e32 v[12:13], 0
	;; [unrolled: 1-line block ×3, first 2 shown]
	s_mov_b32 s6, 0
	v_add_nc_u32_e32 v0, 1, v0
	s_delay_alu instid0(VALU_DEP_1) | instskip(SKIP_1) | instid1(VALU_DEP_2)
	v_and_b32_e32 v19, 3, v0
	v_mov_b64_e32 v[0:1], 0
	v_sub_nc_u32_e32 v19, 0, v19
.LBB154_29:                             ; =>This Inner Loop Header: Depth=1
	global_load_b32 v28, v14, s[8:9] scale_offset
	s_clause 0x1
	global_load_b128 v[20:23], v[16:17], off
	global_load_b128 v[24:27], v[16:17], off offset:16
	v_add_co_u32 v19, s7, v19, 1
	s_or_b32 s6, s7, s6
	s_wait_xcnt 0x2
	v_add_nc_u32_e32 v14, 64, v14
	s_wait_loadcnt 0x2
	v_subrev_nc_u32_e32 v28, s12, v28
	s_wait_loadcnt 0x1
	v_cvt_f64_f32_e32 v[46:47], v22
	v_cvt_f64_f32_e32 v[22:23], v23
	s_wait_loadcnt 0x0
	v_cvt_f64_f32_e32 v[48:49], v24
	v_cvt_f64_f32_e32 v[24:25], v25
	v_lshlrev_b32_e32 v28, 2, v28
	v_cvt_f64_f32_e32 v[50:51], v26
	v_cvt_f64_f32_e32 v[26:27], v27
	s_delay_alu instid0(VALU_DEP_3) | instskip(SKIP_1) | instid1(VALU_DEP_1)
	v_ashrrev_i32_e32 v29, 31, v28
	s_wait_kmcnt 0x0
	v_lshl_add_u64 v[44:45], v[28:29], 3, s[4:5]
	s_clause 0x1
	global_load_b128 v[28:31], v[44:45], off
	global_load_b128 v[32:35], v[44:45], off offset:16
	s_clause 0x1
	global_load_b128 v[36:39], v[16:17], off offset:32
	global_load_b128 v[40:43], v[16:17], off offset:48
	s_wait_xcnt 0x2
	v_cvt_f64_f32_e32 v[44:45], v20
	v_cvt_f64_f32_e32 v[20:21], v21
	s_wait_xcnt 0x0
	v_add_nc_u64_e32 v[16:17], 0x1000, v[16:17]
	s_wait_loadcnt 0x3
	s_delay_alu instid0(VALU_DEP_3) | instskip(NEXT) | instid1(VALU_DEP_3)
	v_fmac_f64_e32 v[4:5], v[44:45], v[28:29]
	v_fmac_f64_e32 v[12:13], v[20:21], v[28:29]
	;; [unrolled: 1-line block ×4, first 2 shown]
	s_wait_loadcnt 0x1
	v_cvt_f64_f32_e32 v[20:21], v36
	v_cvt_f64_f32_e32 v[22:23], v37
	v_cvt_f64_f32_e32 v[28:29], v38
	v_cvt_f64_f32_e32 v[36:37], v39
	s_wait_loadcnt 0x0
	v_cvt_f64_f32_e32 v[38:39], v43
	v_fmac_f64_e32 v[4:5], v[48:49], v[30:31]
	v_fmac_f64_e32 v[12:13], v[24:25], v[30:31]
	;; [unrolled: 1-line block ×4, first 2 shown]
	v_cvt_f64_f32_e32 v[24:25], v40
	v_cvt_f64_f32_e32 v[26:27], v41
	;; [unrolled: 1-line block ×3, first 2 shown]
	v_fmac_f64_e32 v[4:5], v[20:21], v[32:33]
	v_fmac_f64_e32 v[12:13], v[22:23], v[32:33]
	v_fmac_f64_e32 v[6:7], v[28:29], v[32:33]
	v_fmac_f64_e32 v[0:1], v[36:37], v[32:33]
	s_delay_alu instid0(VALU_DEP_4) | instskip(NEXT) | instid1(VALU_DEP_4)
	v_fmac_f64_e32 v[4:5], v[24:25], v[34:35]
	v_fmac_f64_e32 v[12:13], v[26:27], v[34:35]
	s_delay_alu instid0(VALU_DEP_4) | instskip(NEXT) | instid1(VALU_DEP_4)
	v_fmac_f64_e32 v[6:7], v[30:31], v[34:35]
	v_fmac_f64_e32 v[0:1], v[38:39], v[34:35]
	s_and_not1_b32 exec_lo, exec_lo, s6
	s_cbranch_execnz .LBB154_29
; %bb.30:
	s_or_b32 exec_lo, exec_lo, s6
.LBB154_31:
	s_delay_alu instid0(SALU_CYCLE_1) | instskip(NEXT) | instid1(SALU_CYCLE_1)
	s_or_b32 exec_lo, exec_lo, s2
	s_mov_b32 s2, exec_lo
	v_cmpx_lt_u32_e32 0xbf, v18
	s_cbranch_execz .LBB154_35
; %bb.32:
	s_mov_b32 s6, 0
.LBB154_33:                             ; =>This Inner Loop Header: Depth=1
	s_clause 0x6
	global_load_b128 v[18:21], v[16:17], off
	global_load_b128 v[22:25], v[16:17], off offset:16
	global_load_b128 v[26:29], v[16:17], off offset:32
	;; [unrolled: 1-line block ×6, first 2 shown]
	global_load_b32 v106, v14, s[8:9] scale_offset
	global_load_b128 v[46:49], v[16:17], off offset:4144
	s_wait_loadcnt 0x8
	v_cvt_f64_f32_e32 v[50:51], v18
	v_cvt_f64_f32_e32 v[52:53], v19
	s_wait_loadcnt 0x6
	v_cvt_f64_f32_e32 v[66:67], v26
	v_cvt_f64_f32_e32 v[68:69], v27
	;; [unrolled: 1-line block ×5, first 2 shown]
	s_wait_loadcnt 0x1
	v_subrev_nc_u32_e32 v18, s12, v106
	v_cvt_f64_f32_e32 v[60:61], v23
	v_cvt_f64_f32_e32 v[62:63], v24
	v_cvt_f64_f32_e32 v[64:65], v25
	v_cvt_f64_f32_e32 v[70:71], v28
	v_lshlrev_b32_e32 v18, 2, v18
	v_cvt_f64_f32_e32 v[90:91], v38
	s_clause 0x2
	global_load_b32 v28, v14, s[8:9] offset:256 scale_offset
	global_load_b32 v38, v14, s[8:9] offset:512 scale_offset
	;; [unrolled: 1-line block ×3, first 2 shown]
	v_cvt_f64_f32_e32 v[82:83], v34
	v_cvt_f64_f32_e32 v[84:85], v35
	v_ashrrev_i32_e32 v19, 31, v18
	v_cvt_f64_f32_e32 v[72:73], v29
	v_cvt_f64_f32_e32 v[74:75], v30
	;; [unrolled: 1-line block ×4, first 2 shown]
	s_wait_kmcnt 0x0
	v_lshl_add_u64 v[26:27], v[18:19], 3, s[4:5]
	v_cvt_f64_f32_e32 v[80:81], v33
	v_cvt_f64_f32_e32 v[92:93], v39
	;; [unrolled: 1-line block ×4, first 2 shown]
	s_clause 0x1
	global_load_b128 v[18:21], v[26:27], off
	global_load_b128 v[22:25], v[26:27], off offset:16
	v_cvt_f64_f32_e32 v[86:87], v36
	v_cvt_f64_f32_e32 v[88:89], v37
	;; [unrolled: 1-line block ×6, first 2 shown]
	s_wait_xcnt 0x2
	v_add_nc_u32_e32 v14, 0x100, v14
	s_delay_alu instid0(VALU_DEP_1) | instskip(SKIP_3) | instid1(VALU_DEP_1)
	v_cmp_ge_i32_e32 vcc_lo, v14, v15
	s_or_b32 s6, vcc_lo, s6
	s_wait_loadcnt 0x3
	v_subrev_nc_u32_e32 v38, s12, v38
	v_lshlrev_b32_e32 v38, 2, v38
	s_delay_alu instid0(VALU_DEP_1)
	v_ashrrev_i32_e32 v39, 31, v38
	s_wait_loadcnt 0x1
	v_fmac_f64_e32 v[4:5], v[50:51], v[18:19]
	v_fmac_f64_e32 v[12:13], v[52:53], v[18:19]
	;; [unrolled: 1-line block ×4, first 2 shown]
	v_subrev_nc_u32_e32 v18, s12, v28
	v_lshl_add_u64 v[42:43], v[38:39], 3, s[4:5]
	s_delay_alu instid0(VALU_DEP_2) | instskip(NEXT) | instid1(VALU_DEP_1)
	v_lshlrev_b32_e32 v18, 2, v18
	v_ashrrev_i32_e32 v19, 31, v18
	s_delay_alu instid0(VALU_DEP_1)
	v_lshl_add_u64 v[34:35], v[18:19], 3, s[4:5]
	global_load_b128 v[26:29], v[34:35], off
	v_fmac_f64_e32 v[4:5], v[58:59], v[20:21]
	v_fmac_f64_e32 v[12:13], v[60:61], v[20:21]
	;; [unrolled: 1-line block ×4, first 2 shown]
	global_load_b128 v[18:21], v[34:35], off offset:16
	s_clause 0x2
	global_load_b128 v[30:33], v[16:17], off offset:8192
	global_load_b128 v[34:37], v[16:17], off offset:8208
	;; [unrolled: 1-line block ×3, first 2 shown]
	global_load_b128 v[38:41], v[42:43], off
	v_cvt_f64_f32_e32 v[62:63], v46
	s_clause 0x1
	global_load_b128 v[54:57], v[16:17], off offset:12304
	global_load_b128 v[58:61], v[16:17], off offset:12336
	s_wait_loadcnt 0x8
	v_fmac_f64_e32 v[4:5], v[66:67], v[22:23]
	v_fmac_f64_e32 v[12:13], v[68:69], v[22:23]
	;; [unrolled: 1-line block ×4, first 2 shown]
	v_cvt_f64_f32_e32 v[66:67], v47
	v_cvt_f64_f32_e32 v[68:69], v48
	;; [unrolled: 1-line block ×3, first 2 shown]
	global_load_b128 v[46:49], v[16:17], off offset:12288
	v_fmac_f64_e32 v[4:5], v[74:75], v[24:25]
	v_fmac_f64_e32 v[12:13], v[76:77], v[24:25]
	;; [unrolled: 1-line block ×4, first 2 shown]
	global_load_b128 v[22:25], v[16:17], off offset:8240
	s_wait_loadcnt 0x9
	v_fmac_f64_e32 v[4:5], v[82:83], v[26:27]
	v_fmac_f64_e32 v[12:13], v[84:85], v[26:27]
	;; [unrolled: 1-line block ×4, first 2 shown]
	v_subrev_nc_u32_e32 v26, s12, v107
	s_delay_alu instid0(VALU_DEP_1) | instskip(SKIP_3) | instid1(VALU_DEP_3)
	v_lshlrev_b32_e32 v26, 2, v26
	s_wait_loadcnt 0x7
	v_cvt_f64_f32_e32 v[72:73], v30
	v_cvt_f64_f32_e32 v[74:75], v31
	v_ashrrev_i32_e32 v27, 31, v26
	v_cvt_f64_f32_e32 v[76:77], v32
	v_cvt_f64_f32_e32 v[78:79], v33
	global_load_b128 v[30:33], v[16:17], off offset:12320
	s_wait_xcnt 0x0
	v_add_nc_u64_e32 v[16:17], 0x4000, v[16:17]
	v_lshl_add_u64 v[64:65], v[26:27], 3, s[4:5]
	v_fmac_f64_e32 v[4:5], v[90:91], v[28:29]
	v_fmac_f64_e32 v[12:13], v[92:93], v[28:29]
	;; [unrolled: 1-line block ×4, first 2 shown]
	s_clause 0x1
	global_load_b128 v[26:29], v[64:65], off
	global_load_b128 v[42:45], v[42:43], off offset:16
	v_fmac_f64_e32 v[4:5], v[98:99], v[18:19]
	v_fmac_f64_e32 v[12:13], v[100:101], v[18:19]
	;; [unrolled: 1-line block ×4, first 2 shown]
	s_wait_loadcnt 0x9
	v_cvt_f64_f32_e32 v[18:19], v34
	v_fmac_f64_e32 v[4:5], v[62:63], v[20:21]
	global_load_b128 v[62:65], v[64:65], off offset:16
	v_fmac_f64_e32 v[12:13], v[66:67], v[20:21]
	v_fmac_f64_e32 v[6:7], v[68:69], v[20:21]
	;; [unrolled: 1-line block ×3, first 2 shown]
	v_cvt_f64_f32_e32 v[20:21], v35
	v_cvt_f64_f32_e32 v[34:35], v36
	v_cvt_f64_f32_e32 v[36:37], v37
	s_wait_loadcnt 0x9
	v_cvt_f64_f32_e32 v[66:67], v52
	v_cvt_f64_f32_e32 v[52:53], v53
	s_wait_loadcnt 0x8
	v_fmac_f64_e32 v[4:5], v[72:73], v[38:39]
	v_fmac_f64_e32 v[12:13], v[74:75], v[38:39]
	;; [unrolled: 1-line block ×4, first 2 shown]
	v_cvt_f64_f32_e32 v[38:39], v50
	v_cvt_f64_f32_e32 v[50:51], v51
	v_fmac_f64_e32 v[4:5], v[18:19], v[40:41]
	s_wait_loadcnt 0x4
	v_cvt_f64_f32_e32 v[18:19], v22
	v_fmac_f64_e32 v[12:13], v[20:21], v[40:41]
	v_fmac_f64_e32 v[6:7], v[34:35], v[40:41]
	;; [unrolled: 1-line block ×3, first 2 shown]
	v_cvt_f64_f32_e32 v[20:21], v23
	v_cvt_f64_f32_e32 v[22:23], v24
	;; [unrolled: 1-line block ×6, first 2 shown]
	s_wait_loadcnt 0x1
	v_fmac_f64_e32 v[4:5], v[38:39], v[42:43]
	v_fmac_f64_e32 v[12:13], v[50:51], v[42:43]
	;; [unrolled: 1-line block ×4, first 2 shown]
	v_cvt_f64_f32_e32 v[38:39], v48
	v_fmac_f64_e32 v[4:5], v[18:19], v[44:45]
	v_fmac_f64_e32 v[12:13], v[20:21], v[44:45]
	v_fmac_f64_e32 v[6:7], v[22:23], v[44:45]
	v_fmac_f64_e32 v[0:1], v[24:25], v[44:45]
	v_cvt_f64_f32_e32 v[18:19], v54
	v_cvt_f64_f32_e32 v[20:21], v55
	v_cvt_f64_f32_e32 v[22:23], v56
	v_cvt_f64_f32_e32 v[24:25], v57
	v_fmac_f64_e32 v[4:5], v[34:35], v[26:27]
	v_fmac_f64_e32 v[12:13], v[36:37], v[26:27]
	v_fmac_f64_e32 v[6:7], v[38:39], v[26:27]
	v_fmac_f64_e32 v[0:1], v[40:41], v[26:27]
	v_cvt_f64_f32_e32 v[26:27], v30
	v_cvt_f64_f32_e32 v[30:31], v31
	v_cvt_f64_f32_e32 v[34:35], v32
	;; [unrolled: 8-line block ×3, first 2 shown]
	v_cvt_f64_f32_e32 v[24:25], v61
	s_wait_loadcnt 0x0
	v_fmac_f64_e32 v[4:5], v[26:27], v[62:63]
	v_fmac_f64_e32 v[12:13], v[30:31], v[62:63]
	;; [unrolled: 1-line block ×4, first 2 shown]
	s_delay_alu instid0(VALU_DEP_4) | instskip(NEXT) | instid1(VALU_DEP_4)
	v_fmac_f64_e32 v[4:5], v[18:19], v[64:65]
	v_fmac_f64_e32 v[12:13], v[20:21], v[64:65]
	s_delay_alu instid0(VALU_DEP_4) | instskip(NEXT) | instid1(VALU_DEP_4)
	v_fmac_f64_e32 v[6:7], v[22:23], v[64:65]
	v_fmac_f64_e32 v[0:1], v[24:25], v[64:65]
	s_and_not1_b32 exec_lo, exec_lo, s6
	s_cbranch_execnz .LBB154_33
; %bb.34:
	s_or_b32 exec_lo, exec_lo, s6
.LBB154_35:
	s_delay_alu instid0(SALU_CYCLE_1)
	s_or_b32 exec_lo, exec_lo, s2
.LBB154_36:
	s_delay_alu instid0(SALU_CYCLE_1)
	s_or_b32 exec_lo, exec_lo, s3
.LBB154_37:
	v_mbcnt_lo_u32_b32 v24, -1, 0
	s_delay_alu instid0(VALU_DEP_1) | instskip(NEXT) | instid1(VALU_DEP_1)
	v_or_b32_e32 v14, 32, v24
	v_cmp_gt_i32_e32 vcc_lo, 32, v14
	v_cndmask_b32_e32 v14, v24, v14, vcc_lo
	s_delay_alu instid0(VALU_DEP_1)
	v_lshlrev_b32_e32 v21, 2, v14
	ds_bpermute_b32 v16, v21, v12
	ds_bpermute_b32 v17, v21, v13
	s_wait_dscnt 0x0
	v_add_f64_e32 v[12:13], v[12:13], v[16:17]
	ds_bpermute_b32 v14, v21, v4
	ds_bpermute_b32 v15, v21, v5
	;; [unrolled: 1-line block ×6, first 2 shown]
	s_wait_dscnt 0x4
	v_dual_add_f64 v[4:5], v[4:5], v[14:15] :: v_dual_bitop2_b32 v14, 16, v24 bitop3:0x14
	s_wait_dscnt 0x2
	v_add_f64_e32 v[6:7], v[6:7], v[18:19]
	s_delay_alu instid0(VALU_DEP_2) | instskip(SKIP_2) | instid1(VALU_DEP_1)
	v_cmp_gt_i32_e32 vcc_lo, 32, v14
	v_cndmask_b32_e32 v14, v24, v14, vcc_lo
	s_wait_dscnt 0x0
	v_dual_add_f64 v[0:1], v[0:1], v[20:21] :: v_dual_lshlrev_b32 v21, 2, v14
	ds_bpermute_b32 v16, v21, v12
	ds_bpermute_b32 v17, v21, v13
	ds_bpermute_b32 v14, v21, v4
	ds_bpermute_b32 v15, v21, v5
	ds_bpermute_b32 v18, v21, v6
	ds_bpermute_b32 v19, v21, v7
	ds_bpermute_b32 v20, v21, v0
	ds_bpermute_b32 v21, v21, v1
	s_wait_dscnt 0x4
	v_dual_add_f64 v[4:5], v[4:5], v[14:15] :: v_dual_bitop2_b32 v14, 8, v24 bitop3:0x14
	s_wait_dscnt 0x2
	v_add_f64_e32 v[6:7], v[6:7], v[18:19]
	s_delay_alu instid0(VALU_DEP_2) | instskip(SKIP_3) | instid1(VALU_DEP_2)
	v_cmp_gt_i32_e32 vcc_lo, 32, v14
	v_cndmask_b32_e32 v14, v24, v14, vcc_lo
	v_add_f64_e32 v[12:13], v[12:13], v[16:17]
	s_wait_dscnt 0x0
	v_dual_add_f64 v[0:1], v[0:1], v[20:21] :: v_dual_lshlrev_b32 v21, 2, v14
	ds_bpermute_b32 v14, v21, v4
	ds_bpermute_b32 v15, v21, v5
	;; [unrolled: 1-line block ×5, first 2 shown]
	s_wait_dscnt 0x3
	v_dual_add_f64 v[4:5], v[4:5], v[14:15] :: v_dual_bitop2_b32 v14, 4, v24 bitop3:0x14
	ds_bpermute_b32 v18, v21, v6
	ds_bpermute_b32 v19, v21, v7
	;; [unrolled: 1-line block ×3, first 2 shown]
	v_cmp_gt_i32_e32 vcc_lo, 32, v14
	v_cndmask_b32_e32 v14, v24, v14, vcc_lo
	s_wait_dscnt 0x4
	v_add_f64_e32 v[12:13], v[12:13], v[16:17]
	s_wait_dscnt 0x1
	v_add_f64_e32 v[6:7], v[6:7], v[18:19]
	s_wait_dscnt 0x0
	v_dual_add_f64 v[0:1], v[0:1], v[20:21] :: v_dual_lshlrev_b32 v21, 2, v14
	ds_bpermute_b32 v14, v21, v4
	ds_bpermute_b32 v15, v21, v5
	;; [unrolled: 1-line block ×4, first 2 shown]
	s_wait_dscnt 0x2
	v_add_f64_e32 v[4:5], v[4:5], v[14:15]
	ds_bpermute_b32 v18, v21, v6
	ds_bpermute_b32 v19, v21, v7
	;; [unrolled: 1-line block ×4, first 2 shown]
	s_wait_dscnt 0x4
	v_add_f64_e32 v[14:15], v[12:13], v[16:17]
	s_wait_dscnt 0x2
	v_add_f64_e32 v[16:17], v[6:7], v[18:19]
	;; [unrolled: 2-line block ×3, first 2 shown]
	v_xor_b32_e32 v0, 2, v24
	s_delay_alu instid0(VALU_DEP_1) | instskip(SKIP_1) | instid1(VALU_DEP_1)
	v_cmp_gt_i32_e32 vcc_lo, 32, v0
	v_cndmask_b32_e32 v0, v24, v0, vcc_lo
	v_lshlrev_b32_e32 v12, 2, v0
	ds_bpermute_b32 v0, v12, v4
	ds_bpermute_b32 v1, v12, v5
	;; [unrolled: 1-line block ×8, first 2 shown]
	s_wait_dscnt 0x6
	v_add_f64_e32 v[12:13], v[4:5], v[0:1]
	s_wait_dscnt 0x4
	v_dual_add_f64 v[6:7], v[14:15], v[6:7] :: v_dual_bitop2_b32 v14, 1, v24 bitop3:0x14
	s_delay_alu instid0(VALU_DEP_1)
	v_cmp_gt_i32_e32 vcc_lo, 32, v14
	s_wait_dscnt 0x2
	v_add_f64_e32 v[0:1], v[16:17], v[20:21]
	s_wait_dscnt 0x0
	v_add_f64_e32 v[4:5], v[18:19], v[22:23]
	v_cndmask_b32_e32 v14, v24, v14, vcc_lo
	v_cmp_eq_u32_e32 vcc_lo, 63, v11
	s_delay_alu instid0(VALU_DEP_2)
	v_lshlrev_b32_e32 v15, 2, v14
	ds_bpermute_b32 v20, v15, v12
	ds_bpermute_b32 v21, v15, v13
	;; [unrolled: 1-line block ×8, first 2 shown]
	s_and_b32 exec_lo, exec_lo, vcc_lo
	s_cbranch_execz .LBB154_10
; %bb.38:
	s_wait_dscnt 0x6
	v_dual_add_f64 v[12:13], v[12:13], v[20:21] :: v_dual_lshlrev_b32 v10, 2, v10
	s_wait_dscnt 0x4
	v_add_f64_e32 v[6:7], v[6:7], v[18:19]
	s_wait_dscnt 0x2
	v_add_f64_e32 v[0:1], v[0:1], v[16:17]
	;; [unrolled: 2-line block ×3, first 2 shown]
	s_load_b64 s[0:1], s[0:1], 0x50
	s_mov_b32 s2, exec_lo
	s_delay_alu instid0(VALU_DEP_4) | instskip(NEXT) | instid1(VALU_DEP_4)
	v_mul_f64_e32 v[4:5], v[2:3], v[12:13]
	v_mul_f64_e32 v[6:7], v[2:3], v[6:7]
	s_delay_alu instid0(VALU_DEP_4) | instskip(NEXT) | instid1(VALU_DEP_4)
	v_mul_f64_e32 v[0:1], v[2:3], v[0:1]
	v_mul_f64_e32 v[2:3], v[2:3], v[14:15]
	v_cmpx_eq_f64_e32 0, v[8:9]
	s_xor_b32 s2, exec_lo, s2
	s_cbranch_execz .LBB154_40
; %bb.39:
	v_ashrrev_i32_e32 v11, 31, v10
	s_wait_kmcnt 0x0
	s_delay_alu instid0(VALU_DEP_1)
	v_lshl_add_u64 v[8:9], v[10:11], 3, s[0:1]
                                        ; implicit-def: $vgpr10
	s_clause 0x1
	global_store_b128 v[8:9], v[4:7], off
	global_store_b128 v[8:9], v[0:3], off offset:16
                                        ; implicit-def: $vgpr8_vgpr9
                                        ; implicit-def: $vgpr4_vgpr5
                                        ; implicit-def: $vgpr0_vgpr1
.LBB154_40:
	s_wait_xcnt 0x0
	s_and_not1_saveexec_b32 s2, s2
	s_cbranch_execz .LBB154_10
; %bb.41:
	v_ashrrev_i32_e32 v11, 31, v10
	s_wait_kmcnt 0x0
	s_delay_alu instid0(VALU_DEP_1)
	v_lshl_add_u64 v[18:19], v[10:11], 3, s[0:1]
	s_clause 0x1
	global_load_b128 v[10:13], v[18:19], off
	global_load_b128 v[14:17], v[18:19], off offset:16
	s_wait_loadcnt 0x1
	v_fmac_f64_e32 v[4:5], v[8:9], v[10:11]
	v_fmac_f64_e32 v[6:7], v[8:9], v[12:13]
	s_wait_loadcnt 0x0
	v_fmac_f64_e32 v[0:1], v[8:9], v[14:15]
	v_fmac_f64_e32 v[2:3], v[8:9], v[16:17]
	s_clause 0x1
	global_store_b128 v[18:19], v[4:7], off
	global_store_b128 v[18:19], v[0:3], off offset:16
	s_sendmsg sendmsg(MSG_DEALLOC_VGPRS)
	s_endpgm
	.section	.rodata,"a",@progbits
	.p2align	6, 0x0
	.amdhsa_kernel _ZN9rocsparseL18bsrxmvn_4x4_kernelILj128ELj64EdiifddEEvT3_20rocsparse_direction_NS_24const_host_device_scalarIT1_EES1_PKS1_PKT2_SA_S7_PKT4_PKT5_S5_PT6_21rocsparse_index_base_b
		.amdhsa_group_segment_fixed_size 0
		.amdhsa_private_segment_fixed_size 0
		.amdhsa_kernarg_size 96
		.amdhsa_user_sgpr_count 2
		.amdhsa_user_sgpr_dispatch_ptr 0
		.amdhsa_user_sgpr_queue_ptr 0
		.amdhsa_user_sgpr_kernarg_segment_ptr 1
		.amdhsa_user_sgpr_dispatch_id 0
		.amdhsa_user_sgpr_kernarg_preload_length 0
		.amdhsa_user_sgpr_kernarg_preload_offset 0
		.amdhsa_user_sgpr_private_segment_size 0
		.amdhsa_wavefront_size32 1
		.amdhsa_uses_dynamic_stack 0
		.amdhsa_enable_private_segment 0
		.amdhsa_system_sgpr_workgroup_id_x 1
		.amdhsa_system_sgpr_workgroup_id_y 0
		.amdhsa_system_sgpr_workgroup_id_z 0
		.amdhsa_system_sgpr_workgroup_info 0
		.amdhsa_system_vgpr_workitem_id 0
		.amdhsa_next_free_vgpr 108
		.amdhsa_next_free_sgpr 14
		.amdhsa_named_barrier_count 0
		.amdhsa_reserve_vcc 1
		.amdhsa_float_round_mode_32 0
		.amdhsa_float_round_mode_16_64 0
		.amdhsa_float_denorm_mode_32 3
		.amdhsa_float_denorm_mode_16_64 3
		.amdhsa_fp16_overflow 0
		.amdhsa_memory_ordered 1
		.amdhsa_forward_progress 1
		.amdhsa_inst_pref_size 38
		.amdhsa_round_robin_scheduling 0
		.amdhsa_exception_fp_ieee_invalid_op 0
		.amdhsa_exception_fp_denorm_src 0
		.amdhsa_exception_fp_ieee_div_zero 0
		.amdhsa_exception_fp_ieee_overflow 0
		.amdhsa_exception_fp_ieee_underflow 0
		.amdhsa_exception_fp_ieee_inexact 0
		.amdhsa_exception_int_div_zero 0
	.end_amdhsa_kernel
	.section	.text._ZN9rocsparseL18bsrxmvn_4x4_kernelILj128ELj64EdiifddEEvT3_20rocsparse_direction_NS_24const_host_device_scalarIT1_EES1_PKS1_PKT2_SA_S7_PKT4_PKT5_S5_PT6_21rocsparse_index_base_b,"axG",@progbits,_ZN9rocsparseL18bsrxmvn_4x4_kernelILj128ELj64EdiifddEEvT3_20rocsparse_direction_NS_24const_host_device_scalarIT1_EES1_PKS1_PKT2_SA_S7_PKT4_PKT5_S5_PT6_21rocsparse_index_base_b,comdat
.Lfunc_end154:
	.size	_ZN9rocsparseL18bsrxmvn_4x4_kernelILj128ELj64EdiifddEEvT3_20rocsparse_direction_NS_24const_host_device_scalarIT1_EES1_PKS1_PKT2_SA_S7_PKT4_PKT5_S5_PT6_21rocsparse_index_base_b, .Lfunc_end154-_ZN9rocsparseL18bsrxmvn_4x4_kernelILj128ELj64EdiifddEEvT3_20rocsparse_direction_NS_24const_host_device_scalarIT1_EES1_PKS1_PKT2_SA_S7_PKT4_PKT5_S5_PT6_21rocsparse_index_base_b
                                        ; -- End function
	.set _ZN9rocsparseL18bsrxmvn_4x4_kernelILj128ELj64EdiifddEEvT3_20rocsparse_direction_NS_24const_host_device_scalarIT1_EES1_PKS1_PKT2_SA_S7_PKT4_PKT5_S5_PT6_21rocsparse_index_base_b.num_vgpr, 108
	.set _ZN9rocsparseL18bsrxmvn_4x4_kernelILj128ELj64EdiifddEEvT3_20rocsparse_direction_NS_24const_host_device_scalarIT1_EES1_PKS1_PKT2_SA_S7_PKT4_PKT5_S5_PT6_21rocsparse_index_base_b.num_agpr, 0
	.set _ZN9rocsparseL18bsrxmvn_4x4_kernelILj128ELj64EdiifddEEvT3_20rocsparse_direction_NS_24const_host_device_scalarIT1_EES1_PKS1_PKT2_SA_S7_PKT4_PKT5_S5_PT6_21rocsparse_index_base_b.numbered_sgpr, 14
	.set _ZN9rocsparseL18bsrxmvn_4x4_kernelILj128ELj64EdiifddEEvT3_20rocsparse_direction_NS_24const_host_device_scalarIT1_EES1_PKS1_PKT2_SA_S7_PKT4_PKT5_S5_PT6_21rocsparse_index_base_b.num_named_barrier, 0
	.set _ZN9rocsparseL18bsrxmvn_4x4_kernelILj128ELj64EdiifddEEvT3_20rocsparse_direction_NS_24const_host_device_scalarIT1_EES1_PKS1_PKT2_SA_S7_PKT4_PKT5_S5_PT6_21rocsparse_index_base_b.private_seg_size, 0
	.set _ZN9rocsparseL18bsrxmvn_4x4_kernelILj128ELj64EdiifddEEvT3_20rocsparse_direction_NS_24const_host_device_scalarIT1_EES1_PKS1_PKT2_SA_S7_PKT4_PKT5_S5_PT6_21rocsparse_index_base_b.uses_vcc, 1
	.set _ZN9rocsparseL18bsrxmvn_4x4_kernelILj128ELj64EdiifddEEvT3_20rocsparse_direction_NS_24const_host_device_scalarIT1_EES1_PKS1_PKT2_SA_S7_PKT4_PKT5_S5_PT6_21rocsparse_index_base_b.uses_flat_scratch, 0
	.set _ZN9rocsparseL18bsrxmvn_4x4_kernelILj128ELj64EdiifddEEvT3_20rocsparse_direction_NS_24const_host_device_scalarIT1_EES1_PKS1_PKT2_SA_S7_PKT4_PKT5_S5_PT6_21rocsparse_index_base_b.has_dyn_sized_stack, 0
	.set _ZN9rocsparseL18bsrxmvn_4x4_kernelILj128ELj64EdiifddEEvT3_20rocsparse_direction_NS_24const_host_device_scalarIT1_EES1_PKS1_PKT2_SA_S7_PKT4_PKT5_S5_PT6_21rocsparse_index_base_b.has_recursion, 0
	.set _ZN9rocsparseL18bsrxmvn_4x4_kernelILj128ELj64EdiifddEEvT3_20rocsparse_direction_NS_24const_host_device_scalarIT1_EES1_PKS1_PKT2_SA_S7_PKT4_PKT5_S5_PT6_21rocsparse_index_base_b.has_indirect_call, 0
	.section	.AMDGPU.csdata,"",@progbits
; Kernel info:
; codeLenInByte = 4768
; TotalNumSgprs: 16
; NumVgprs: 108
; ScratchSize: 0
; MemoryBound: 0
; FloatMode: 240
; IeeeMode: 1
; LDSByteSize: 0 bytes/workgroup (compile time only)
; SGPRBlocks: 0
; VGPRBlocks: 6
; NumSGPRsForWavesPerEU: 16
; NumVGPRsForWavesPerEU: 108
; NamedBarCnt: 0
; Occupancy: 9
; WaveLimiterHint : 1
; COMPUTE_PGM_RSRC2:SCRATCH_EN: 0
; COMPUTE_PGM_RSRC2:USER_SGPR: 2
; COMPUTE_PGM_RSRC2:TRAP_HANDLER: 0
; COMPUTE_PGM_RSRC2:TGID_X_EN: 1
; COMPUTE_PGM_RSRC2:TGID_Y_EN: 0
; COMPUTE_PGM_RSRC2:TGID_Z_EN: 0
; COMPUTE_PGM_RSRC2:TIDIG_COMP_CNT: 0
	.section	.text._ZN9rocsparseL18bsrxmvn_4x4_kernelILj128ELj4EdlifddEEvT3_20rocsparse_direction_NS_24const_host_device_scalarIT1_EES1_PKS1_PKT2_SA_S7_PKT4_PKT5_S5_PT6_21rocsparse_index_base_b,"axG",@progbits,_ZN9rocsparseL18bsrxmvn_4x4_kernelILj128ELj4EdlifddEEvT3_20rocsparse_direction_NS_24const_host_device_scalarIT1_EES1_PKS1_PKT2_SA_S7_PKT4_PKT5_S5_PT6_21rocsparse_index_base_b,comdat
	.globl	_ZN9rocsparseL18bsrxmvn_4x4_kernelILj128ELj4EdlifddEEvT3_20rocsparse_direction_NS_24const_host_device_scalarIT1_EES1_PKS1_PKT2_SA_S7_PKT4_PKT5_S5_PT6_21rocsparse_index_base_b ; -- Begin function _ZN9rocsparseL18bsrxmvn_4x4_kernelILj128ELj4EdlifddEEvT3_20rocsparse_direction_NS_24const_host_device_scalarIT1_EES1_PKS1_PKT2_SA_S7_PKT4_PKT5_S5_PT6_21rocsparse_index_base_b
	.p2align	8
	.type	_ZN9rocsparseL18bsrxmvn_4x4_kernelILj128ELj4EdlifddEEvT3_20rocsparse_direction_NS_24const_host_device_scalarIT1_EES1_PKS1_PKT2_SA_S7_PKT4_PKT5_S5_PT6_21rocsparse_index_base_b,@function
_ZN9rocsparseL18bsrxmvn_4x4_kernelILj128ELj4EdlifddEEvT3_20rocsparse_direction_NS_24const_host_device_scalarIT1_EES1_PKS1_PKT2_SA_S7_PKT4_PKT5_S5_PT6_21rocsparse_index_base_b: ; @_ZN9rocsparseL18bsrxmvn_4x4_kernelILj128ELj4EdlifddEEvT3_20rocsparse_direction_NS_24const_host_device_scalarIT1_EES1_PKS1_PKT2_SA_S7_PKT4_PKT5_S5_PT6_21rocsparse_index_base_b
; %bb.0:
	s_clause 0x2
	s_load_b64 s[12:13], s[0:1], 0x58
	s_load_b64 s[4:5], s[0:1], 0x8
	;; [unrolled: 1-line block ×3, first 2 shown]
	s_wait_kmcnt 0x0
	s_bitcmp1_b32 s13, 0
	v_mov_b64_e32 v[2:3], s[4:5]
	s_cselect_b32 s6, -1, 0
	s_delay_alu instid0(SALU_CYCLE_1)
	s_and_b32 vcc_lo, exec_lo, s6
	s_xor_b32 s6, s6, -1
	s_cbranch_vccnz .LBB155_2
; %bb.1:
	v_mov_b32_e32 v1, 0
	flat_load_b64 v[2:3], v1, s[4:5]
.LBB155_2:
	v_mov_b64_e32 v[8:9], s[2:3]
	s_and_not1_b32 vcc_lo, exec_lo, s6
	s_cbranch_vccnz .LBB155_4
; %bb.3:
	s_wait_xcnt 0x0
	v_mov_b32_e32 v1, 0
	flat_load_b64 v[8:9], v1, s[2:3]
.LBB155_4:
	s_wait_loadcnt_dscnt 0x0
	v_cmp_neq_f64_e32 vcc_lo, 0, v[2:3]
	s_delay_alu instid0(VALU_DEP_2) | instskip(SKIP_1) | instid1(SALU_CYCLE_1)
	v_cmp_neq_f64_e64 s2, 1.0, v[8:9]
	s_or_b32 s2, vcc_lo, s2
	s_and_saveexec_b32 s3, s2
	s_cbranch_execz .LBB155_10
; %bb.5:
	s_clause 0x1
	s_load_b64 s[4:5], s[0:1], 0x18
	s_load_b64 s[2:3], s[0:1], 0x0
	s_bfe_u32 s6, ttmp6, 0x4000c
	s_and_b32 s7, ttmp6, 15
	s_add_co_i32 s6, s6, 1
	s_getreg_b32 s8, hwreg(HW_REG_IB_STS2, 6, 4)
	s_mul_i32 s6, ttmp9, s6
	v_lshrrev_b32_e32 v1, 2, v0
	s_add_co_i32 s7, s7, s6
	s_cmp_eq_u32 s8, 0
	s_cselect_b32 s6, ttmp9, s7
	s_delay_alu instid0(VALU_DEP_1) | instid1(SALU_CYCLE_1)
	v_lshl_or_b32 v10, s6, 5, v1
	s_mov_b32 s6, 0
	s_wait_kmcnt 0x0
	s_cmp_lg_u64 s[4:5], 0
	s_cbranch_scc0 .LBB155_11
; %bb.6:
	s_load_b32 s6, s[0:1], 0x10
	s_mov_b32 s7, 0
                                        ; implicit-def: $vgpr1
	s_wait_kmcnt 0x0
	v_cmp_gt_i32_e32 vcc_lo, s6, v10
	s_mov_b32 s6, 0
	s_and_saveexec_b32 s8, vcc_lo
	s_delay_alu instid0(SALU_CYCLE_1)
	s_xor_b32 s8, exec_lo, s8
	s_cbranch_execz .LBB155_8
; %bb.7:
	global_load_b32 v1, v10, s[4:5] scale_offset
	s_mov_b32 s6, exec_lo
	s_wait_loadcnt 0x0
	v_subrev_nc_u32_e32 v1, s12, v1
.LBB155_8:
	s_or_b32 exec_lo, exec_lo, s8
	s_delay_alu instid0(SALU_CYCLE_1)
	s_and_b32 vcc_lo, exec_lo, s7
	s_cbranch_vccz .LBB155_12
.LBB155_9:
	v_cmp_gt_i32_e32 vcc_lo, s2, v10
	s_and_not1_b32 s2, s6, exec_lo
	s_and_b32 s4, vcc_lo, exec_lo
	s_delay_alu instid0(SALU_CYCLE_1) | instskip(NEXT) | instid1(SALU_CYCLE_1)
	s_or_b32 s6, s2, s4
	s_and_b32 exec_lo, exec_lo, s6
	s_cbranch_execnz .LBB155_13
.LBB155_10:
	s_sendmsg sendmsg(MSG_DEALLOC_VGPRS)
	s_endpgm
.LBB155_11:
                                        ; implicit-def: $vgpr1
	s_cbranch_execnz .LBB155_9
.LBB155_12:
	s_delay_alu instid0(VALU_DEP_1)
	v_mov_b32_e32 v10, v1
	s_and_b32 exec_lo, exec_lo, s6
	s_cbranch_execz .LBB155_10
.LBB155_13:
	s_load_b256 s[4:11], s[0:1], 0x20
	s_mov_b32 s13, 0
	v_dual_mov_b32 v1, 0 :: v_dual_bitop2_b32 v0, 3, v0 bitop3:0x40
	s_wait_kmcnt 0x0
	s_cmp_eq_u64 s[6:7], 0
	global_load_b64 v[22:23], v10, s[4:5] scale_offset
	s_cselect_b32 vcc_lo, -1, 0
	v_ashrrev_i32_e32 v11, 31, v10
	s_cmp_eq_u32 s3, 1
	s_delay_alu instid0(VALU_DEP_1) | instskip(NEXT) | instid1(VALU_DEP_1)
	v_lshlrev_b64_e32 v[4:5], 3, v[10:11]
	v_add_nc_u64_e32 v[6:7], s[4:5], v[4:5]
	v_add_nc_u64_e32 v[4:5], s[6:7], v[4:5]
	s_wait_xcnt 0x0
	s_load_b64 s[4:5], s[0:1], 0x40
	s_delay_alu instid0(VALU_DEP_2) | instskip(NEXT) | instid1(VALU_DEP_1)
	v_add_nc_u64_e32 v[6:7], 8, v[6:7]
	v_dual_cndmask_b32 v5, v5, v7 :: v_dual_cndmask_b32 v4, v4, v6
	global_load_b64 v[6:7], v[4:5], off
	s_wait_loadcnt 0x1
	s_wait_xcnt 0x0
	v_sub_nc_u64_e64 v[4:5], v[22:23], s[12:13]
	s_delay_alu instid0(VALU_DEP_1) | instskip(NEXT) | instid1(VALU_DEP_1)
	v_add_nc_u64_e32 v[4:5], v[4:5], v[0:1]
	v_lshlrev_b64_e32 v[12:13], 6, v[4:5]
	s_delay_alu instid0(VALU_DEP_1) | instskip(SKIP_2) | instid1(VALU_DEP_1)
	v_add_nc_u64_e32 v[12:13], s[10:11], v[12:13]
	s_wait_loadcnt 0x0
	v_sub_nc_u64_e64 v[6:7], v[6:7], s[12:13]
	v_cmp_lt_i64_e64 s2, v[4:5], v[6:7]
	s_cbranch_scc1 .LBB155_25
; %bb.14:
	v_mov_b64_e32 v[14:15], 0
	v_mov_b64_e32 v[16:17], 0
	;; [unrolled: 1-line block ×4, first 2 shown]
	s_and_saveexec_b32 s3, s2
	s_cbranch_execz .LBB155_24
; %bb.15:
	v_dual_mov_b32 v15, v1 :: v_dual_bitop2_b32 v14, 4, v0 bitop3:0x54
	v_sub_nc_u64_e32 v[16:17], s[12:13], v[0:1]
	v_not_b32_e32 v19, v23
	v_not_b32_e32 v18, v22
	v_mov_b64_e32 v[20:21], 0
	v_sub_nc_u64_e64 v[14:15], v[14:15], s[12:13]
	v_mov_b64_e32 v[24:25], v[4:5]
	v_mov_b64_e32 v[26:27], v[12:13]
	v_add_nc_u64_e32 v[16:17], v[16:17], v[18:19]
	v_mov_b64_e32 v[18:19], 0
	s_mov_b32 s6, exec_lo
	v_add_nc_u64_e32 v[14:15], v[14:15], v[22:23]
	s_delay_alu instid0(VALU_DEP_1) | instskip(NEXT) | instid1(VALU_DEP_1)
	v_max_i64 v[14:15], v[14:15], v[6:7]
	v_add_nc_u64_e32 v[28:29], v[16:17], v[14:15]
	v_mov_b64_e32 v[16:17], 0
	v_mov_b64_e32 v[14:15], 0
	s_delay_alu instid0(VALU_DEP_3) | instskip(NEXT) | instid1(VALU_DEP_1)
	v_dual_mov_b32 v33, 0 :: v_dual_bitop2_b32 v32, 12, v28 bitop3:0x40
	v_cmpx_ne_u64_e32 12, v[32:33]
	s_cbranch_execz .LBB155_19
; %bb.16:
	v_lshrrev_b32_e32 v11, 2, v28
	v_mov_b64_e32 v[14:15], 0
	v_mov_b64_e32 v[16:17], 0
	;; [unrolled: 1-line block ×4, first 2 shown]
	v_add_nc_u32_e32 v11, 1, v11
	v_mov_b64_e32 v[26:27], v[12:13]
	v_mov_b64_e32 v[24:25], v[4:5]
	v_lshl_add_u64 v[30:31], v[4:5], 2, s[8:9]
	s_mov_b32 s7, 0
	v_and_b32_e32 v32, 3, v11
	s_delay_alu instid0(VALU_DEP_1)
	v_sub_nc_u64_e32 v[32:33], 0, v[32:33]
.LBB155_17:                             ; =>This Inner Loop Header: Depth=1
	global_load_b32 v11, v[30:31], off
	s_clause 0x3
	global_load_b128 v[34:37], v[26:27], off
	global_load_b128 v[38:41], v[26:27], off offset:16
	global_load_b128 v[42:45], v[26:27], off offset:32
	;; [unrolled: 1-line block ×3, first 2 shown]
	v_add_nc_u64_e32 v[32:33], 1, v[32:33]
	s_wait_xcnt 0x0
	v_add_nc_u64_e32 v[26:27], 0x100, v[26:27]
	v_add_nc_u64_e32 v[24:25], 4, v[24:25]
	;; [unrolled: 1-line block ×3, first 2 shown]
	s_delay_alu instid0(VALU_DEP_4)
	v_cmp_eq_u64_e32 vcc_lo, 0, v[32:33]
	s_or_b32 s7, vcc_lo, s7
	s_wait_loadcnt 0x4
	v_subrev_nc_u32_e32 v11, s12, v11
	s_wait_loadcnt 0x2
	v_cvt_f64_f32_e32 v[60:61], v38
	s_wait_loadcnt 0x1
	v_cvt_f64_f32_e32 v[62:63], v42
	s_wait_loadcnt 0x0
	v_cvt_f64_f32_e32 v[64:65], v46
	v_lshlrev_b32_e32 v50, 2, v11
	v_cvt_f64_f32_e32 v[38:39], v39
	v_cvt_f64_f32_e32 v[42:43], v43
	;; [unrolled: 1-line block ×3, first 2 shown]
	s_delay_alu instid0(VALU_DEP_4) | instskip(SKIP_1) | instid1(VALU_DEP_1)
	v_ashrrev_i32_e32 v51, 31, v50
	s_wait_kmcnt 0x0
	v_lshl_add_u64 v[58:59], v[50:51], 3, s[4:5]
	s_clause 0x1
	global_load_b128 v[50:53], v[58:59], off
	global_load_b128 v[54:57], v[58:59], off offset:16
	s_wait_xcnt 0x0
	v_cvt_f64_f32_e32 v[58:59], v34
	v_cvt_f64_f32_e32 v[34:35], v35
	s_wait_loadcnt 0x1
	s_delay_alu instid0(VALU_DEP_2)
	v_fmac_f64_e32 v[18:19], v[58:59], v[50:51]
	v_fmac_f64_e32 v[20:21], v[60:61], v[50:51]
	;; [unrolled: 1-line block ×4, first 2 shown]
	v_cvt_f64_f32_e32 v[50:51], v36
	v_cvt_f64_f32_e32 v[58:59], v40
	v_cvt_f64_f32_e32 v[60:61], v44
	v_cvt_f64_f32_e32 v[62:63], v48
	v_fmac_f64_e32 v[18:19], v[34:35], v[52:53]
	v_fmac_f64_e32 v[20:21], v[38:39], v[52:53]
	;; [unrolled: 1-line block ×4, first 2 shown]
	v_cvt_f64_f32_e32 v[34:35], v37
	v_cvt_f64_f32_e32 v[36:37], v41
	;; [unrolled: 1-line block ×4, first 2 shown]
	s_wait_loadcnt 0x0
	v_fmac_f64_e32 v[18:19], v[50:51], v[54:55]
	v_fmac_f64_e32 v[20:21], v[58:59], v[54:55]
	;; [unrolled: 1-line block ×4, first 2 shown]
	s_delay_alu instid0(VALU_DEP_4) | instskip(NEXT) | instid1(VALU_DEP_4)
	v_fmac_f64_e32 v[18:19], v[34:35], v[56:57]
	v_fmac_f64_e32 v[20:21], v[36:37], v[56:57]
	s_delay_alu instid0(VALU_DEP_4) | instskip(NEXT) | instid1(VALU_DEP_4)
	v_fmac_f64_e32 v[16:17], v[38:39], v[56:57]
	v_fmac_f64_e32 v[14:15], v[40:41], v[56:57]
	s_and_not1_b32 exec_lo, exec_lo, s7
	s_cbranch_execnz .LBB155_17
; %bb.18:
	s_or_b32 exec_lo, exec_lo, s7
.LBB155_19:
	s_delay_alu instid0(SALU_CYCLE_1) | instskip(NEXT) | instid1(SALU_CYCLE_1)
	s_or_b32 exec_lo, exec_lo, s6
	s_mov_b32 s6, exec_lo
	v_cmpx_lt_u64_e32 11, v[28:29]
	s_cbranch_execz .LBB155_23
; %bb.20:
	v_lshl_add_u64 v[28:29], v[24:25], 2, s[8:9]
	s_mov_b32 s7, 0
	s_delay_alu instid0(VALU_DEP_1)
	v_add_nc_u64_e32 v[28:29], 32, v[28:29]
.LBB155_21:                             ; =>This Inner Loop Header: Depth=1
	s_clause 0x2
	global_load_b32 v11, v[28:29], off offset:-32
	global_load_b32 v72, v[28:29], off offset:-16
	global_load_b32 v96, v[28:29], off
	s_clause 0x3
	global_load_b128 v[30:33], v[26:27], off
	global_load_b128 v[34:37], v[26:27], off offset:16
	global_load_b128 v[38:41], v[26:27], off offset:32
	;; [unrolled: 1-line block ×3, first 2 shown]
	global_load_b32 v118, v[28:29], off offset:16
	v_add_nc_u64_e32 v[24:25], 16, v[24:25]
	s_wait_xcnt 0x0
	v_add_nc_u64_e32 v[28:29], 64, v[28:29]
	s_delay_alu instid0(VALU_DEP_2)
	v_cmp_ge_i64_e32 vcc_lo, v[24:25], v[6:7]
	s_or_b32 s7, vcc_lo, s7
	s_wait_loadcnt 0x7
	v_subrev_nc_u32_e32 v11, s12, v11
	s_wait_loadcnt 0x4
	v_cvt_f64_f32_e32 v[102:103], v30
	s_wait_loadcnt 0x3
	v_cvt_f64_f32_e32 v[104:105], v34
	v_lshlrev_b32_e32 v46, 2, v11
	v_subrev_nc_u32_e32 v11, s12, v72
	s_wait_loadcnt 0x2
	v_cvt_f64_f32_e32 v[106:107], v38
	s_wait_loadcnt 0x1
	v_cvt_f64_f32_e32 v[108:109], v42
	v_cvt_f64_f32_e32 v[30:31], v31
	v_ashrrev_i32_e32 v47, 31, v46
	v_cvt_f64_f32_e32 v[34:35], v35
	v_cvt_f64_f32_e32 v[38:39], v39
	;; [unrolled: 1-line block ×3, first 2 shown]
	s_wait_kmcnt 0x0
	v_lshl_add_u64 v[70:71], v[46:47], 3, s[4:5]
	s_clause 0x1
	global_load_b128 v[46:49], v[70:71], off
	global_load_b128 v[50:53], v[70:71], off offset:16
	s_clause 0x3
	global_load_b128 v[54:57], v[26:27], off offset:256
	global_load_b128 v[58:61], v[26:27], off offset:272
	;; [unrolled: 1-line block ×4, first 2 shown]
	s_wait_xcnt 0x4
	v_lshlrev_b32_e32 v70, 2, v11
	v_subrev_nc_u32_e32 v11, s12, v96
	s_delay_alu instid0(VALU_DEP_2) | instskip(NEXT) | instid1(VALU_DEP_1)
	v_ashrrev_i32_e32 v71, 31, v70
	v_lshl_add_u64 v[94:95], v[70:71], 3, s[4:5]
	s_clause 0x1
	global_load_b128 v[70:73], v[94:95], off
	global_load_b128 v[74:77], v[94:95], off offset:16
	s_clause 0x3
	global_load_b128 v[78:81], v[26:27], off offset:512
	global_load_b128 v[82:85], v[26:27], off offset:528
	;; [unrolled: 1-line block ×4, first 2 shown]
	s_wait_xcnt 0x4
	v_lshlrev_b32_e32 v94, 2, v11
	s_wait_loadcnt 0xc
	v_subrev_nc_u32_e32 v11, s12, v118
	s_delay_alu instid0(VALU_DEP_2) | instskip(NEXT) | instid1(VALU_DEP_1)
	v_ashrrev_i32_e32 v95, 31, v94
	v_lshl_add_u64 v[98:99], v[94:95], 3, s[4:5]
	s_clause 0x1
	global_load_b128 v[94:97], v[98:99], off
	global_load_b128 v[98:101], v[98:99], off offset:16
	s_wait_loadcnt 0xd
	v_fmac_f64_e32 v[18:19], v[102:103], v[46:47]
	v_fmac_f64_e32 v[20:21], v[104:105], v[46:47]
	;; [unrolled: 1-line block ×4, first 2 shown]
	s_clause 0x3
	global_load_b128 v[102:105], v[26:27], off offset:816
	global_load_b128 v[106:109], v[26:27], off offset:784
	;; [unrolled: 1-line block ×4, first 2 shown]
	v_cvt_f64_f32_e32 v[46:47], v40
	v_cvt_f64_f32_e32 v[40:41], v41
	s_wait_xcnt 0x0
	v_add_nc_u64_e32 v[26:27], 0x400, v[26:27]
	v_fmac_f64_e32 v[18:19], v[30:31], v[48:49]
	v_fmac_f64_e32 v[20:21], v[34:35], v[48:49]
	;; [unrolled: 1-line block ×4, first 2 shown]
	v_cvt_f64_f32_e32 v[34:35], v32
	v_cvt_f64_f32_e32 v[38:39], v36
	;; [unrolled: 1-line block ×3, first 2 shown]
	v_lshlrev_b32_e32 v30, 2, v11
	v_cvt_f64_f32_e32 v[42:43], v33
	v_cvt_f64_f32_e32 v[36:37], v37
	;; [unrolled: 1-line block ×3, first 2 shown]
	s_delay_alu instid0(VALU_DEP_4) | instskip(NEXT) | instid1(VALU_DEP_1)
	v_ashrrev_i32_e32 v31, 31, v30
	v_lshl_add_u64 v[118:119], v[30:31], 3, s[4:5]
	global_load_b128 v[30:33], v[118:119], off
	s_wait_loadcnt 0x11
	v_fmac_f64_e32 v[16:17], v[46:47], v[50:51]
	s_wait_loadcnt 0xf
	v_cvt_f64_f32_e32 v[46:47], v58
	v_fmac_f64_e32 v[18:19], v[34:35], v[50:51]
	v_fmac_f64_e32 v[20:21], v[38:39], v[50:51]
	;; [unrolled: 1-line block ×3, first 2 shown]
	v_cvt_f64_f32_e32 v[38:39], v54
	s_wait_loadcnt 0xe
	v_cvt_f64_f32_e32 v[48:49], v62
	s_wait_loadcnt 0xd
	v_cvt_f64_f32_e32 v[50:51], v66
	v_fmac_f64_e32 v[16:17], v[40:41], v[52:53]
	v_cvt_f64_f32_e32 v[40:41], v55
	v_fmac_f64_e32 v[18:19], v[42:43], v[52:53]
	v_fmac_f64_e32 v[20:21], v[36:37], v[52:53]
	;; [unrolled: 1-line block ×3, first 2 shown]
	v_cvt_f64_f32_e32 v[42:43], v59
	v_cvt_f64_f32_e32 v[44:45], v63
	;; [unrolled: 1-line block ×3, first 2 shown]
	global_load_b128 v[34:37], v[118:119], off offset:16
	s_wait_loadcnt 0xd
	v_fmac_f64_e32 v[16:17], v[48:49], v[70:71]
	v_cvt_f64_f32_e32 v[48:49], v64
	v_fmac_f64_e32 v[18:19], v[38:39], v[70:71]
	v_fmac_f64_e32 v[20:21], v[46:47], v[70:71]
	;; [unrolled: 1-line block ×3, first 2 shown]
	v_cvt_f64_f32_e32 v[38:39], v56
	v_cvt_f64_f32_e32 v[46:47], v60
	;; [unrolled: 1-line block ×3, first 2 shown]
	v_fmac_f64_e32 v[16:17], v[44:45], v[72:73]
	v_cvt_f64_f32_e32 v[44:45], v65
	v_fmac_f64_e32 v[18:19], v[40:41], v[72:73]
	v_fmac_f64_e32 v[20:21], v[42:43], v[72:73]
	;; [unrolled: 1-line block ×3, first 2 shown]
	v_cvt_f64_f32_e32 v[40:41], v57
	v_cvt_f64_f32_e32 v[42:43], v61
	v_cvt_f64_f32_e32 v[52:53], v69
	s_wait_loadcnt 0xc
	v_fmac_f64_e32 v[16:17], v[48:49], v[74:75]
	s_wait_loadcnt 0x9
	v_cvt_f64_f32_e32 v[48:49], v86
	v_fmac_f64_e32 v[18:19], v[38:39], v[74:75]
	v_fmac_f64_e32 v[20:21], v[46:47], v[74:75]
	;; [unrolled: 1-line block ×3, first 2 shown]
	v_cvt_f64_f32_e32 v[38:39], v78
	v_cvt_f64_f32_e32 v[46:47], v82
	s_wait_loadcnt 0x8
	v_cvt_f64_f32_e32 v[50:51], v90
	v_fmac_f64_e32 v[16:17], v[44:45], v[76:77]
	v_cvt_f64_f32_e32 v[44:45], v87
	v_fmac_f64_e32 v[18:19], v[40:41], v[76:77]
	v_fmac_f64_e32 v[20:21], v[42:43], v[76:77]
	;; [unrolled: 1-line block ×3, first 2 shown]
	v_cvt_f64_f32_e32 v[40:41], v79
	v_cvt_f64_f32_e32 v[42:43], v83
	;; [unrolled: 1-line block ×3, first 2 shown]
	s_wait_loadcnt 0x7
	v_fmac_f64_e32 v[16:17], v[48:49], v[94:95]
	v_cvt_f64_f32_e32 v[48:49], v88
	v_fmac_f64_e32 v[18:19], v[38:39], v[94:95]
	v_fmac_f64_e32 v[20:21], v[46:47], v[94:95]
	;; [unrolled: 1-line block ×3, first 2 shown]
	v_cvt_f64_f32_e32 v[38:39], v80
	v_cvt_f64_f32_e32 v[46:47], v84
	;; [unrolled: 1-line block ×3, first 2 shown]
	v_fmac_f64_e32 v[16:17], v[44:45], v[96:97]
	v_cvt_f64_f32_e32 v[44:45], v89
	v_fmac_f64_e32 v[18:19], v[40:41], v[96:97]
	v_fmac_f64_e32 v[20:21], v[42:43], v[96:97]
	v_fmac_f64_e32 v[14:15], v[52:53], v[96:97]
	v_cvt_f64_f32_e32 v[40:41], v81
	v_cvt_f64_f32_e32 v[42:43], v85
	;; [unrolled: 1-line block ×3, first 2 shown]
	s_wait_loadcnt 0x6
	v_fmac_f64_e32 v[16:17], v[48:49], v[98:99]
	v_fmac_f64_e32 v[18:19], v[38:39], v[98:99]
	;; [unrolled: 1-line block ×4, first 2 shown]
	s_wait_loadcnt 0x3
	v_cvt_f64_f32_e32 v[38:39], v110
	v_cvt_f64_f32_e32 v[46:47], v106
	s_wait_loadcnt 0x2
	v_cvt_f64_f32_e32 v[48:49], v114
	v_cvt_f64_f32_e32 v[50:51], v102
	v_fmac_f64_e32 v[16:17], v[44:45], v[100:101]
	v_cvt_f64_f32_e32 v[44:45], v115
	v_fmac_f64_e32 v[18:19], v[40:41], v[100:101]
	v_fmac_f64_e32 v[20:21], v[42:43], v[100:101]
	;; [unrolled: 1-line block ×3, first 2 shown]
	v_cvt_f64_f32_e32 v[40:41], v111
	v_cvt_f64_f32_e32 v[42:43], v107
	;; [unrolled: 1-line block ×3, first 2 shown]
	s_wait_loadcnt 0x1
	v_fmac_f64_e32 v[16:17], v[48:49], v[30:31]
	v_cvt_f64_f32_e32 v[48:49], v104
	v_fmac_f64_e32 v[18:19], v[38:39], v[30:31]
	v_fmac_f64_e32 v[20:21], v[46:47], v[30:31]
	;; [unrolled: 1-line block ×3, first 2 shown]
	v_cvt_f64_f32_e32 v[30:31], v112
	v_cvt_f64_f32_e32 v[38:39], v108
	;; [unrolled: 1-line block ×3, first 2 shown]
	v_fmac_f64_e32 v[16:17], v[44:45], v[32:33]
	v_cvt_f64_f32_e32 v[44:45], v105
	v_fmac_f64_e32 v[18:19], v[40:41], v[32:33]
	v_fmac_f64_e32 v[20:21], v[42:43], v[32:33]
	;; [unrolled: 1-line block ×3, first 2 shown]
	v_cvt_f64_f32_e32 v[32:33], v113
	v_cvt_f64_f32_e32 v[40:41], v109
	;; [unrolled: 1-line block ×3, first 2 shown]
	s_wait_loadcnt 0x0
	v_fmac_f64_e32 v[16:17], v[46:47], v[34:35]
	v_fmac_f64_e32 v[18:19], v[30:31], v[34:35]
	v_fmac_f64_e32 v[20:21], v[38:39], v[34:35]
	v_fmac_f64_e32 v[14:15], v[48:49], v[34:35]
	s_delay_alu instid0(VALU_DEP_4) | instskip(NEXT) | instid1(VALU_DEP_4)
	v_fmac_f64_e32 v[16:17], v[42:43], v[36:37]
	v_fmac_f64_e32 v[18:19], v[32:33], v[36:37]
	s_delay_alu instid0(VALU_DEP_4) | instskip(NEXT) | instid1(VALU_DEP_4)
	v_fmac_f64_e32 v[20:21], v[40:41], v[36:37]
	v_fmac_f64_e32 v[14:15], v[44:45], v[36:37]
	s_and_not1_b32 exec_lo, exec_lo, s7
	s_cbranch_execnz .LBB155_21
; %bb.22:
	s_or_b32 exec_lo, exec_lo, s7
.LBB155_23:
	s_delay_alu instid0(SALU_CYCLE_1)
	s_or_b32 exec_lo, exec_lo, s6
.LBB155_24:
	s_delay_alu instid0(SALU_CYCLE_1)
	s_or_b32 exec_lo, exec_lo, s3
	s_cbranch_execz .LBB155_26
	s_branch .LBB155_37
.LBB155_25:
                                        ; implicit-def: $vgpr14_vgpr15
                                        ; implicit-def: $vgpr16_vgpr17
                                        ; implicit-def: $vgpr20_vgpr21
                                        ; implicit-def: $vgpr18_vgpr19
.LBB155_26:
	v_mov_b64_e32 v[14:15], 0
	v_mov_b64_e32 v[16:17], 0
	;; [unrolled: 1-line block ×4, first 2 shown]
	s_and_saveexec_b32 s3, s2
	s_cbranch_execz .LBB155_36
; %bb.27:
	v_dual_mov_b32 v15, v1 :: v_dual_bitop2_b32 v14, 4, v0 bitop3:0x54
	v_sub_nc_u64_e32 v[16:17], s[12:13], v[0:1]
	v_not_b32_e32 v19, v23
	v_not_b32_e32 v18, v22
	v_mov_b64_e32 v[20:21], 0
	v_sub_nc_u64_e64 v[14:15], v[14:15], s[12:13]
	s_mov_b32 s2, exec_lo
	s_delay_alu instid0(VALU_DEP_3) | instskip(SKIP_1) | instid1(VALU_DEP_3)
	v_add_nc_u64_e32 v[16:17], v[16:17], v[18:19]
	v_mov_b64_e32 v[18:19], 0
	v_add_nc_u64_e32 v[14:15], v[14:15], v[22:23]
	s_delay_alu instid0(VALU_DEP_1) | instskip(NEXT) | instid1(VALU_DEP_1)
	v_max_i64 v[14:15], v[14:15], v[6:7]
	v_add_nc_u64_e32 v[22:23], v[16:17], v[14:15]
	v_mov_b64_e32 v[16:17], 0
	v_mov_b64_e32 v[14:15], 0
	s_delay_alu instid0(VALU_DEP_3) | instskip(NEXT) | instid1(VALU_DEP_1)
	v_dual_mov_b32 v25, 0 :: v_dual_bitop2_b32 v24, 12, v22 bitop3:0x40
	v_cmpx_ne_u64_e32 12, v[24:25]
	s_cbranch_execz .LBB155_31
; %bb.28:
	v_lshrrev_b32_e32 v1, 2, v22
	v_mov_b64_e32 v[14:15], 0
	v_mov_b64_e32 v[16:17], 0
	;; [unrolled: 1-line block ×4, first 2 shown]
	v_add_nc_u32_e32 v1, 1, v1
	v_lshl_add_u64 v[26:27], v[4:5], 2, s[8:9]
	s_mov_b32 s6, 0
	s_delay_alu instid0(VALU_DEP_2) | instskip(NEXT) | instid1(VALU_DEP_1)
	v_and_b32_e32 v24, 3, v1
	v_sub_nc_u64_e32 v[24:25], 0, v[24:25]
.LBB155_29:                             ; =>This Inner Loop Header: Depth=1
	global_load_b32 v1, v[26:27], off
	s_clause 0x1
	global_load_b128 v[28:31], v[12:13], off
	global_load_b128 v[32:35], v[12:13], off offset:16
	v_add_nc_u64_e32 v[24:25], 1, v[24:25]
	v_add_nc_u64_e32 v[4:5], 4, v[4:5]
	s_wait_xcnt 0x2
	v_add_nc_u64_e32 v[26:27], 16, v[26:27]
	s_delay_alu instid0(VALU_DEP_3)
	v_cmp_eq_u64_e32 vcc_lo, 0, v[24:25]
	s_or_b32 s6, vcc_lo, s6
	s_wait_loadcnt 0x2
	v_subrev_nc_u32_e32 v1, s12, v1
	s_wait_loadcnt 0x1
	v_cvt_f64_f32_e32 v[54:55], v30
	v_cvt_f64_f32_e32 v[30:31], v31
	s_wait_loadcnt 0x0
	v_cvt_f64_f32_e32 v[56:57], v32
	v_cvt_f64_f32_e32 v[32:33], v33
	v_lshlrev_b32_e32 v36, 2, v1
	v_cvt_f64_f32_e32 v[58:59], v34
	v_cvt_f64_f32_e32 v[34:35], v35
	s_delay_alu instid0(VALU_DEP_3) | instskip(SKIP_1) | instid1(VALU_DEP_1)
	v_ashrrev_i32_e32 v37, 31, v36
	s_wait_kmcnt 0x0
	v_lshl_add_u64 v[52:53], v[36:37], 3, s[4:5]
	s_clause 0x1
	global_load_b128 v[36:39], v[52:53], off
	global_load_b128 v[40:43], v[52:53], off offset:16
	s_clause 0x1
	global_load_b128 v[44:47], v[12:13], off offset:32
	global_load_b128 v[48:51], v[12:13], off offset:48
	s_wait_xcnt 0x2
	v_cvt_f64_f32_e32 v[52:53], v28
	v_cvt_f64_f32_e32 v[28:29], v29
	s_wait_xcnt 0x0
	v_add_nc_u64_e32 v[12:13], 0x100, v[12:13]
	s_wait_loadcnt 0x3
	s_delay_alu instid0(VALU_DEP_3) | instskip(NEXT) | instid1(VALU_DEP_3)
	v_fmac_f64_e32 v[18:19], v[52:53], v[36:37]
	v_fmac_f64_e32 v[20:21], v[28:29], v[36:37]
	;; [unrolled: 1-line block ×4, first 2 shown]
	s_wait_loadcnt 0x1
	v_cvt_f64_f32_e32 v[28:29], v44
	v_cvt_f64_f32_e32 v[30:31], v45
	;; [unrolled: 1-line block ×4, first 2 shown]
	s_wait_loadcnt 0x0
	v_cvt_f64_f32_e32 v[46:47], v51
	v_fmac_f64_e32 v[18:19], v[56:57], v[38:39]
	v_fmac_f64_e32 v[20:21], v[32:33], v[38:39]
	;; [unrolled: 1-line block ×4, first 2 shown]
	v_cvt_f64_f32_e32 v[32:33], v48
	v_cvt_f64_f32_e32 v[34:35], v49
	;; [unrolled: 1-line block ×3, first 2 shown]
	v_fmac_f64_e32 v[18:19], v[28:29], v[40:41]
	v_fmac_f64_e32 v[20:21], v[30:31], v[40:41]
	;; [unrolled: 1-line block ×4, first 2 shown]
	s_delay_alu instid0(VALU_DEP_4) | instskip(NEXT) | instid1(VALU_DEP_4)
	v_fmac_f64_e32 v[18:19], v[32:33], v[42:43]
	v_fmac_f64_e32 v[20:21], v[34:35], v[42:43]
	s_delay_alu instid0(VALU_DEP_4) | instskip(NEXT) | instid1(VALU_DEP_4)
	v_fmac_f64_e32 v[16:17], v[38:39], v[42:43]
	v_fmac_f64_e32 v[14:15], v[46:47], v[42:43]
	s_and_not1_b32 exec_lo, exec_lo, s6
	s_cbranch_execnz .LBB155_29
; %bb.30:
	s_or_b32 exec_lo, exec_lo, s6
.LBB155_31:
	s_delay_alu instid0(SALU_CYCLE_1) | instskip(NEXT) | instid1(SALU_CYCLE_1)
	s_or_b32 exec_lo, exec_lo, s2
	s_mov_b32 s2, exec_lo
	v_cmpx_lt_u64_e32 11, v[22:23]
	s_cbranch_execz .LBB155_35
; %bb.32:
	v_lshl_add_u64 v[22:23], v[4:5], 2, s[8:9]
	s_mov_b32 s6, 0
	s_delay_alu instid0(VALU_DEP_1)
	v_add_nc_u64_e32 v[22:23], 32, v[22:23]
.LBB155_33:                             ; =>This Inner Loop Header: Depth=1
	s_clause 0x2
	global_load_b32 v1, v[22:23], off offset:-32
	global_load_b32 v11, v[22:23], off offset:-16
	global_load_b32 v78, v[22:23], off
	global_load_b128 v[24:27], v[12:13], off
	global_load_b32 v108, v[22:23], off offset:16
	v_add_nc_u64_e32 v[4:5], 16, v[4:5]
	s_wait_xcnt 0x0
	v_add_nc_u64_e32 v[22:23], 64, v[22:23]
	s_delay_alu instid0(VALU_DEP_2)
	v_cmp_ge_i64_e32 vcc_lo, v[4:5], v[6:7]
	s_or_b32 s6, vcc_lo, s6
	s_wait_loadcnt 0x4
	v_subrev_nc_u32_e32 v1, s12, v1
	s_wait_loadcnt 0x1
	v_cvt_f64_f32_e32 v[90:91], v24
	v_cvt_f64_f32_e32 v[92:93], v25
	s_delay_alu instid0(VALU_DEP_3) | instskip(SKIP_3) | instid1(VALU_DEP_4)
	v_lshlrev_b32_e32 v28, 2, v1
	v_subrev_nc_u32_e32 v1, s12, v11
	v_cvt_f64_f32_e32 v[94:95], v26
	v_cvt_f64_f32_e32 v[96:97], v27
	v_ashrrev_i32_e32 v29, 31, v28
	s_wait_kmcnt 0x0
	s_delay_alu instid0(VALU_DEP_1)
	v_lshl_add_u64 v[52:53], v[28:29], 3, s[4:5]
	global_load_b128 v[28:31], v[12:13], off offset:16
	global_load_b128 v[32:35], v[52:53], off
	s_clause 0x1
	global_load_b128 v[36:39], v[12:13], off offset:32
	global_load_b128 v[40:43], v[12:13], off offset:48
	;; [unrolled: 1-line block ×4, first 2 shown]
	s_wait_xcnt 0x1
	v_lshlrev_b32_e32 v52, 2, v1
	v_subrev_nc_u32_e32 v1, s12, v78
	s_delay_alu instid0(VALU_DEP_2) | instskip(NEXT) | instid1(VALU_DEP_1)
	v_ashrrev_i32_e32 v53, 31, v52
	v_lshl_add_u64 v[76:77], v[52:53], 3, s[4:5]
	global_load_b128 v[52:55], v[12:13], off offset:272
	global_load_b128 v[56:59], v[76:77], off
	s_clause 0x1
	global_load_b128 v[60:63], v[12:13], off offset:288
	global_load_b128 v[64:67], v[12:13], off offset:304
	;; [unrolled: 1-line block ×4, first 2 shown]
	s_wait_xcnt 0x1
	v_lshlrev_b32_e32 v76, 2, v1
	s_wait_loadcnt 0xc
	v_subrev_nc_u32_e32 v1, s12, v108
	s_delay_alu instid0(VALU_DEP_2) | instskip(NEXT) | instid1(VALU_DEP_1)
	v_ashrrev_i32_e32 v77, 31, v76
	v_lshl_add_u64 v[88:89], v[76:77], 3, s[4:5]
	global_load_b128 v[76:79], v[12:13], off offset:528
	global_load_b128 v[80:83], v[88:89], off
	s_clause 0x1
	global_load_b128 v[84:87], v[12:13], off offset:544
	global_load_b128 v[24:27], v[12:13], off offset:560
	s_wait_loadcnt 0xf
	v_cvt_f64_f32_e32 v[98:99], v28
	v_cvt_f64_f32_e32 v[100:101], v29
	;; [unrolled: 1-line block ×4, first 2 shown]
	global_load_b128 v[28:31], v[88:89], off offset:16
	s_wait_loadcnt 0xf
	v_fmac_f64_e32 v[18:19], v[90:91], v[32:33]
	v_fmac_f64_e32 v[20:21], v[92:93], v[32:33]
	;; [unrolled: 1-line block ×4, first 2 shown]
	s_wait_loadcnt 0xe
	v_cvt_f64_f32_e32 v[92:93], v36
	v_lshlrev_b32_e32 v36, 2, v1
	v_cvt_f64_f32_e32 v[94:95], v37
	v_cvt_f64_f32_e32 v[96:97], v38
	;; [unrolled: 1-line block ×3, first 2 shown]
	s_delay_alu instid0(VALU_DEP_4) | instskip(NEXT) | instid1(VALU_DEP_1)
	v_ashrrev_i32_e32 v37, 31, v36
	v_lshl_add_u64 v[108:109], v[36:37], 3, s[4:5]
	global_load_b128 v[36:39], v[108:109], off
	global_load_b128 v[88:91], v[12:13], off offset:768
	v_fmac_f64_e32 v[18:19], v[98:99], v[34:35]
	v_fmac_f64_e32 v[20:21], v[100:101], v[34:35]
	;; [unrolled: 1-line block ×4, first 2 shown]
	global_load_b128 v[32:35], v[12:13], off offset:784
	s_wait_loadcnt 0x10
	v_cvt_f64_f32_e32 v[98:99], v40
	v_cvt_f64_f32_e32 v[100:101], v41
	;; [unrolled: 1-line block ×4, first 2 shown]
	global_load_b128 v[40:43], v[12:13], off offset:800
	s_wait_loadcnt 0x10
	v_fmac_f64_e32 v[18:19], v[92:93], v[44:45]
	v_fmac_f64_e32 v[20:21], v[94:95], v[44:45]
	v_fmac_f64_e32 v[16:17], v[96:97], v[44:45]
	v_fmac_f64_e32 v[14:15], v[106:107], v[44:45]
	s_wait_loadcnt 0xf
	v_cvt_f64_f32_e32 v[92:93], v48
	v_cvt_f64_f32_e32 v[94:95], v49
	;; [unrolled: 1-line block ×4, first 2 shown]
	global_load_b128 v[48:51], v[108:109], off offset:16
	v_fmac_f64_e32 v[18:19], v[98:99], v[46:47]
	v_fmac_f64_e32 v[20:21], v[100:101], v[46:47]
	;; [unrolled: 1-line block ×4, first 2 shown]
	global_load_b128 v[44:47], v[12:13], off offset:816
	s_wait_loadcnt 0x10
	v_cvt_f64_f32_e32 v[98:99], v52
	v_cvt_f64_f32_e32 v[52:53], v53
	v_cvt_f64_f32_e32 v[100:101], v54
	v_cvt_f64_f32_e32 v[54:55], v55
	s_wait_xcnt 0x0
	v_add_nc_u64_e32 v[12:13], 0x400, v[12:13]
	s_wait_loadcnt 0xf
	v_fmac_f64_e32 v[18:19], v[92:93], v[56:57]
	v_fmac_f64_e32 v[20:21], v[94:95], v[56:57]
	;; [unrolled: 1-line block ×4, first 2 shown]
	s_wait_loadcnt 0xe
	v_cvt_f64_f32_e32 v[56:57], v60
	v_cvt_f64_f32_e32 v[60:61], v61
	v_cvt_f64_f32_e32 v[92:93], v62
	v_cvt_f64_f32_e32 v[62:63], v63
	v_fmac_f64_e32 v[18:19], v[98:99], v[58:59]
	v_fmac_f64_e32 v[20:21], v[52:53], v[58:59]
	;; [unrolled: 1-line block ×4, first 2 shown]
	s_wait_loadcnt 0xd
	v_cvt_f64_f32_e32 v[52:53], v64
	v_cvt_f64_f32_e32 v[54:55], v65
	;; [unrolled: 1-line block ×4, first 2 shown]
	s_wait_loadcnt 0xb
	v_cvt_f64_f32_e32 v[66:67], v75
	v_fmac_f64_e32 v[18:19], v[56:57], v[68:69]
	v_fmac_f64_e32 v[20:21], v[60:61], v[68:69]
	;; [unrolled: 1-line block ×4, first 2 shown]
	v_cvt_f64_f32_e32 v[56:57], v72
	v_cvt_f64_f32_e32 v[60:61], v73
	;; [unrolled: 1-line block ×3, first 2 shown]
	v_fmac_f64_e32 v[18:19], v[52:53], v[70:71]
	v_fmac_f64_e32 v[20:21], v[54:55], v[70:71]
	;; [unrolled: 1-line block ×4, first 2 shown]
	s_wait_loadcnt 0xa
	v_cvt_f64_f32_e32 v[52:53], v76
	v_cvt_f64_f32_e32 v[54:55], v77
	;; [unrolled: 1-line block ×4, first 2 shown]
	s_wait_loadcnt 0x9
	v_fmac_f64_e32 v[18:19], v[56:57], v[80:81]
	v_fmac_f64_e32 v[20:21], v[60:61], v[80:81]
	;; [unrolled: 1-line block ×4, first 2 shown]
	s_wait_loadcnt 0x8
	v_cvt_f64_f32_e32 v[56:57], v84
	v_cvt_f64_f32_e32 v[60:61], v85
	;; [unrolled: 1-line block ×4, first 2 shown]
	v_fmac_f64_e32 v[18:19], v[52:53], v[82:83]
	v_fmac_f64_e32 v[20:21], v[54:55], v[82:83]
	;; [unrolled: 1-line block ×4, first 2 shown]
	s_wait_loadcnt 0x7
	v_cvt_f64_f32_e32 v[52:53], v24
	v_cvt_f64_f32_e32 v[24:25], v25
	;; [unrolled: 1-line block ×4, first 2 shown]
	s_wait_loadcnt 0x6
	v_fmac_f64_e32 v[18:19], v[56:57], v[28:29]
	v_fmac_f64_e32 v[20:21], v[60:61], v[28:29]
	;; [unrolled: 1-line block ×4, first 2 shown]
	s_wait_loadcnt 0x4
	v_cvt_f64_f32_e32 v[28:29], v88
	v_cvt_f64_f32_e32 v[56:57], v89
	;; [unrolled: 1-line block ×4, first 2 shown]
	v_fmac_f64_e32 v[18:19], v[52:53], v[30:31]
	v_fmac_f64_e32 v[20:21], v[24:25], v[30:31]
	;; [unrolled: 1-line block ×4, first 2 shown]
	s_wait_loadcnt 0x3
	v_cvt_f64_f32_e32 v[24:25], v32
	v_cvt_f64_f32_e32 v[26:27], v33
	;; [unrolled: 1-line block ×4, first 2 shown]
	s_wait_loadcnt 0x2
	v_cvt_f64_f32_e32 v[34:35], v41
	v_fmac_f64_e32 v[18:19], v[28:29], v[36:37]
	v_fmac_f64_e32 v[20:21], v[56:57], v[36:37]
	;; [unrolled: 1-line block ×4, first 2 shown]
	v_cvt_f64_f32_e32 v[28:29], v40
	v_cvt_f64_f32_e32 v[36:37], v42
	;; [unrolled: 1-line block ×3, first 2 shown]
	v_fmac_f64_e32 v[18:19], v[24:25], v[38:39]
	v_fmac_f64_e32 v[20:21], v[26:27], v[38:39]
	;; [unrolled: 1-line block ×4, first 2 shown]
	s_wait_loadcnt 0x0
	v_cvt_f64_f32_e32 v[24:25], v44
	v_cvt_f64_f32_e32 v[26:27], v45
	;; [unrolled: 1-line block ×4, first 2 shown]
	v_fmac_f64_e32 v[18:19], v[28:29], v[48:49]
	v_fmac_f64_e32 v[20:21], v[34:35], v[48:49]
	;; [unrolled: 1-line block ×4, first 2 shown]
	s_delay_alu instid0(VALU_DEP_4) | instskip(NEXT) | instid1(VALU_DEP_4)
	v_fmac_f64_e32 v[18:19], v[24:25], v[50:51]
	v_fmac_f64_e32 v[20:21], v[26:27], v[50:51]
	s_delay_alu instid0(VALU_DEP_4) | instskip(NEXT) | instid1(VALU_DEP_4)
	v_fmac_f64_e32 v[16:17], v[30:31], v[50:51]
	v_fmac_f64_e32 v[14:15], v[32:33], v[50:51]
	s_and_not1_b32 exec_lo, exec_lo, s6
	s_cbranch_execnz .LBB155_33
; %bb.34:
	s_or_b32 exec_lo, exec_lo, s6
.LBB155_35:
	s_delay_alu instid0(SALU_CYCLE_1)
	s_or_b32 exec_lo, exec_lo, s2
.LBB155_36:
	s_delay_alu instid0(SALU_CYCLE_1)
	s_or_b32 exec_lo, exec_lo, s3
.LBB155_37:
	v_mbcnt_lo_u32_b32 v1, -1, 0
	s_delay_alu instid0(VALU_DEP_1) | instskip(NEXT) | instid1(VALU_DEP_1)
	v_xor_b32_e32 v4, 2, v1
	v_cmp_gt_i32_e32 vcc_lo, 32, v4
	v_cndmask_b32_e32 v4, v1, v4, vcc_lo
	s_delay_alu instid0(VALU_DEP_1)
	v_lshlrev_b32_e32 v11, 2, v4
	ds_bpermute_b32 v4, v11, v18
	ds_bpermute_b32 v5, v11, v19
	ds_bpermute_b32 v22, v11, v16
	ds_bpermute_b32 v23, v11, v17
	s_wait_dscnt 0x2
	v_add_f64_e32 v[18:19], v[18:19], v[4:5]
	s_wait_dscnt 0x0
	v_add_f64_e32 v[4:5], v[16:17], v[22:23]
	ds_bpermute_b32 v6, v11, v20
	ds_bpermute_b32 v7, v11, v21
	;; [unrolled: 1-line block ×4, first 2 shown]
	v_xor_b32_e32 v11, 1, v1
	s_delay_alu instid0(VALU_DEP_1) | instskip(SKIP_3) | instid1(VALU_DEP_2)
	v_cmp_gt_i32_e32 vcc_lo, 32, v11
	v_cndmask_b32_e32 v1, v1, v11, vcc_lo
	v_cmp_eq_u32_e32 vcc_lo, 3, v0
	s_wait_dscnt 0x2
	v_dual_add_f64 v[12:13], v[20:21], v[6:7] :: v_dual_lshlrev_b32 v1, 2, v1
	s_wait_dscnt 0x0
	v_add_f64_e32 v[6:7], v[14:15], v[24:25]
	ds_bpermute_b32 v22, v1, v18
	ds_bpermute_b32 v23, v1, v19
	;; [unrolled: 1-line block ×8, first 2 shown]
	s_and_b32 exec_lo, exec_lo, vcc_lo
	s_cbranch_execz .LBB155_10
; %bb.38:
	s_wait_dscnt 0x6
	v_add_f64_e32 v[0:1], v[18:19], v[22:23]
	s_wait_dscnt 0x2
	v_dual_add_f64 v[12:13], v[12:13], v[20:21] :: v_dual_lshlrev_b32 v10, 2, v10
	v_add_f64_e32 v[16:17], v[4:5], v[16:17]
	s_wait_dscnt 0x0
	v_add_f64_e32 v[14:15], v[6:7], v[14:15]
	s_load_b64 s[0:1], s[0:1], 0x50
	s_mov_b32 s2, exec_lo
	s_delay_alu instid0(VALU_DEP_4) | instskip(NEXT) | instid1(VALU_DEP_4)
	v_mul_f64_e32 v[4:5], v[2:3], v[0:1]
	v_mul_f64_e32 v[6:7], v[2:3], v[12:13]
	s_delay_alu instid0(VALU_DEP_4) | instskip(NEXT) | instid1(VALU_DEP_4)
	v_mul_f64_e32 v[0:1], v[2:3], v[16:17]
	v_mul_f64_e32 v[2:3], v[2:3], v[14:15]
	v_cmpx_eq_f64_e32 0, v[8:9]
	s_xor_b32 s2, exec_lo, s2
	s_cbranch_execz .LBB155_40
; %bb.39:
	v_ashrrev_i32_e32 v11, 31, v10
	s_wait_kmcnt 0x0
	s_delay_alu instid0(VALU_DEP_1)
	v_lshl_add_u64 v[8:9], v[10:11], 3, s[0:1]
                                        ; implicit-def: $vgpr10
	s_clause 0x1
	global_store_b128 v[8:9], v[4:7], off
	global_store_b128 v[8:9], v[0:3], off offset:16
                                        ; implicit-def: $vgpr8_vgpr9
                                        ; implicit-def: $vgpr4_vgpr5
                                        ; implicit-def: $vgpr0_vgpr1
.LBB155_40:
	s_wait_xcnt 0x0
	s_and_not1_saveexec_b32 s2, s2
	s_cbranch_execz .LBB155_10
; %bb.41:
	v_ashrrev_i32_e32 v11, 31, v10
	s_wait_kmcnt 0x0
	s_delay_alu instid0(VALU_DEP_1)
	v_lshl_add_u64 v[18:19], v[10:11], 3, s[0:1]
	s_clause 0x1
	global_load_b128 v[10:13], v[18:19], off
	global_load_b128 v[14:17], v[18:19], off offset:16
	s_wait_loadcnt 0x1
	v_fmac_f64_e32 v[4:5], v[8:9], v[10:11]
	v_fmac_f64_e32 v[6:7], v[8:9], v[12:13]
	s_wait_loadcnt 0x0
	v_fmac_f64_e32 v[0:1], v[8:9], v[14:15]
	v_fmac_f64_e32 v[2:3], v[8:9], v[16:17]
	s_clause 0x1
	global_store_b128 v[18:19], v[4:7], off
	global_store_b128 v[18:19], v[0:3], off offset:16
	s_sendmsg sendmsg(MSG_DEALLOC_VGPRS)
	s_endpgm
	.section	.rodata,"a",@progbits
	.p2align	6, 0x0
	.amdhsa_kernel _ZN9rocsparseL18bsrxmvn_4x4_kernelILj128ELj4EdlifddEEvT3_20rocsparse_direction_NS_24const_host_device_scalarIT1_EES1_PKS1_PKT2_SA_S7_PKT4_PKT5_S5_PT6_21rocsparse_index_base_b
		.amdhsa_group_segment_fixed_size 0
		.amdhsa_private_segment_fixed_size 0
		.amdhsa_kernarg_size 96
		.amdhsa_user_sgpr_count 2
		.amdhsa_user_sgpr_dispatch_ptr 0
		.amdhsa_user_sgpr_queue_ptr 0
		.amdhsa_user_sgpr_kernarg_segment_ptr 1
		.amdhsa_user_sgpr_dispatch_id 0
		.amdhsa_user_sgpr_kernarg_preload_length 0
		.amdhsa_user_sgpr_kernarg_preload_offset 0
		.amdhsa_user_sgpr_private_segment_size 0
		.amdhsa_wavefront_size32 1
		.amdhsa_uses_dynamic_stack 0
		.amdhsa_enable_private_segment 0
		.amdhsa_system_sgpr_workgroup_id_x 1
		.amdhsa_system_sgpr_workgroup_id_y 0
		.amdhsa_system_sgpr_workgroup_id_z 0
		.amdhsa_system_sgpr_workgroup_info 0
		.amdhsa_system_vgpr_workitem_id 0
		.amdhsa_next_free_vgpr 120
		.amdhsa_next_free_sgpr 14
		.amdhsa_named_barrier_count 0
		.amdhsa_reserve_vcc 1
		.amdhsa_float_round_mode_32 0
		.amdhsa_float_round_mode_16_64 0
		.amdhsa_float_denorm_mode_32 3
		.amdhsa_float_denorm_mode_16_64 3
		.amdhsa_fp16_overflow 0
		.amdhsa_memory_ordered 1
		.amdhsa_forward_progress 1
		.amdhsa_inst_pref_size 35
		.amdhsa_round_robin_scheduling 0
		.amdhsa_exception_fp_ieee_invalid_op 0
		.amdhsa_exception_fp_denorm_src 0
		.amdhsa_exception_fp_ieee_div_zero 0
		.amdhsa_exception_fp_ieee_overflow 0
		.amdhsa_exception_fp_ieee_underflow 0
		.amdhsa_exception_fp_ieee_inexact 0
		.amdhsa_exception_int_div_zero 0
	.end_amdhsa_kernel
	.section	.text._ZN9rocsparseL18bsrxmvn_4x4_kernelILj128ELj4EdlifddEEvT3_20rocsparse_direction_NS_24const_host_device_scalarIT1_EES1_PKS1_PKT2_SA_S7_PKT4_PKT5_S5_PT6_21rocsparse_index_base_b,"axG",@progbits,_ZN9rocsparseL18bsrxmvn_4x4_kernelILj128ELj4EdlifddEEvT3_20rocsparse_direction_NS_24const_host_device_scalarIT1_EES1_PKS1_PKT2_SA_S7_PKT4_PKT5_S5_PT6_21rocsparse_index_base_b,comdat
.Lfunc_end155:
	.size	_ZN9rocsparseL18bsrxmvn_4x4_kernelILj128ELj4EdlifddEEvT3_20rocsparse_direction_NS_24const_host_device_scalarIT1_EES1_PKS1_PKT2_SA_S7_PKT4_PKT5_S5_PT6_21rocsparse_index_base_b, .Lfunc_end155-_ZN9rocsparseL18bsrxmvn_4x4_kernelILj128ELj4EdlifddEEvT3_20rocsparse_direction_NS_24const_host_device_scalarIT1_EES1_PKS1_PKT2_SA_S7_PKT4_PKT5_S5_PT6_21rocsparse_index_base_b
                                        ; -- End function
	.set _ZN9rocsparseL18bsrxmvn_4x4_kernelILj128ELj4EdlifddEEvT3_20rocsparse_direction_NS_24const_host_device_scalarIT1_EES1_PKS1_PKT2_SA_S7_PKT4_PKT5_S5_PT6_21rocsparse_index_base_b.num_vgpr, 120
	.set _ZN9rocsparseL18bsrxmvn_4x4_kernelILj128ELj4EdlifddEEvT3_20rocsparse_direction_NS_24const_host_device_scalarIT1_EES1_PKS1_PKT2_SA_S7_PKT4_PKT5_S5_PT6_21rocsparse_index_base_b.num_agpr, 0
	.set _ZN9rocsparseL18bsrxmvn_4x4_kernelILj128ELj4EdlifddEEvT3_20rocsparse_direction_NS_24const_host_device_scalarIT1_EES1_PKS1_PKT2_SA_S7_PKT4_PKT5_S5_PT6_21rocsparse_index_base_b.numbered_sgpr, 14
	.set _ZN9rocsparseL18bsrxmvn_4x4_kernelILj128ELj4EdlifddEEvT3_20rocsparse_direction_NS_24const_host_device_scalarIT1_EES1_PKS1_PKT2_SA_S7_PKT4_PKT5_S5_PT6_21rocsparse_index_base_b.num_named_barrier, 0
	.set _ZN9rocsparseL18bsrxmvn_4x4_kernelILj128ELj4EdlifddEEvT3_20rocsparse_direction_NS_24const_host_device_scalarIT1_EES1_PKS1_PKT2_SA_S7_PKT4_PKT5_S5_PT6_21rocsparse_index_base_b.private_seg_size, 0
	.set _ZN9rocsparseL18bsrxmvn_4x4_kernelILj128ELj4EdlifddEEvT3_20rocsparse_direction_NS_24const_host_device_scalarIT1_EES1_PKS1_PKT2_SA_S7_PKT4_PKT5_S5_PT6_21rocsparse_index_base_b.uses_vcc, 1
	.set _ZN9rocsparseL18bsrxmvn_4x4_kernelILj128ELj4EdlifddEEvT3_20rocsparse_direction_NS_24const_host_device_scalarIT1_EES1_PKS1_PKT2_SA_S7_PKT4_PKT5_S5_PT6_21rocsparse_index_base_b.uses_flat_scratch, 0
	.set _ZN9rocsparseL18bsrxmvn_4x4_kernelILj128ELj4EdlifddEEvT3_20rocsparse_direction_NS_24const_host_device_scalarIT1_EES1_PKS1_PKT2_SA_S7_PKT4_PKT5_S5_PT6_21rocsparse_index_base_b.has_dyn_sized_stack, 0
	.set _ZN9rocsparseL18bsrxmvn_4x4_kernelILj128ELj4EdlifddEEvT3_20rocsparse_direction_NS_24const_host_device_scalarIT1_EES1_PKS1_PKT2_SA_S7_PKT4_PKT5_S5_PT6_21rocsparse_index_base_b.has_recursion, 0
	.set _ZN9rocsparseL18bsrxmvn_4x4_kernelILj128ELj4EdlifddEEvT3_20rocsparse_direction_NS_24const_host_device_scalarIT1_EES1_PKS1_PKT2_SA_S7_PKT4_PKT5_S5_PT6_21rocsparse_index_base_b.has_indirect_call, 0
	.section	.AMDGPU.csdata,"",@progbits
; Kernel info:
; codeLenInByte = 4428
; TotalNumSgprs: 16
; NumVgprs: 120
; ScratchSize: 0
; MemoryBound: 0
; FloatMode: 240
; IeeeMode: 1
; LDSByteSize: 0 bytes/workgroup (compile time only)
; SGPRBlocks: 0
; VGPRBlocks: 7
; NumSGPRsForWavesPerEU: 16
; NumVGPRsForWavesPerEU: 120
; NamedBarCnt: 0
; Occupancy: 8
; WaveLimiterHint : 1
; COMPUTE_PGM_RSRC2:SCRATCH_EN: 0
; COMPUTE_PGM_RSRC2:USER_SGPR: 2
; COMPUTE_PGM_RSRC2:TRAP_HANDLER: 0
; COMPUTE_PGM_RSRC2:TGID_X_EN: 1
; COMPUTE_PGM_RSRC2:TGID_Y_EN: 0
; COMPUTE_PGM_RSRC2:TGID_Z_EN: 0
; COMPUTE_PGM_RSRC2:TIDIG_COMP_CNT: 0
	.section	.text._ZN9rocsparseL18bsrxmvn_4x4_kernelILj128ELj8EdlifddEEvT3_20rocsparse_direction_NS_24const_host_device_scalarIT1_EES1_PKS1_PKT2_SA_S7_PKT4_PKT5_S5_PT6_21rocsparse_index_base_b,"axG",@progbits,_ZN9rocsparseL18bsrxmvn_4x4_kernelILj128ELj8EdlifddEEvT3_20rocsparse_direction_NS_24const_host_device_scalarIT1_EES1_PKS1_PKT2_SA_S7_PKT4_PKT5_S5_PT6_21rocsparse_index_base_b,comdat
	.globl	_ZN9rocsparseL18bsrxmvn_4x4_kernelILj128ELj8EdlifddEEvT3_20rocsparse_direction_NS_24const_host_device_scalarIT1_EES1_PKS1_PKT2_SA_S7_PKT4_PKT5_S5_PT6_21rocsparse_index_base_b ; -- Begin function _ZN9rocsparseL18bsrxmvn_4x4_kernelILj128ELj8EdlifddEEvT3_20rocsparse_direction_NS_24const_host_device_scalarIT1_EES1_PKS1_PKT2_SA_S7_PKT4_PKT5_S5_PT6_21rocsparse_index_base_b
	.p2align	8
	.type	_ZN9rocsparseL18bsrxmvn_4x4_kernelILj128ELj8EdlifddEEvT3_20rocsparse_direction_NS_24const_host_device_scalarIT1_EES1_PKS1_PKT2_SA_S7_PKT4_PKT5_S5_PT6_21rocsparse_index_base_b,@function
_ZN9rocsparseL18bsrxmvn_4x4_kernelILj128ELj8EdlifddEEvT3_20rocsparse_direction_NS_24const_host_device_scalarIT1_EES1_PKS1_PKT2_SA_S7_PKT4_PKT5_S5_PT6_21rocsparse_index_base_b: ; @_ZN9rocsparseL18bsrxmvn_4x4_kernelILj128ELj8EdlifddEEvT3_20rocsparse_direction_NS_24const_host_device_scalarIT1_EES1_PKS1_PKT2_SA_S7_PKT4_PKT5_S5_PT6_21rocsparse_index_base_b
; %bb.0:
	s_clause 0x2
	s_load_b64 s[12:13], s[0:1], 0x58
	s_load_b64 s[4:5], s[0:1], 0x8
	;; [unrolled: 1-line block ×3, first 2 shown]
	s_wait_kmcnt 0x0
	s_bitcmp1_b32 s13, 0
	v_mov_b64_e32 v[2:3], s[4:5]
	s_cselect_b32 s6, -1, 0
	s_delay_alu instid0(SALU_CYCLE_1)
	s_and_b32 vcc_lo, exec_lo, s6
	s_xor_b32 s6, s6, -1
	s_cbranch_vccnz .LBB156_2
; %bb.1:
	v_mov_b32_e32 v1, 0
	flat_load_b64 v[2:3], v1, s[4:5]
.LBB156_2:
	v_mov_b64_e32 v[8:9], s[2:3]
	s_and_not1_b32 vcc_lo, exec_lo, s6
	s_cbranch_vccnz .LBB156_4
; %bb.3:
	s_wait_xcnt 0x0
	v_mov_b32_e32 v1, 0
	flat_load_b64 v[8:9], v1, s[2:3]
.LBB156_4:
	s_wait_loadcnt_dscnt 0x0
	v_cmp_neq_f64_e32 vcc_lo, 0, v[2:3]
	s_delay_alu instid0(VALU_DEP_2) | instskip(SKIP_1) | instid1(SALU_CYCLE_1)
	v_cmp_neq_f64_e64 s2, 1.0, v[8:9]
	s_or_b32 s2, vcc_lo, s2
	s_and_saveexec_b32 s3, s2
	s_cbranch_execz .LBB156_10
; %bb.5:
	s_clause 0x1
	s_load_b64 s[4:5], s[0:1], 0x18
	s_load_b64 s[2:3], s[0:1], 0x0
	s_bfe_u32 s6, ttmp6, 0x4000c
	s_and_b32 s7, ttmp6, 15
	s_add_co_i32 s6, s6, 1
	s_getreg_b32 s8, hwreg(HW_REG_IB_STS2, 6, 4)
	s_mul_i32 s6, ttmp9, s6
	v_lshrrev_b32_e32 v1, 3, v0
	s_add_co_i32 s7, s7, s6
	s_cmp_eq_u32 s8, 0
	s_cselect_b32 s6, ttmp9, s7
	s_delay_alu instid0(VALU_DEP_1) | instid1(SALU_CYCLE_1)
	v_lshl_or_b32 v10, s6, 4, v1
	s_mov_b32 s6, 0
	s_wait_kmcnt 0x0
	s_cmp_lg_u64 s[4:5], 0
	s_cbranch_scc0 .LBB156_11
; %bb.6:
	s_load_b32 s6, s[0:1], 0x10
	s_mov_b32 s7, 0
                                        ; implicit-def: $vgpr1
	s_wait_kmcnt 0x0
	v_cmp_gt_i32_e32 vcc_lo, s6, v10
	s_mov_b32 s6, 0
	s_and_saveexec_b32 s8, vcc_lo
	s_delay_alu instid0(SALU_CYCLE_1)
	s_xor_b32 s8, exec_lo, s8
	s_cbranch_execz .LBB156_8
; %bb.7:
	global_load_b32 v1, v10, s[4:5] scale_offset
	s_mov_b32 s6, exec_lo
	s_wait_loadcnt 0x0
	v_subrev_nc_u32_e32 v1, s12, v1
.LBB156_8:
	s_or_b32 exec_lo, exec_lo, s8
	s_delay_alu instid0(SALU_CYCLE_1)
	s_and_b32 vcc_lo, exec_lo, s7
	s_cbranch_vccz .LBB156_12
.LBB156_9:
	v_cmp_gt_i32_e32 vcc_lo, s2, v10
	s_and_not1_b32 s2, s6, exec_lo
	s_and_b32 s4, vcc_lo, exec_lo
	s_delay_alu instid0(SALU_CYCLE_1) | instskip(NEXT) | instid1(SALU_CYCLE_1)
	s_or_b32 s6, s2, s4
	s_and_b32 exec_lo, exec_lo, s6
	s_cbranch_execnz .LBB156_13
.LBB156_10:
	s_sendmsg sendmsg(MSG_DEALLOC_VGPRS)
	s_endpgm
.LBB156_11:
                                        ; implicit-def: $vgpr1
	s_cbranch_execnz .LBB156_9
.LBB156_12:
	s_delay_alu instid0(VALU_DEP_1)
	v_mov_b32_e32 v10, v1
	s_and_b32 exec_lo, exec_lo, s6
	s_cbranch_execz .LBB156_10
.LBB156_13:
	s_load_b256 s[4:11], s[0:1], 0x20
	s_mov_b32 s13, 0
	v_dual_mov_b32 v1, 0 :: v_dual_bitop2_b32 v0, 7, v0 bitop3:0x40
	s_wait_kmcnt 0x0
	s_cmp_eq_u64 s[6:7], 0
	global_load_b64 v[22:23], v10, s[4:5] scale_offset
	s_cselect_b32 vcc_lo, -1, 0
	v_ashrrev_i32_e32 v11, 31, v10
	s_cmp_eq_u32 s3, 1
	s_delay_alu instid0(VALU_DEP_1) | instskip(NEXT) | instid1(VALU_DEP_1)
	v_lshlrev_b64_e32 v[4:5], 3, v[10:11]
	v_add_nc_u64_e32 v[6:7], s[4:5], v[4:5]
	v_add_nc_u64_e32 v[4:5], s[6:7], v[4:5]
	s_wait_xcnt 0x0
	s_load_b64 s[4:5], s[0:1], 0x40
	s_delay_alu instid0(VALU_DEP_2) | instskip(NEXT) | instid1(VALU_DEP_1)
	v_add_nc_u64_e32 v[6:7], 8, v[6:7]
	v_dual_cndmask_b32 v5, v5, v7 :: v_dual_cndmask_b32 v4, v4, v6
	global_load_b64 v[6:7], v[4:5], off
	s_wait_loadcnt 0x1
	s_wait_xcnt 0x0
	v_sub_nc_u64_e64 v[4:5], v[22:23], s[12:13]
	s_delay_alu instid0(VALU_DEP_1) | instskip(NEXT) | instid1(VALU_DEP_1)
	v_add_nc_u64_e32 v[4:5], v[4:5], v[0:1]
	v_lshlrev_b64_e32 v[14:15], 6, v[4:5]
	s_delay_alu instid0(VALU_DEP_1) | instskip(SKIP_2) | instid1(VALU_DEP_1)
	v_add_nc_u64_e32 v[14:15], s[10:11], v[14:15]
	s_wait_loadcnt 0x0
	v_sub_nc_u64_e64 v[12:13], v[6:7], s[12:13]
	v_cmp_lt_i64_e64 s2, v[4:5], v[12:13]
	s_cbranch_scc1 .LBB156_25
; %bb.14:
	v_mov_b64_e32 v[6:7], 0
	v_mov_b64_e32 v[16:17], 0
	;; [unrolled: 1-line block ×4, first 2 shown]
	s_and_saveexec_b32 s3, s2
	s_cbranch_execz .LBB156_24
; %bb.15:
	v_dual_mov_b32 v7, v1 :: v_dual_bitop2_b32 v6, 8, v0 bitop3:0x54
	v_sub_nc_u64_e32 v[16:17], s[12:13], v[0:1]
	v_not_b32_e32 v19, v23
	v_not_b32_e32 v18, v22
	v_mov_b64_e32 v[20:21], 0
	v_sub_nc_u64_e64 v[6:7], v[6:7], s[12:13]
	v_mov_b64_e32 v[24:25], v[4:5]
	v_mov_b64_e32 v[26:27], v[14:15]
	v_add_nc_u64_e32 v[16:17], v[16:17], v[18:19]
	v_mov_b64_e32 v[18:19], 0
	s_mov_b32 s6, exec_lo
	v_add_nc_u64_e32 v[6:7], v[6:7], v[22:23]
	s_delay_alu instid0(VALU_DEP_1) | instskip(NEXT) | instid1(VALU_DEP_1)
	v_max_i64 v[6:7], v[6:7], v[12:13]
	v_add_nc_u64_e32 v[28:29], v[16:17], v[6:7]
	v_mov_b64_e32 v[16:17], 0
	v_mov_b64_e32 v[6:7], 0
	s_delay_alu instid0(VALU_DEP_3) | instskip(NEXT) | instid1(VALU_DEP_1)
	v_dual_mov_b32 v33, 0 :: v_dual_bitop2_b32 v32, 24, v28 bitop3:0x40
	v_cmpx_ne_u64_e32 24, v[32:33]
	s_cbranch_execz .LBB156_19
; %bb.16:
	v_lshrrev_b32_e32 v6, 3, v28
	v_mov_b64_e32 v[16:17], 0
	v_mov_b64_e32 v[20:21], 0
	;; [unrolled: 1-line block ×4, first 2 shown]
	v_add_nc_u32_e32 v6, 1, v6
	v_mov_b64_e32 v[24:25], v[4:5]
	v_lshl_add_u64 v[30:31], v[4:5], 2, s[8:9]
	s_mov_b32 s7, 0
	s_delay_alu instid0(VALU_DEP_3) | instskip(SKIP_1) | instid1(VALU_DEP_2)
	v_and_b32_e32 v32, 3, v6
	v_mov_b64_e32 v[6:7], 0
	v_sub_nc_u64_e32 v[32:33], 0, v[32:33]
.LBB156_17:                             ; =>This Inner Loop Header: Depth=1
	global_load_b32 v11, v[30:31], off
	s_clause 0x3
	global_load_b128 v[34:37], v[26:27], off
	global_load_b128 v[38:41], v[26:27], off offset:16
	global_load_b128 v[42:45], v[26:27], off offset:32
	;; [unrolled: 1-line block ×3, first 2 shown]
	v_add_nc_u64_e32 v[32:33], 1, v[32:33]
	s_wait_xcnt 0x0
	v_add_nc_u64_e32 v[26:27], 0x200, v[26:27]
	v_add_nc_u64_e32 v[24:25], 8, v[24:25]
	;; [unrolled: 1-line block ×3, first 2 shown]
	s_delay_alu instid0(VALU_DEP_4)
	v_cmp_eq_u64_e32 vcc_lo, 0, v[32:33]
	s_or_b32 s7, vcc_lo, s7
	s_wait_loadcnt 0x4
	v_subrev_nc_u32_e32 v11, s12, v11
	s_wait_loadcnt 0x2
	v_cvt_f64_f32_e32 v[60:61], v38
	s_wait_loadcnt 0x1
	v_cvt_f64_f32_e32 v[62:63], v42
	;; [unrolled: 2-line block ×3, first 2 shown]
	v_lshlrev_b32_e32 v50, 2, v11
	v_cvt_f64_f32_e32 v[38:39], v39
	v_cvt_f64_f32_e32 v[42:43], v43
	;; [unrolled: 1-line block ×3, first 2 shown]
	s_delay_alu instid0(VALU_DEP_4) | instskip(SKIP_1) | instid1(VALU_DEP_1)
	v_ashrrev_i32_e32 v51, 31, v50
	s_wait_kmcnt 0x0
	v_lshl_add_u64 v[58:59], v[50:51], 3, s[4:5]
	s_clause 0x1
	global_load_b128 v[50:53], v[58:59], off
	global_load_b128 v[54:57], v[58:59], off offset:16
	s_wait_xcnt 0x0
	v_cvt_f64_f32_e32 v[58:59], v34
	v_cvt_f64_f32_e32 v[34:35], v35
	s_wait_loadcnt 0x1
	s_delay_alu instid0(VALU_DEP_2)
	v_fmac_f64_e32 v[18:19], v[58:59], v[50:51]
	v_fmac_f64_e32 v[20:21], v[60:61], v[50:51]
	;; [unrolled: 1-line block ×4, first 2 shown]
	v_cvt_f64_f32_e32 v[50:51], v36
	v_cvt_f64_f32_e32 v[58:59], v40
	;; [unrolled: 1-line block ×4, first 2 shown]
	v_fmac_f64_e32 v[18:19], v[34:35], v[52:53]
	v_fmac_f64_e32 v[20:21], v[38:39], v[52:53]
	;; [unrolled: 1-line block ×4, first 2 shown]
	v_cvt_f64_f32_e32 v[34:35], v37
	v_cvt_f64_f32_e32 v[36:37], v41
	;; [unrolled: 1-line block ×4, first 2 shown]
	s_wait_loadcnt 0x0
	v_fmac_f64_e32 v[18:19], v[50:51], v[54:55]
	v_fmac_f64_e32 v[20:21], v[58:59], v[54:55]
	;; [unrolled: 1-line block ×4, first 2 shown]
	s_delay_alu instid0(VALU_DEP_4) | instskip(NEXT) | instid1(VALU_DEP_4)
	v_fmac_f64_e32 v[18:19], v[34:35], v[56:57]
	v_fmac_f64_e32 v[20:21], v[36:37], v[56:57]
	s_delay_alu instid0(VALU_DEP_4) | instskip(NEXT) | instid1(VALU_DEP_4)
	v_fmac_f64_e32 v[16:17], v[38:39], v[56:57]
	v_fmac_f64_e32 v[6:7], v[40:41], v[56:57]
	s_and_not1_b32 exec_lo, exec_lo, s7
	s_cbranch_execnz .LBB156_17
; %bb.18:
	s_or_b32 exec_lo, exec_lo, s7
.LBB156_19:
	s_delay_alu instid0(SALU_CYCLE_1) | instskip(NEXT) | instid1(SALU_CYCLE_1)
	s_or_b32 exec_lo, exec_lo, s6
	s_mov_b32 s6, exec_lo
	v_cmpx_lt_u64_e32 23, v[28:29]
	s_cbranch_execz .LBB156_23
; %bb.20:
	v_lshl_add_u64 v[28:29], v[24:25], 2, s[8:9]
	s_mov_b32 s7, 0
	s_delay_alu instid0(VALU_DEP_1)
	v_add_nc_u64_e32 v[28:29], 64, v[28:29]
.LBB156_21:                             ; =>This Inner Loop Header: Depth=1
	s_clause 0x2
	global_load_b32 v11, v[28:29], off offset:-64
	global_load_b32 v72, v[28:29], off offset:-32
	global_load_b32 v96, v[28:29], off
	s_clause 0x3
	global_load_b128 v[30:33], v[26:27], off
	global_load_b128 v[34:37], v[26:27], off offset:16
	global_load_b128 v[38:41], v[26:27], off offset:32
	;; [unrolled: 1-line block ×3, first 2 shown]
	global_load_b32 v118, v[28:29], off offset:32
	v_add_nc_u64_e32 v[24:25], 32, v[24:25]
	s_wait_xcnt 0x0
	v_add_nc_u64_e32 v[28:29], 0x80, v[28:29]
	s_delay_alu instid0(VALU_DEP_2)
	v_cmp_ge_i64_e32 vcc_lo, v[24:25], v[12:13]
	s_or_b32 s7, vcc_lo, s7
	s_wait_loadcnt 0x7
	v_subrev_nc_u32_e32 v11, s12, v11
	s_wait_loadcnt 0x4
	v_cvt_f64_f32_e32 v[102:103], v30
	s_wait_loadcnt 0x3
	v_cvt_f64_f32_e32 v[104:105], v34
	v_lshlrev_b32_e32 v46, 2, v11
	v_subrev_nc_u32_e32 v11, s12, v72
	s_wait_loadcnt 0x2
	v_cvt_f64_f32_e32 v[106:107], v38
	s_wait_loadcnt 0x1
	v_cvt_f64_f32_e32 v[108:109], v42
	v_cvt_f64_f32_e32 v[30:31], v31
	v_ashrrev_i32_e32 v47, 31, v46
	v_cvt_f64_f32_e32 v[34:35], v35
	v_cvt_f64_f32_e32 v[38:39], v39
	;; [unrolled: 1-line block ×3, first 2 shown]
	s_wait_kmcnt 0x0
	v_lshl_add_u64 v[70:71], v[46:47], 3, s[4:5]
	s_clause 0x1
	global_load_b128 v[46:49], v[70:71], off
	global_load_b128 v[50:53], v[70:71], off offset:16
	s_clause 0x3
	global_load_b128 v[54:57], v[26:27], off offset:512
	global_load_b128 v[58:61], v[26:27], off offset:528
	;; [unrolled: 1-line block ×4, first 2 shown]
	s_wait_xcnt 0x4
	v_lshlrev_b32_e32 v70, 2, v11
	v_subrev_nc_u32_e32 v11, s12, v96
	s_delay_alu instid0(VALU_DEP_2) | instskip(NEXT) | instid1(VALU_DEP_1)
	v_ashrrev_i32_e32 v71, 31, v70
	v_lshl_add_u64 v[94:95], v[70:71], 3, s[4:5]
	s_clause 0x1
	global_load_b128 v[70:73], v[94:95], off
	global_load_b128 v[74:77], v[94:95], off offset:16
	s_clause 0x3
	global_load_b128 v[78:81], v[26:27], off offset:1024
	global_load_b128 v[82:85], v[26:27], off offset:1040
	;; [unrolled: 1-line block ×4, first 2 shown]
	s_wait_xcnt 0x4
	v_lshlrev_b32_e32 v94, 2, v11
	s_wait_loadcnt 0xc
	v_subrev_nc_u32_e32 v11, s12, v118
	s_delay_alu instid0(VALU_DEP_2) | instskip(NEXT) | instid1(VALU_DEP_1)
	v_ashrrev_i32_e32 v95, 31, v94
	v_lshl_add_u64 v[98:99], v[94:95], 3, s[4:5]
	s_clause 0x1
	global_load_b128 v[94:97], v[98:99], off
	global_load_b128 v[98:101], v[98:99], off offset:16
	s_wait_loadcnt 0xd
	v_fmac_f64_e32 v[18:19], v[102:103], v[46:47]
	v_fmac_f64_e32 v[20:21], v[104:105], v[46:47]
	;; [unrolled: 1-line block ×4, first 2 shown]
	s_clause 0x3
	global_load_b128 v[102:105], v[26:27], off offset:1584
	global_load_b128 v[106:109], v[26:27], off offset:1552
	;; [unrolled: 1-line block ×4, first 2 shown]
	v_cvt_f64_f32_e32 v[46:47], v40
	v_cvt_f64_f32_e32 v[40:41], v41
	s_wait_xcnt 0x0
	v_add_nc_u64_e32 v[26:27], 0x800, v[26:27]
	v_fmac_f64_e32 v[18:19], v[30:31], v[48:49]
	v_fmac_f64_e32 v[20:21], v[34:35], v[48:49]
	;; [unrolled: 1-line block ×4, first 2 shown]
	v_cvt_f64_f32_e32 v[34:35], v32
	v_cvt_f64_f32_e32 v[38:39], v36
	;; [unrolled: 1-line block ×3, first 2 shown]
	v_lshlrev_b32_e32 v30, 2, v11
	v_cvt_f64_f32_e32 v[42:43], v33
	v_cvt_f64_f32_e32 v[36:37], v37
	;; [unrolled: 1-line block ×3, first 2 shown]
	s_delay_alu instid0(VALU_DEP_4) | instskip(NEXT) | instid1(VALU_DEP_1)
	v_ashrrev_i32_e32 v31, 31, v30
	v_lshl_add_u64 v[118:119], v[30:31], 3, s[4:5]
	global_load_b128 v[30:33], v[118:119], off
	s_wait_loadcnt 0x11
	v_fmac_f64_e32 v[16:17], v[46:47], v[50:51]
	s_wait_loadcnt 0xf
	v_cvt_f64_f32_e32 v[46:47], v58
	v_fmac_f64_e32 v[18:19], v[34:35], v[50:51]
	v_fmac_f64_e32 v[20:21], v[38:39], v[50:51]
	;; [unrolled: 1-line block ×3, first 2 shown]
	v_cvt_f64_f32_e32 v[38:39], v54
	s_wait_loadcnt 0xe
	v_cvt_f64_f32_e32 v[48:49], v62
	s_wait_loadcnt 0xd
	v_cvt_f64_f32_e32 v[50:51], v66
	v_fmac_f64_e32 v[16:17], v[40:41], v[52:53]
	v_cvt_f64_f32_e32 v[40:41], v55
	v_fmac_f64_e32 v[18:19], v[42:43], v[52:53]
	v_fmac_f64_e32 v[20:21], v[36:37], v[52:53]
	;; [unrolled: 1-line block ×3, first 2 shown]
	v_cvt_f64_f32_e32 v[42:43], v59
	v_cvt_f64_f32_e32 v[44:45], v63
	;; [unrolled: 1-line block ×3, first 2 shown]
	global_load_b128 v[34:37], v[118:119], off offset:16
	s_wait_loadcnt 0xd
	v_fmac_f64_e32 v[16:17], v[48:49], v[70:71]
	v_cvt_f64_f32_e32 v[48:49], v64
	v_fmac_f64_e32 v[18:19], v[38:39], v[70:71]
	v_fmac_f64_e32 v[20:21], v[46:47], v[70:71]
	v_fmac_f64_e32 v[6:7], v[50:51], v[70:71]
	v_cvt_f64_f32_e32 v[38:39], v56
	v_cvt_f64_f32_e32 v[46:47], v60
	;; [unrolled: 1-line block ×3, first 2 shown]
	v_fmac_f64_e32 v[16:17], v[44:45], v[72:73]
	v_cvt_f64_f32_e32 v[44:45], v65
	v_fmac_f64_e32 v[18:19], v[40:41], v[72:73]
	v_fmac_f64_e32 v[20:21], v[42:43], v[72:73]
	;; [unrolled: 1-line block ×3, first 2 shown]
	v_cvt_f64_f32_e32 v[40:41], v57
	v_cvt_f64_f32_e32 v[42:43], v61
	v_cvt_f64_f32_e32 v[52:53], v69
	s_wait_loadcnt 0xc
	v_fmac_f64_e32 v[16:17], v[48:49], v[74:75]
	s_wait_loadcnt 0x9
	v_cvt_f64_f32_e32 v[48:49], v86
	v_fmac_f64_e32 v[18:19], v[38:39], v[74:75]
	v_fmac_f64_e32 v[20:21], v[46:47], v[74:75]
	;; [unrolled: 1-line block ×3, first 2 shown]
	v_cvt_f64_f32_e32 v[38:39], v78
	v_cvt_f64_f32_e32 v[46:47], v82
	s_wait_loadcnt 0x8
	v_cvt_f64_f32_e32 v[50:51], v90
	v_fmac_f64_e32 v[16:17], v[44:45], v[76:77]
	v_cvt_f64_f32_e32 v[44:45], v87
	v_fmac_f64_e32 v[18:19], v[40:41], v[76:77]
	v_fmac_f64_e32 v[20:21], v[42:43], v[76:77]
	;; [unrolled: 1-line block ×3, first 2 shown]
	v_cvt_f64_f32_e32 v[40:41], v79
	v_cvt_f64_f32_e32 v[42:43], v83
	;; [unrolled: 1-line block ×3, first 2 shown]
	s_wait_loadcnt 0x7
	v_fmac_f64_e32 v[16:17], v[48:49], v[94:95]
	v_cvt_f64_f32_e32 v[48:49], v88
	v_fmac_f64_e32 v[18:19], v[38:39], v[94:95]
	v_fmac_f64_e32 v[20:21], v[46:47], v[94:95]
	;; [unrolled: 1-line block ×3, first 2 shown]
	v_cvt_f64_f32_e32 v[38:39], v80
	v_cvt_f64_f32_e32 v[46:47], v84
	;; [unrolled: 1-line block ×3, first 2 shown]
	v_fmac_f64_e32 v[16:17], v[44:45], v[96:97]
	v_cvt_f64_f32_e32 v[44:45], v89
	v_fmac_f64_e32 v[18:19], v[40:41], v[96:97]
	v_fmac_f64_e32 v[20:21], v[42:43], v[96:97]
	;; [unrolled: 1-line block ×3, first 2 shown]
	v_cvt_f64_f32_e32 v[40:41], v81
	v_cvt_f64_f32_e32 v[42:43], v85
	;; [unrolled: 1-line block ×3, first 2 shown]
	s_wait_loadcnt 0x6
	v_fmac_f64_e32 v[16:17], v[48:49], v[98:99]
	v_fmac_f64_e32 v[18:19], v[38:39], v[98:99]
	;; [unrolled: 1-line block ×4, first 2 shown]
	s_wait_loadcnt 0x3
	v_cvt_f64_f32_e32 v[38:39], v110
	v_cvt_f64_f32_e32 v[46:47], v106
	s_wait_loadcnt 0x2
	v_cvt_f64_f32_e32 v[48:49], v114
	v_cvt_f64_f32_e32 v[50:51], v102
	v_fmac_f64_e32 v[16:17], v[44:45], v[100:101]
	v_cvt_f64_f32_e32 v[44:45], v115
	v_fmac_f64_e32 v[18:19], v[40:41], v[100:101]
	v_fmac_f64_e32 v[20:21], v[42:43], v[100:101]
	;; [unrolled: 1-line block ×3, first 2 shown]
	v_cvt_f64_f32_e32 v[40:41], v111
	v_cvt_f64_f32_e32 v[42:43], v107
	;; [unrolled: 1-line block ×3, first 2 shown]
	s_wait_loadcnt 0x1
	v_fmac_f64_e32 v[16:17], v[48:49], v[30:31]
	v_cvt_f64_f32_e32 v[48:49], v104
	v_fmac_f64_e32 v[18:19], v[38:39], v[30:31]
	v_fmac_f64_e32 v[20:21], v[46:47], v[30:31]
	;; [unrolled: 1-line block ×3, first 2 shown]
	v_cvt_f64_f32_e32 v[30:31], v112
	v_cvt_f64_f32_e32 v[38:39], v108
	;; [unrolled: 1-line block ×3, first 2 shown]
	v_fmac_f64_e32 v[16:17], v[44:45], v[32:33]
	v_cvt_f64_f32_e32 v[44:45], v105
	v_fmac_f64_e32 v[18:19], v[40:41], v[32:33]
	v_fmac_f64_e32 v[20:21], v[42:43], v[32:33]
	;; [unrolled: 1-line block ×3, first 2 shown]
	v_cvt_f64_f32_e32 v[32:33], v113
	v_cvt_f64_f32_e32 v[40:41], v109
	;; [unrolled: 1-line block ×3, first 2 shown]
	s_wait_loadcnt 0x0
	v_fmac_f64_e32 v[16:17], v[46:47], v[34:35]
	v_fmac_f64_e32 v[18:19], v[30:31], v[34:35]
	;; [unrolled: 1-line block ×4, first 2 shown]
	s_delay_alu instid0(VALU_DEP_4) | instskip(NEXT) | instid1(VALU_DEP_4)
	v_fmac_f64_e32 v[16:17], v[42:43], v[36:37]
	v_fmac_f64_e32 v[18:19], v[32:33], v[36:37]
	s_delay_alu instid0(VALU_DEP_4) | instskip(NEXT) | instid1(VALU_DEP_4)
	v_fmac_f64_e32 v[20:21], v[40:41], v[36:37]
	v_fmac_f64_e32 v[6:7], v[44:45], v[36:37]
	s_and_not1_b32 exec_lo, exec_lo, s7
	s_cbranch_execnz .LBB156_21
; %bb.22:
	s_or_b32 exec_lo, exec_lo, s7
.LBB156_23:
	s_delay_alu instid0(SALU_CYCLE_1)
	s_or_b32 exec_lo, exec_lo, s6
.LBB156_24:
	s_delay_alu instid0(SALU_CYCLE_1)
	s_or_b32 exec_lo, exec_lo, s3
	s_cbranch_execz .LBB156_26
	s_branch .LBB156_37
.LBB156_25:
                                        ; implicit-def: $vgpr6_vgpr7
                                        ; implicit-def: $vgpr16_vgpr17
                                        ; implicit-def: $vgpr20_vgpr21
                                        ; implicit-def: $vgpr18_vgpr19
.LBB156_26:
	v_mov_b64_e32 v[6:7], 0
	v_mov_b64_e32 v[16:17], 0
	;; [unrolled: 1-line block ×4, first 2 shown]
	s_and_saveexec_b32 s3, s2
	s_cbranch_execz .LBB156_36
; %bb.27:
	v_dual_mov_b32 v7, v1 :: v_dual_bitop2_b32 v6, 8, v0 bitop3:0x54
	v_sub_nc_u64_e32 v[16:17], s[12:13], v[0:1]
	v_not_b32_e32 v19, v23
	v_not_b32_e32 v18, v22
	v_mov_b64_e32 v[20:21], 0
	v_sub_nc_u64_e64 v[6:7], v[6:7], s[12:13]
	s_mov_b32 s2, exec_lo
	s_delay_alu instid0(VALU_DEP_3) | instskip(SKIP_1) | instid1(VALU_DEP_3)
	v_add_nc_u64_e32 v[16:17], v[16:17], v[18:19]
	v_mov_b64_e32 v[18:19], 0
	v_add_nc_u64_e32 v[6:7], v[6:7], v[22:23]
	s_delay_alu instid0(VALU_DEP_1) | instskip(NEXT) | instid1(VALU_DEP_1)
	v_max_i64 v[6:7], v[6:7], v[12:13]
	v_add_nc_u64_e32 v[22:23], v[16:17], v[6:7]
	v_mov_b64_e32 v[16:17], 0
	v_mov_b64_e32 v[6:7], 0
	s_delay_alu instid0(VALU_DEP_3) | instskip(NEXT) | instid1(VALU_DEP_1)
	v_dual_mov_b32 v25, 0 :: v_dual_bitop2_b32 v24, 24, v22 bitop3:0x40
	v_cmpx_ne_u64_e32 24, v[24:25]
	s_cbranch_execz .LBB156_31
; %bb.28:
	v_lshrrev_b32_e32 v1, 3, v22
	v_mov_b64_e32 v[6:7], 0
	v_mov_b64_e32 v[16:17], 0
	;; [unrolled: 1-line block ×4, first 2 shown]
	v_add_nc_u32_e32 v1, 1, v1
	v_lshl_add_u64 v[26:27], v[4:5], 2, s[8:9]
	s_mov_b32 s6, 0
	s_delay_alu instid0(VALU_DEP_2) | instskip(NEXT) | instid1(VALU_DEP_1)
	v_and_b32_e32 v24, 3, v1
	v_sub_nc_u64_e32 v[24:25], 0, v[24:25]
.LBB156_29:                             ; =>This Inner Loop Header: Depth=1
	global_load_b32 v1, v[26:27], off
	s_clause 0x1
	global_load_b128 v[28:31], v[14:15], off
	global_load_b128 v[32:35], v[14:15], off offset:16
	v_add_nc_u64_e32 v[24:25], 1, v[24:25]
	v_add_nc_u64_e32 v[4:5], 8, v[4:5]
	s_wait_xcnt 0x2
	v_add_nc_u64_e32 v[26:27], 32, v[26:27]
	s_delay_alu instid0(VALU_DEP_3)
	v_cmp_eq_u64_e32 vcc_lo, 0, v[24:25]
	s_or_b32 s6, vcc_lo, s6
	s_wait_loadcnt 0x2
	v_subrev_nc_u32_e32 v1, s12, v1
	s_wait_loadcnt 0x1
	v_cvt_f64_f32_e32 v[54:55], v30
	v_cvt_f64_f32_e32 v[30:31], v31
	s_wait_loadcnt 0x0
	v_cvt_f64_f32_e32 v[56:57], v32
	v_cvt_f64_f32_e32 v[32:33], v33
	v_lshlrev_b32_e32 v36, 2, v1
	v_cvt_f64_f32_e32 v[58:59], v34
	v_cvt_f64_f32_e32 v[34:35], v35
	s_delay_alu instid0(VALU_DEP_3) | instskip(SKIP_1) | instid1(VALU_DEP_1)
	v_ashrrev_i32_e32 v37, 31, v36
	s_wait_kmcnt 0x0
	v_lshl_add_u64 v[52:53], v[36:37], 3, s[4:5]
	s_clause 0x1
	global_load_b128 v[36:39], v[52:53], off
	global_load_b128 v[40:43], v[52:53], off offset:16
	s_clause 0x1
	global_load_b128 v[44:47], v[14:15], off offset:32
	global_load_b128 v[48:51], v[14:15], off offset:48
	s_wait_xcnt 0x2
	v_cvt_f64_f32_e32 v[52:53], v28
	v_cvt_f64_f32_e32 v[28:29], v29
	s_wait_xcnt 0x0
	v_add_nc_u64_e32 v[14:15], 0x200, v[14:15]
	s_wait_loadcnt 0x3
	s_delay_alu instid0(VALU_DEP_3) | instskip(NEXT) | instid1(VALU_DEP_3)
	v_fmac_f64_e32 v[18:19], v[52:53], v[36:37]
	v_fmac_f64_e32 v[20:21], v[28:29], v[36:37]
	;; [unrolled: 1-line block ×4, first 2 shown]
	s_wait_loadcnt 0x1
	v_cvt_f64_f32_e32 v[28:29], v44
	v_cvt_f64_f32_e32 v[30:31], v45
	;; [unrolled: 1-line block ×4, first 2 shown]
	s_wait_loadcnt 0x0
	v_cvt_f64_f32_e32 v[46:47], v51
	v_fmac_f64_e32 v[18:19], v[56:57], v[38:39]
	v_fmac_f64_e32 v[20:21], v[32:33], v[38:39]
	;; [unrolled: 1-line block ×4, first 2 shown]
	v_cvt_f64_f32_e32 v[32:33], v48
	v_cvt_f64_f32_e32 v[34:35], v49
	;; [unrolled: 1-line block ×3, first 2 shown]
	v_fmac_f64_e32 v[18:19], v[28:29], v[40:41]
	v_fmac_f64_e32 v[20:21], v[30:31], v[40:41]
	;; [unrolled: 1-line block ×4, first 2 shown]
	s_delay_alu instid0(VALU_DEP_4) | instskip(NEXT) | instid1(VALU_DEP_4)
	v_fmac_f64_e32 v[18:19], v[32:33], v[42:43]
	v_fmac_f64_e32 v[20:21], v[34:35], v[42:43]
	s_delay_alu instid0(VALU_DEP_4) | instskip(NEXT) | instid1(VALU_DEP_4)
	v_fmac_f64_e32 v[16:17], v[38:39], v[42:43]
	v_fmac_f64_e32 v[6:7], v[46:47], v[42:43]
	s_and_not1_b32 exec_lo, exec_lo, s6
	s_cbranch_execnz .LBB156_29
; %bb.30:
	s_or_b32 exec_lo, exec_lo, s6
.LBB156_31:
	s_delay_alu instid0(SALU_CYCLE_1) | instskip(NEXT) | instid1(SALU_CYCLE_1)
	s_or_b32 exec_lo, exec_lo, s2
	s_mov_b32 s2, exec_lo
	v_cmpx_lt_u64_e32 23, v[22:23]
	s_cbranch_execz .LBB156_35
; %bb.32:
	v_lshl_add_u64 v[22:23], v[4:5], 2, s[8:9]
	s_mov_b32 s6, 0
	s_delay_alu instid0(VALU_DEP_1)
	v_add_nc_u64_e32 v[22:23], 64, v[22:23]
.LBB156_33:                             ; =>This Inner Loop Header: Depth=1
	s_clause 0x2
	global_load_b32 v1, v[22:23], off offset:-64
	global_load_b32 v11, v[22:23], off offset:-32
	global_load_b32 v78, v[22:23], off
	global_load_b128 v[24:27], v[14:15], off
	global_load_b32 v108, v[22:23], off offset:32
	v_add_nc_u64_e32 v[4:5], 32, v[4:5]
	s_wait_xcnt 0x0
	v_add_nc_u64_e32 v[22:23], 0x80, v[22:23]
	s_delay_alu instid0(VALU_DEP_2)
	v_cmp_ge_i64_e32 vcc_lo, v[4:5], v[12:13]
	s_or_b32 s6, vcc_lo, s6
	s_wait_loadcnt 0x4
	v_subrev_nc_u32_e32 v1, s12, v1
	s_wait_loadcnt 0x1
	v_cvt_f64_f32_e32 v[90:91], v24
	v_cvt_f64_f32_e32 v[92:93], v25
	s_delay_alu instid0(VALU_DEP_3) | instskip(SKIP_3) | instid1(VALU_DEP_4)
	v_lshlrev_b32_e32 v28, 2, v1
	v_subrev_nc_u32_e32 v1, s12, v11
	v_cvt_f64_f32_e32 v[94:95], v26
	v_cvt_f64_f32_e32 v[96:97], v27
	v_ashrrev_i32_e32 v29, 31, v28
	s_wait_kmcnt 0x0
	s_delay_alu instid0(VALU_DEP_1)
	v_lshl_add_u64 v[52:53], v[28:29], 3, s[4:5]
	global_load_b128 v[28:31], v[14:15], off offset:16
	global_load_b128 v[32:35], v[52:53], off
	s_clause 0x1
	global_load_b128 v[36:39], v[14:15], off offset:32
	global_load_b128 v[40:43], v[14:15], off offset:48
	;; [unrolled: 1-line block ×4, first 2 shown]
	s_wait_xcnt 0x1
	v_lshlrev_b32_e32 v52, 2, v1
	v_subrev_nc_u32_e32 v1, s12, v78
	s_delay_alu instid0(VALU_DEP_2) | instskip(NEXT) | instid1(VALU_DEP_1)
	v_ashrrev_i32_e32 v53, 31, v52
	v_lshl_add_u64 v[76:77], v[52:53], 3, s[4:5]
	global_load_b128 v[52:55], v[14:15], off offset:528
	global_load_b128 v[56:59], v[76:77], off
	s_clause 0x1
	global_load_b128 v[60:63], v[14:15], off offset:544
	global_load_b128 v[64:67], v[14:15], off offset:560
	;; [unrolled: 1-line block ×4, first 2 shown]
	s_wait_xcnt 0x1
	v_lshlrev_b32_e32 v76, 2, v1
	s_wait_loadcnt 0xc
	v_subrev_nc_u32_e32 v1, s12, v108
	s_delay_alu instid0(VALU_DEP_2) | instskip(NEXT) | instid1(VALU_DEP_1)
	v_ashrrev_i32_e32 v77, 31, v76
	v_lshl_add_u64 v[88:89], v[76:77], 3, s[4:5]
	global_load_b128 v[76:79], v[14:15], off offset:1040
	global_load_b128 v[80:83], v[88:89], off
	s_clause 0x1
	global_load_b128 v[84:87], v[14:15], off offset:1056
	global_load_b128 v[24:27], v[14:15], off offset:1072
	s_wait_loadcnt 0xf
	v_cvt_f64_f32_e32 v[98:99], v28
	v_cvt_f64_f32_e32 v[100:101], v29
	;; [unrolled: 1-line block ×4, first 2 shown]
	global_load_b128 v[28:31], v[88:89], off offset:16
	s_wait_loadcnt 0xf
	v_fmac_f64_e32 v[18:19], v[90:91], v[32:33]
	v_fmac_f64_e32 v[20:21], v[92:93], v[32:33]
	;; [unrolled: 1-line block ×4, first 2 shown]
	s_wait_loadcnt 0xe
	v_cvt_f64_f32_e32 v[92:93], v36
	v_lshlrev_b32_e32 v36, 2, v1
	v_cvt_f64_f32_e32 v[94:95], v37
	v_cvt_f64_f32_e32 v[96:97], v38
	;; [unrolled: 1-line block ×3, first 2 shown]
	s_delay_alu instid0(VALU_DEP_4) | instskip(NEXT) | instid1(VALU_DEP_1)
	v_ashrrev_i32_e32 v37, 31, v36
	v_lshl_add_u64 v[108:109], v[36:37], 3, s[4:5]
	global_load_b128 v[36:39], v[108:109], off
	global_load_b128 v[88:91], v[14:15], off offset:1536
	v_fmac_f64_e32 v[18:19], v[98:99], v[34:35]
	v_fmac_f64_e32 v[20:21], v[100:101], v[34:35]
	;; [unrolled: 1-line block ×4, first 2 shown]
	global_load_b128 v[32:35], v[14:15], off offset:1552
	s_wait_loadcnt 0x10
	v_cvt_f64_f32_e32 v[98:99], v40
	v_cvt_f64_f32_e32 v[100:101], v41
	;; [unrolled: 1-line block ×4, first 2 shown]
	global_load_b128 v[40:43], v[14:15], off offset:1568
	s_wait_loadcnt 0x10
	v_fmac_f64_e32 v[18:19], v[92:93], v[44:45]
	v_fmac_f64_e32 v[20:21], v[94:95], v[44:45]
	;; [unrolled: 1-line block ×4, first 2 shown]
	s_wait_loadcnt 0xf
	v_cvt_f64_f32_e32 v[92:93], v48
	v_cvt_f64_f32_e32 v[94:95], v49
	;; [unrolled: 1-line block ×4, first 2 shown]
	global_load_b128 v[48:51], v[108:109], off offset:16
	v_fmac_f64_e32 v[18:19], v[98:99], v[46:47]
	v_fmac_f64_e32 v[20:21], v[100:101], v[46:47]
	;; [unrolled: 1-line block ×4, first 2 shown]
	global_load_b128 v[44:47], v[14:15], off offset:1584
	s_wait_loadcnt 0x10
	v_cvt_f64_f32_e32 v[98:99], v52
	v_cvt_f64_f32_e32 v[52:53], v53
	;; [unrolled: 1-line block ×4, first 2 shown]
	s_wait_xcnt 0x0
	v_add_nc_u64_e32 v[14:15], 0x800, v[14:15]
	s_wait_loadcnt 0xf
	v_fmac_f64_e32 v[18:19], v[92:93], v[56:57]
	v_fmac_f64_e32 v[20:21], v[94:95], v[56:57]
	;; [unrolled: 1-line block ×4, first 2 shown]
	s_wait_loadcnt 0xe
	v_cvt_f64_f32_e32 v[56:57], v60
	v_cvt_f64_f32_e32 v[60:61], v61
	;; [unrolled: 1-line block ×4, first 2 shown]
	v_fmac_f64_e32 v[18:19], v[98:99], v[58:59]
	v_fmac_f64_e32 v[20:21], v[52:53], v[58:59]
	;; [unrolled: 1-line block ×4, first 2 shown]
	s_wait_loadcnt 0xd
	v_cvt_f64_f32_e32 v[52:53], v64
	v_cvt_f64_f32_e32 v[54:55], v65
	;; [unrolled: 1-line block ×4, first 2 shown]
	s_wait_loadcnt 0xb
	v_cvt_f64_f32_e32 v[66:67], v75
	v_fmac_f64_e32 v[18:19], v[56:57], v[68:69]
	v_fmac_f64_e32 v[20:21], v[60:61], v[68:69]
	;; [unrolled: 1-line block ×4, first 2 shown]
	v_cvt_f64_f32_e32 v[56:57], v72
	v_cvt_f64_f32_e32 v[60:61], v73
	;; [unrolled: 1-line block ×3, first 2 shown]
	v_fmac_f64_e32 v[18:19], v[52:53], v[70:71]
	v_fmac_f64_e32 v[20:21], v[54:55], v[70:71]
	v_fmac_f64_e32 v[16:17], v[58:59], v[70:71]
	v_fmac_f64_e32 v[6:7], v[64:65], v[70:71]
	s_wait_loadcnt 0xa
	v_cvt_f64_f32_e32 v[52:53], v76
	v_cvt_f64_f32_e32 v[54:55], v77
	;; [unrolled: 1-line block ×4, first 2 shown]
	s_wait_loadcnt 0x9
	v_fmac_f64_e32 v[18:19], v[56:57], v[80:81]
	v_fmac_f64_e32 v[20:21], v[60:61], v[80:81]
	;; [unrolled: 1-line block ×4, first 2 shown]
	s_wait_loadcnt 0x8
	v_cvt_f64_f32_e32 v[56:57], v84
	v_cvt_f64_f32_e32 v[60:61], v85
	;; [unrolled: 1-line block ×4, first 2 shown]
	v_fmac_f64_e32 v[18:19], v[52:53], v[82:83]
	v_fmac_f64_e32 v[20:21], v[54:55], v[82:83]
	;; [unrolled: 1-line block ×4, first 2 shown]
	s_wait_loadcnt 0x7
	v_cvt_f64_f32_e32 v[52:53], v24
	v_cvt_f64_f32_e32 v[24:25], v25
	;; [unrolled: 1-line block ×4, first 2 shown]
	s_wait_loadcnt 0x6
	v_fmac_f64_e32 v[18:19], v[56:57], v[28:29]
	v_fmac_f64_e32 v[20:21], v[60:61], v[28:29]
	;; [unrolled: 1-line block ×4, first 2 shown]
	s_wait_loadcnt 0x4
	v_cvt_f64_f32_e32 v[28:29], v88
	v_cvt_f64_f32_e32 v[56:57], v89
	;; [unrolled: 1-line block ×4, first 2 shown]
	v_fmac_f64_e32 v[18:19], v[52:53], v[30:31]
	v_fmac_f64_e32 v[20:21], v[24:25], v[30:31]
	;; [unrolled: 1-line block ×4, first 2 shown]
	s_wait_loadcnt 0x3
	v_cvt_f64_f32_e32 v[24:25], v32
	v_cvt_f64_f32_e32 v[26:27], v33
	;; [unrolled: 1-line block ×4, first 2 shown]
	s_wait_loadcnt 0x2
	v_cvt_f64_f32_e32 v[34:35], v41
	v_fmac_f64_e32 v[18:19], v[28:29], v[36:37]
	v_fmac_f64_e32 v[20:21], v[56:57], v[36:37]
	;; [unrolled: 1-line block ×4, first 2 shown]
	v_cvt_f64_f32_e32 v[28:29], v40
	v_cvt_f64_f32_e32 v[36:37], v42
	;; [unrolled: 1-line block ×3, first 2 shown]
	v_fmac_f64_e32 v[18:19], v[24:25], v[38:39]
	v_fmac_f64_e32 v[20:21], v[26:27], v[38:39]
	;; [unrolled: 1-line block ×4, first 2 shown]
	s_wait_loadcnt 0x0
	v_cvt_f64_f32_e32 v[24:25], v44
	v_cvt_f64_f32_e32 v[26:27], v45
	;; [unrolled: 1-line block ×4, first 2 shown]
	v_fmac_f64_e32 v[18:19], v[28:29], v[48:49]
	v_fmac_f64_e32 v[20:21], v[34:35], v[48:49]
	;; [unrolled: 1-line block ×4, first 2 shown]
	s_delay_alu instid0(VALU_DEP_4) | instskip(NEXT) | instid1(VALU_DEP_4)
	v_fmac_f64_e32 v[18:19], v[24:25], v[50:51]
	v_fmac_f64_e32 v[20:21], v[26:27], v[50:51]
	s_delay_alu instid0(VALU_DEP_4) | instskip(NEXT) | instid1(VALU_DEP_4)
	v_fmac_f64_e32 v[16:17], v[30:31], v[50:51]
	v_fmac_f64_e32 v[6:7], v[32:33], v[50:51]
	s_and_not1_b32 exec_lo, exec_lo, s6
	s_cbranch_execnz .LBB156_33
; %bb.34:
	s_or_b32 exec_lo, exec_lo, s6
.LBB156_35:
	s_delay_alu instid0(SALU_CYCLE_1)
	s_or_b32 exec_lo, exec_lo, s2
.LBB156_36:
	s_delay_alu instid0(SALU_CYCLE_1)
	s_or_b32 exec_lo, exec_lo, s3
.LBB156_37:
	v_mbcnt_lo_u32_b32 v1, -1, 0
	s_delay_alu instid0(VALU_DEP_1) | instskip(NEXT) | instid1(VALU_DEP_1)
	v_xor_b32_e32 v4, 4, v1
	v_cmp_gt_i32_e32 vcc_lo, 32, v4
	v_cndmask_b32_e32 v4, v1, v4, vcc_lo
	s_delay_alu instid0(VALU_DEP_1)
	v_lshlrev_b32_e32 v11, 2, v4
	ds_bpermute_b32 v4, v11, v18
	ds_bpermute_b32 v5, v11, v19
	;; [unrolled: 1-line block ×8, first 2 shown]
	v_xor_b32_e32 v11, 2, v1
	s_delay_alu instid0(VALU_DEP_1) | instskip(SKIP_3) | instid1(VALU_DEP_1)
	v_cmp_gt_i32_e32 vcc_lo, 32, v11
	s_wait_dscnt 0x6
	v_dual_add_f64 v[4:5], v[18:19], v[4:5] :: v_dual_cndmask_b32 v11, v1, v11, vcc_lo
	s_wait_dscnt 0x4
	v_dual_add_f64 v[12:13], v[20:21], v[12:13] :: v_dual_lshlrev_b32 v11, 2, v11
	s_wait_dscnt 0x2
	v_add_f64_e32 v[16:17], v[16:17], v[14:15]
	s_wait_dscnt 0x0
	v_add_f64_e32 v[6:7], v[6:7], v[22:23]
	ds_bpermute_b32 v14, v11, v4
	ds_bpermute_b32 v15, v11, v5
	;; [unrolled: 1-line block ×8, first 2 shown]
	v_xor_b32_e32 v11, 1, v1
	s_delay_alu instid0(VALU_DEP_1)
	v_cmp_gt_i32_e32 vcc_lo, 32, v11
	v_cndmask_b32_e32 v1, v1, v11, vcc_lo
	v_cmp_eq_u32_e32 vcc_lo, 7, v0
	s_wait_dscnt 0x6
	v_add_f64_e32 v[14:15], v[4:5], v[14:15]
	s_wait_dscnt 0x4
	v_dual_add_f64 v[12:13], v[12:13], v[18:19] :: v_dual_lshlrev_b32 v1, 2, v1
	s_wait_dscnt 0x2
	v_add_f64_e32 v[4:5], v[16:17], v[20:21]
	s_wait_dscnt 0x0
	v_add_f64_e32 v[6:7], v[6:7], v[22:23]
	ds_bpermute_b32 v22, v1, v14
	ds_bpermute_b32 v23, v1, v15
	;; [unrolled: 1-line block ×8, first 2 shown]
	s_and_b32 exec_lo, exec_lo, vcc_lo
	s_cbranch_execz .LBB156_10
; %bb.38:
	s_wait_dscnt 0x6
	v_add_f64_e32 v[0:1], v[14:15], v[22:23]
	s_wait_dscnt 0x4
	v_dual_add_f64 v[12:13], v[12:13], v[20:21] :: v_dual_lshlrev_b32 v10, 2, v10
	s_wait_dscnt 0x2
	v_add_f64_e32 v[14:15], v[4:5], v[18:19]
	s_wait_dscnt 0x0
	v_add_f64_e32 v[16:17], v[6:7], v[16:17]
	s_load_b64 s[0:1], s[0:1], 0x50
	s_mov_b32 s2, exec_lo
	s_delay_alu instid0(VALU_DEP_4) | instskip(NEXT) | instid1(VALU_DEP_4)
	v_mul_f64_e32 v[4:5], v[2:3], v[0:1]
	v_mul_f64_e32 v[6:7], v[2:3], v[12:13]
	s_delay_alu instid0(VALU_DEP_4) | instskip(NEXT) | instid1(VALU_DEP_4)
	v_mul_f64_e32 v[0:1], v[2:3], v[14:15]
	v_mul_f64_e32 v[2:3], v[2:3], v[16:17]
	v_cmpx_eq_f64_e32 0, v[8:9]
	s_xor_b32 s2, exec_lo, s2
	s_cbranch_execz .LBB156_40
; %bb.39:
	v_ashrrev_i32_e32 v11, 31, v10
	s_wait_kmcnt 0x0
	s_delay_alu instid0(VALU_DEP_1)
	v_lshl_add_u64 v[8:9], v[10:11], 3, s[0:1]
                                        ; implicit-def: $vgpr10
	s_clause 0x1
	global_store_b128 v[8:9], v[4:7], off
	global_store_b128 v[8:9], v[0:3], off offset:16
                                        ; implicit-def: $vgpr8_vgpr9
                                        ; implicit-def: $vgpr4_vgpr5
                                        ; implicit-def: $vgpr0_vgpr1
.LBB156_40:
	s_wait_xcnt 0x0
	s_and_not1_saveexec_b32 s2, s2
	s_cbranch_execz .LBB156_10
; %bb.41:
	v_ashrrev_i32_e32 v11, 31, v10
	s_wait_kmcnt 0x0
	s_delay_alu instid0(VALU_DEP_1)
	v_lshl_add_u64 v[18:19], v[10:11], 3, s[0:1]
	s_clause 0x1
	global_load_b128 v[10:13], v[18:19], off
	global_load_b128 v[14:17], v[18:19], off offset:16
	s_wait_loadcnt 0x1
	v_fmac_f64_e32 v[4:5], v[8:9], v[10:11]
	v_fmac_f64_e32 v[6:7], v[8:9], v[12:13]
	s_wait_loadcnt 0x0
	v_fmac_f64_e32 v[0:1], v[8:9], v[14:15]
	v_fmac_f64_e32 v[2:3], v[8:9], v[16:17]
	s_clause 0x1
	global_store_b128 v[18:19], v[4:7], off
	global_store_b128 v[18:19], v[0:3], off offset:16
	s_sendmsg sendmsg(MSG_DEALLOC_VGPRS)
	s_endpgm
	.section	.rodata,"a",@progbits
	.p2align	6, 0x0
	.amdhsa_kernel _ZN9rocsparseL18bsrxmvn_4x4_kernelILj128ELj8EdlifddEEvT3_20rocsparse_direction_NS_24const_host_device_scalarIT1_EES1_PKS1_PKT2_SA_S7_PKT4_PKT5_S5_PT6_21rocsparse_index_base_b
		.amdhsa_group_segment_fixed_size 0
		.amdhsa_private_segment_fixed_size 0
		.amdhsa_kernarg_size 96
		.amdhsa_user_sgpr_count 2
		.amdhsa_user_sgpr_dispatch_ptr 0
		.amdhsa_user_sgpr_queue_ptr 0
		.amdhsa_user_sgpr_kernarg_segment_ptr 1
		.amdhsa_user_sgpr_dispatch_id 0
		.amdhsa_user_sgpr_kernarg_preload_length 0
		.amdhsa_user_sgpr_kernarg_preload_offset 0
		.amdhsa_user_sgpr_private_segment_size 0
		.amdhsa_wavefront_size32 1
		.amdhsa_uses_dynamic_stack 0
		.amdhsa_enable_private_segment 0
		.amdhsa_system_sgpr_workgroup_id_x 1
		.amdhsa_system_sgpr_workgroup_id_y 0
		.amdhsa_system_sgpr_workgroup_id_z 0
		.amdhsa_system_sgpr_workgroup_info 0
		.amdhsa_system_vgpr_workitem_id 0
		.amdhsa_next_free_vgpr 120
		.amdhsa_next_free_sgpr 14
		.amdhsa_named_barrier_count 0
		.amdhsa_reserve_vcc 1
		.amdhsa_float_round_mode_32 0
		.amdhsa_float_round_mode_16_64 0
		.amdhsa_float_denorm_mode_32 3
		.amdhsa_float_denorm_mode_16_64 3
		.amdhsa_fp16_overflow 0
		.amdhsa_memory_ordered 1
		.amdhsa_forward_progress 1
		.amdhsa_inst_pref_size 36
		.amdhsa_round_robin_scheduling 0
		.amdhsa_exception_fp_ieee_invalid_op 0
		.amdhsa_exception_fp_denorm_src 0
		.amdhsa_exception_fp_ieee_div_zero 0
		.amdhsa_exception_fp_ieee_overflow 0
		.amdhsa_exception_fp_ieee_underflow 0
		.amdhsa_exception_fp_ieee_inexact 0
		.amdhsa_exception_int_div_zero 0
	.end_amdhsa_kernel
	.section	.text._ZN9rocsparseL18bsrxmvn_4x4_kernelILj128ELj8EdlifddEEvT3_20rocsparse_direction_NS_24const_host_device_scalarIT1_EES1_PKS1_PKT2_SA_S7_PKT4_PKT5_S5_PT6_21rocsparse_index_base_b,"axG",@progbits,_ZN9rocsparseL18bsrxmvn_4x4_kernelILj128ELj8EdlifddEEvT3_20rocsparse_direction_NS_24const_host_device_scalarIT1_EES1_PKS1_PKT2_SA_S7_PKT4_PKT5_S5_PT6_21rocsparse_index_base_b,comdat
.Lfunc_end156:
	.size	_ZN9rocsparseL18bsrxmvn_4x4_kernelILj128ELj8EdlifddEEvT3_20rocsparse_direction_NS_24const_host_device_scalarIT1_EES1_PKS1_PKT2_SA_S7_PKT4_PKT5_S5_PT6_21rocsparse_index_base_b, .Lfunc_end156-_ZN9rocsparseL18bsrxmvn_4x4_kernelILj128ELj8EdlifddEEvT3_20rocsparse_direction_NS_24const_host_device_scalarIT1_EES1_PKS1_PKT2_SA_S7_PKT4_PKT5_S5_PT6_21rocsparse_index_base_b
                                        ; -- End function
	.set _ZN9rocsparseL18bsrxmvn_4x4_kernelILj128ELj8EdlifddEEvT3_20rocsparse_direction_NS_24const_host_device_scalarIT1_EES1_PKS1_PKT2_SA_S7_PKT4_PKT5_S5_PT6_21rocsparse_index_base_b.num_vgpr, 120
	.set _ZN9rocsparseL18bsrxmvn_4x4_kernelILj128ELj8EdlifddEEvT3_20rocsparse_direction_NS_24const_host_device_scalarIT1_EES1_PKS1_PKT2_SA_S7_PKT4_PKT5_S5_PT6_21rocsparse_index_base_b.num_agpr, 0
	.set _ZN9rocsparseL18bsrxmvn_4x4_kernelILj128ELj8EdlifddEEvT3_20rocsparse_direction_NS_24const_host_device_scalarIT1_EES1_PKS1_PKT2_SA_S7_PKT4_PKT5_S5_PT6_21rocsparse_index_base_b.numbered_sgpr, 14
	.set _ZN9rocsparseL18bsrxmvn_4x4_kernelILj128ELj8EdlifddEEvT3_20rocsparse_direction_NS_24const_host_device_scalarIT1_EES1_PKS1_PKT2_SA_S7_PKT4_PKT5_S5_PT6_21rocsparse_index_base_b.num_named_barrier, 0
	.set _ZN9rocsparseL18bsrxmvn_4x4_kernelILj128ELj8EdlifddEEvT3_20rocsparse_direction_NS_24const_host_device_scalarIT1_EES1_PKS1_PKT2_SA_S7_PKT4_PKT5_S5_PT6_21rocsparse_index_base_b.private_seg_size, 0
	.set _ZN9rocsparseL18bsrxmvn_4x4_kernelILj128ELj8EdlifddEEvT3_20rocsparse_direction_NS_24const_host_device_scalarIT1_EES1_PKS1_PKT2_SA_S7_PKT4_PKT5_S5_PT6_21rocsparse_index_base_b.uses_vcc, 1
	.set _ZN9rocsparseL18bsrxmvn_4x4_kernelILj128ELj8EdlifddEEvT3_20rocsparse_direction_NS_24const_host_device_scalarIT1_EES1_PKS1_PKT2_SA_S7_PKT4_PKT5_S5_PT6_21rocsparse_index_base_b.uses_flat_scratch, 0
	.set _ZN9rocsparseL18bsrxmvn_4x4_kernelILj128ELj8EdlifddEEvT3_20rocsparse_direction_NS_24const_host_device_scalarIT1_EES1_PKS1_PKT2_SA_S7_PKT4_PKT5_S5_PT6_21rocsparse_index_base_b.has_dyn_sized_stack, 0
	.set _ZN9rocsparseL18bsrxmvn_4x4_kernelILj128ELj8EdlifddEEvT3_20rocsparse_direction_NS_24const_host_device_scalarIT1_EES1_PKS1_PKT2_SA_S7_PKT4_PKT5_S5_PT6_21rocsparse_index_base_b.has_recursion, 0
	.set _ZN9rocsparseL18bsrxmvn_4x4_kernelILj128ELj8EdlifddEEvT3_20rocsparse_direction_NS_24const_host_device_scalarIT1_EES1_PKS1_PKT2_SA_S7_PKT4_PKT5_S5_PT6_21rocsparse_index_base_b.has_indirect_call, 0
	.section	.AMDGPU.csdata,"",@progbits
; Kernel info:
; codeLenInByte = 4564
; TotalNumSgprs: 16
; NumVgprs: 120
; ScratchSize: 0
; MemoryBound: 0
; FloatMode: 240
; IeeeMode: 1
; LDSByteSize: 0 bytes/workgroup (compile time only)
; SGPRBlocks: 0
; VGPRBlocks: 7
; NumSGPRsForWavesPerEU: 16
; NumVGPRsForWavesPerEU: 120
; NamedBarCnt: 0
; Occupancy: 8
; WaveLimiterHint : 1
; COMPUTE_PGM_RSRC2:SCRATCH_EN: 0
; COMPUTE_PGM_RSRC2:USER_SGPR: 2
; COMPUTE_PGM_RSRC2:TRAP_HANDLER: 0
; COMPUTE_PGM_RSRC2:TGID_X_EN: 1
; COMPUTE_PGM_RSRC2:TGID_Y_EN: 0
; COMPUTE_PGM_RSRC2:TGID_Z_EN: 0
; COMPUTE_PGM_RSRC2:TIDIG_COMP_CNT: 0
	.section	.text._ZN9rocsparseL18bsrxmvn_4x4_kernelILj128ELj16EdlifddEEvT3_20rocsparse_direction_NS_24const_host_device_scalarIT1_EES1_PKS1_PKT2_SA_S7_PKT4_PKT5_S5_PT6_21rocsparse_index_base_b,"axG",@progbits,_ZN9rocsparseL18bsrxmvn_4x4_kernelILj128ELj16EdlifddEEvT3_20rocsparse_direction_NS_24const_host_device_scalarIT1_EES1_PKS1_PKT2_SA_S7_PKT4_PKT5_S5_PT6_21rocsparse_index_base_b,comdat
	.globl	_ZN9rocsparseL18bsrxmvn_4x4_kernelILj128ELj16EdlifddEEvT3_20rocsparse_direction_NS_24const_host_device_scalarIT1_EES1_PKS1_PKT2_SA_S7_PKT4_PKT5_S5_PT6_21rocsparse_index_base_b ; -- Begin function _ZN9rocsparseL18bsrxmvn_4x4_kernelILj128ELj16EdlifddEEvT3_20rocsparse_direction_NS_24const_host_device_scalarIT1_EES1_PKS1_PKT2_SA_S7_PKT4_PKT5_S5_PT6_21rocsparse_index_base_b
	.p2align	8
	.type	_ZN9rocsparseL18bsrxmvn_4x4_kernelILj128ELj16EdlifddEEvT3_20rocsparse_direction_NS_24const_host_device_scalarIT1_EES1_PKS1_PKT2_SA_S7_PKT4_PKT5_S5_PT6_21rocsparse_index_base_b,@function
_ZN9rocsparseL18bsrxmvn_4x4_kernelILj128ELj16EdlifddEEvT3_20rocsparse_direction_NS_24const_host_device_scalarIT1_EES1_PKS1_PKT2_SA_S7_PKT4_PKT5_S5_PT6_21rocsparse_index_base_b: ; @_ZN9rocsparseL18bsrxmvn_4x4_kernelILj128ELj16EdlifddEEvT3_20rocsparse_direction_NS_24const_host_device_scalarIT1_EES1_PKS1_PKT2_SA_S7_PKT4_PKT5_S5_PT6_21rocsparse_index_base_b
; %bb.0:
	s_clause 0x2
	s_load_b64 s[12:13], s[0:1], 0x58
	s_load_b64 s[4:5], s[0:1], 0x8
	;; [unrolled: 1-line block ×3, first 2 shown]
	s_wait_kmcnt 0x0
	s_bitcmp1_b32 s13, 0
	v_mov_b64_e32 v[2:3], s[4:5]
	s_cselect_b32 s6, -1, 0
	s_delay_alu instid0(SALU_CYCLE_1)
	s_and_b32 vcc_lo, exec_lo, s6
	s_xor_b32 s6, s6, -1
	s_cbranch_vccnz .LBB157_2
; %bb.1:
	v_mov_b32_e32 v1, 0
	flat_load_b64 v[2:3], v1, s[4:5]
.LBB157_2:
	v_mov_b64_e32 v[8:9], s[2:3]
	s_and_not1_b32 vcc_lo, exec_lo, s6
	s_cbranch_vccnz .LBB157_4
; %bb.3:
	s_wait_xcnt 0x0
	v_mov_b32_e32 v1, 0
	flat_load_b64 v[8:9], v1, s[2:3]
.LBB157_4:
	s_wait_loadcnt_dscnt 0x0
	v_cmp_neq_f64_e32 vcc_lo, 0, v[2:3]
	s_delay_alu instid0(VALU_DEP_2) | instskip(SKIP_1) | instid1(SALU_CYCLE_1)
	v_cmp_neq_f64_e64 s2, 1.0, v[8:9]
	s_or_b32 s2, vcc_lo, s2
	s_and_saveexec_b32 s3, s2
	s_cbranch_execz .LBB157_10
; %bb.5:
	s_clause 0x1
	s_load_b64 s[4:5], s[0:1], 0x18
	s_load_b64 s[2:3], s[0:1], 0x0
	s_bfe_u32 s6, ttmp6, 0x4000c
	s_and_b32 s7, ttmp6, 15
	s_add_co_i32 s6, s6, 1
	s_getreg_b32 s8, hwreg(HW_REG_IB_STS2, 6, 4)
	s_mul_i32 s6, ttmp9, s6
	v_lshrrev_b32_e32 v1, 4, v0
	s_add_co_i32 s7, s7, s6
	s_cmp_eq_u32 s8, 0
	s_cselect_b32 s6, ttmp9, s7
	s_delay_alu instid0(VALU_DEP_1) | instid1(SALU_CYCLE_1)
	v_lshl_or_b32 v10, s6, 3, v1
	s_mov_b32 s6, 0
	s_wait_kmcnt 0x0
	s_cmp_lg_u64 s[4:5], 0
	s_cbranch_scc0 .LBB157_11
; %bb.6:
	s_load_b32 s6, s[0:1], 0x10
	s_mov_b32 s7, 0
                                        ; implicit-def: $vgpr1
	s_wait_kmcnt 0x0
	v_cmp_gt_i32_e32 vcc_lo, s6, v10
	s_mov_b32 s6, 0
	s_and_saveexec_b32 s8, vcc_lo
	s_delay_alu instid0(SALU_CYCLE_1)
	s_xor_b32 s8, exec_lo, s8
	s_cbranch_execz .LBB157_8
; %bb.7:
	global_load_b32 v1, v10, s[4:5] scale_offset
	s_mov_b32 s6, exec_lo
	s_wait_loadcnt 0x0
	v_subrev_nc_u32_e32 v1, s12, v1
.LBB157_8:
	s_or_b32 exec_lo, exec_lo, s8
	s_delay_alu instid0(SALU_CYCLE_1)
	s_and_b32 vcc_lo, exec_lo, s7
	s_cbranch_vccz .LBB157_12
.LBB157_9:
	v_cmp_gt_i32_e32 vcc_lo, s2, v10
	s_and_not1_b32 s2, s6, exec_lo
	s_and_b32 s4, vcc_lo, exec_lo
	s_delay_alu instid0(SALU_CYCLE_1) | instskip(NEXT) | instid1(SALU_CYCLE_1)
	s_or_b32 s6, s2, s4
	s_and_b32 exec_lo, exec_lo, s6
	s_cbranch_execnz .LBB157_13
.LBB157_10:
	s_sendmsg sendmsg(MSG_DEALLOC_VGPRS)
	s_endpgm
.LBB157_11:
                                        ; implicit-def: $vgpr1
	s_cbranch_execnz .LBB157_9
.LBB157_12:
	s_delay_alu instid0(VALU_DEP_1)
	v_mov_b32_e32 v10, v1
	s_and_b32 exec_lo, exec_lo, s6
	s_cbranch_execz .LBB157_10
.LBB157_13:
	s_load_b256 s[4:11], s[0:1], 0x20
	s_mov_b32 s13, 0
	v_dual_mov_b32 v1, 0 :: v_dual_bitop2_b32 v0, 15, v0 bitop3:0x40
	s_wait_kmcnt 0x0
	s_cmp_eq_u64 s[6:7], 0
	global_load_b64 v[22:23], v10, s[4:5] scale_offset
	s_cselect_b32 vcc_lo, -1, 0
	v_ashrrev_i32_e32 v11, 31, v10
	s_cmp_eq_u32 s3, 1
	s_delay_alu instid0(VALU_DEP_1) | instskip(NEXT) | instid1(VALU_DEP_1)
	v_lshlrev_b64_e32 v[4:5], 3, v[10:11]
	v_add_nc_u64_e32 v[6:7], s[4:5], v[4:5]
	v_add_nc_u64_e32 v[4:5], s[6:7], v[4:5]
	s_wait_xcnt 0x0
	s_load_b64 s[4:5], s[0:1], 0x40
	s_delay_alu instid0(VALU_DEP_2) | instskip(NEXT) | instid1(VALU_DEP_1)
	v_add_nc_u64_e32 v[6:7], 8, v[6:7]
	v_dual_cndmask_b32 v5, v5, v7 :: v_dual_cndmask_b32 v4, v4, v6
	global_load_b64 v[4:5], v[4:5], off
	s_wait_loadcnt 0x1
	v_sub_nc_u64_e64 v[6:7], v[22:23], s[12:13]
	s_delay_alu instid0(VALU_DEP_1) | instskip(NEXT) | instid1(VALU_DEP_1)
	v_add_nc_u64_e32 v[6:7], v[6:7], v[0:1]
	v_lshlrev_b64_e32 v[12:13], 6, v[6:7]
	s_delay_alu instid0(VALU_DEP_1) | instskip(SKIP_2) | instid1(VALU_DEP_1)
	v_add_nc_u64_e32 v[18:19], s[10:11], v[12:13]
	s_wait_loadcnt 0x0
	v_sub_nc_u64_e64 v[16:17], v[4:5], s[12:13]
	v_cmp_lt_i64_e64 s2, v[6:7], v[16:17]
	s_cbranch_scc1 .LBB157_25
; %bb.14:
	v_mov_b64_e32 v[4:5], 0
	v_mov_b64_e32 v[12:13], 0
	;; [unrolled: 1-line block ×4, first 2 shown]
	s_and_saveexec_b32 s3, s2
	s_cbranch_execz .LBB157_24
; %bb.15:
	v_dual_mov_b32 v5, v1 :: v_dual_bitop2_b32 v4, 16, v0 bitop3:0x54
	v_sub_nc_u64_e32 v[12:13], s[12:13], v[0:1]
	v_not_b32_e32 v15, v23
	v_not_b32_e32 v14, v22
	v_mov_b64_e32 v[20:21], 0
	v_sub_nc_u64_e64 v[4:5], v[4:5], s[12:13]
	v_mov_b64_e32 v[24:25], v[6:7]
	v_mov_b64_e32 v[26:27], v[18:19]
	v_add_nc_u64_e32 v[12:13], v[12:13], v[14:15]
	v_mov_b64_e32 v[14:15], 0
	s_mov_b32 s6, exec_lo
	v_add_nc_u64_e32 v[4:5], v[4:5], v[22:23]
	s_delay_alu instid0(VALU_DEP_1) | instskip(NEXT) | instid1(VALU_DEP_1)
	v_max_i64 v[4:5], v[4:5], v[16:17]
	v_add_nc_u64_e32 v[28:29], v[12:13], v[4:5]
	v_mov_b64_e32 v[12:13], 0
	v_mov_b64_e32 v[4:5], 0
	s_delay_alu instid0(VALU_DEP_3) | instskip(NEXT) | instid1(VALU_DEP_1)
	v_dual_mov_b32 v33, 0 :: v_dual_bitop2_b32 v32, 48, v28 bitop3:0x40
	v_cmpx_ne_u64_e32 48, v[32:33]
	s_cbranch_execz .LBB157_19
; %bb.16:
	v_lshrrev_b32_e32 v4, 4, v28
	v_mov_b64_e32 v[12:13], 0
	v_mov_b64_e32 v[20:21], 0
	;; [unrolled: 1-line block ×4, first 2 shown]
	v_add_nc_u32_e32 v4, 1, v4
	v_mov_b64_e32 v[24:25], v[6:7]
	v_lshl_add_u64 v[30:31], v[6:7], 2, s[8:9]
	s_mov_b32 s7, 0
	s_delay_alu instid0(VALU_DEP_3) | instskip(SKIP_1) | instid1(VALU_DEP_2)
	v_and_b32_e32 v32, 3, v4
	v_mov_b64_e32 v[4:5], 0
	v_sub_nc_u64_e32 v[32:33], 0, v[32:33]
.LBB157_17:                             ; =>This Inner Loop Header: Depth=1
	global_load_b32 v11, v[30:31], off
	s_clause 0x3
	global_load_b128 v[34:37], v[26:27], off
	global_load_b128 v[38:41], v[26:27], off offset:16
	global_load_b128 v[42:45], v[26:27], off offset:32
	;; [unrolled: 1-line block ×3, first 2 shown]
	v_add_nc_u64_e32 v[32:33], 1, v[32:33]
	s_wait_xcnt 0x0
	v_add_nc_u64_e32 v[26:27], 0x400, v[26:27]
	v_add_nc_u64_e32 v[24:25], 16, v[24:25]
	;; [unrolled: 1-line block ×3, first 2 shown]
	s_delay_alu instid0(VALU_DEP_4)
	v_cmp_eq_u64_e32 vcc_lo, 0, v[32:33]
	s_or_b32 s7, vcc_lo, s7
	s_wait_loadcnt 0x4
	v_subrev_nc_u32_e32 v11, s12, v11
	s_wait_loadcnt 0x2
	v_cvt_f64_f32_e32 v[60:61], v38
	s_wait_loadcnt 0x1
	v_cvt_f64_f32_e32 v[62:63], v42
	;; [unrolled: 2-line block ×3, first 2 shown]
	v_lshlrev_b32_e32 v50, 2, v11
	v_cvt_f64_f32_e32 v[38:39], v39
	v_cvt_f64_f32_e32 v[42:43], v43
	;; [unrolled: 1-line block ×3, first 2 shown]
	s_delay_alu instid0(VALU_DEP_4) | instskip(SKIP_1) | instid1(VALU_DEP_1)
	v_ashrrev_i32_e32 v51, 31, v50
	s_wait_kmcnt 0x0
	v_lshl_add_u64 v[58:59], v[50:51], 3, s[4:5]
	s_clause 0x1
	global_load_b128 v[50:53], v[58:59], off
	global_load_b128 v[54:57], v[58:59], off offset:16
	s_wait_xcnt 0x0
	v_cvt_f64_f32_e32 v[58:59], v34
	v_cvt_f64_f32_e32 v[34:35], v35
	s_wait_loadcnt 0x1
	s_delay_alu instid0(VALU_DEP_2)
	v_fmac_f64_e32 v[14:15], v[58:59], v[50:51]
	v_fmac_f64_e32 v[20:21], v[60:61], v[50:51]
	;; [unrolled: 1-line block ×4, first 2 shown]
	v_cvt_f64_f32_e32 v[50:51], v36
	v_cvt_f64_f32_e32 v[58:59], v40
	;; [unrolled: 1-line block ×4, first 2 shown]
	v_fmac_f64_e32 v[14:15], v[34:35], v[52:53]
	v_fmac_f64_e32 v[20:21], v[38:39], v[52:53]
	;; [unrolled: 1-line block ×4, first 2 shown]
	v_cvt_f64_f32_e32 v[34:35], v37
	v_cvt_f64_f32_e32 v[36:37], v41
	;; [unrolled: 1-line block ×4, first 2 shown]
	s_wait_loadcnt 0x0
	v_fmac_f64_e32 v[14:15], v[50:51], v[54:55]
	v_fmac_f64_e32 v[20:21], v[58:59], v[54:55]
	;; [unrolled: 1-line block ×4, first 2 shown]
	s_delay_alu instid0(VALU_DEP_4) | instskip(NEXT) | instid1(VALU_DEP_4)
	v_fmac_f64_e32 v[14:15], v[34:35], v[56:57]
	v_fmac_f64_e32 v[20:21], v[36:37], v[56:57]
	s_delay_alu instid0(VALU_DEP_4) | instskip(NEXT) | instid1(VALU_DEP_4)
	v_fmac_f64_e32 v[12:13], v[38:39], v[56:57]
	v_fmac_f64_e32 v[4:5], v[40:41], v[56:57]
	s_and_not1_b32 exec_lo, exec_lo, s7
	s_cbranch_execnz .LBB157_17
; %bb.18:
	s_or_b32 exec_lo, exec_lo, s7
.LBB157_19:
	s_delay_alu instid0(SALU_CYCLE_1) | instskip(NEXT) | instid1(SALU_CYCLE_1)
	s_or_b32 exec_lo, exec_lo, s6
	s_mov_b32 s6, exec_lo
	v_cmpx_lt_u64_e32 47, v[28:29]
	s_cbranch_execz .LBB157_23
; %bb.20:
	v_lshl_add_u64 v[28:29], v[24:25], 2, s[8:9]
	s_mov_b32 s7, 0
	s_delay_alu instid0(VALU_DEP_1)
	v_add_nc_u64_e32 v[28:29], 0x80, v[28:29]
.LBB157_21:                             ; =>This Inner Loop Header: Depth=1
	s_clause 0x2
	global_load_b32 v11, v[28:29], off offset:-128
	global_load_b32 v72, v[28:29], off offset:-64
	global_load_b32 v96, v[28:29], off
	s_clause 0x3
	global_load_b128 v[30:33], v[26:27], off
	global_load_b128 v[34:37], v[26:27], off offset:16
	global_load_b128 v[38:41], v[26:27], off offset:32
	;; [unrolled: 1-line block ×3, first 2 shown]
	global_load_b32 v118, v[28:29], off offset:64
	v_add_nc_u64_e32 v[24:25], 64, v[24:25]
	s_wait_xcnt 0x0
	v_add_nc_u64_e32 v[28:29], 0x100, v[28:29]
	s_delay_alu instid0(VALU_DEP_2)
	v_cmp_ge_i64_e32 vcc_lo, v[24:25], v[16:17]
	s_or_b32 s7, vcc_lo, s7
	s_wait_loadcnt 0x7
	v_subrev_nc_u32_e32 v11, s12, v11
	s_wait_loadcnt 0x4
	v_cvt_f64_f32_e32 v[102:103], v30
	s_wait_loadcnt 0x3
	v_cvt_f64_f32_e32 v[104:105], v34
	v_lshlrev_b32_e32 v46, 2, v11
	v_subrev_nc_u32_e32 v11, s12, v72
	s_wait_loadcnt 0x2
	v_cvt_f64_f32_e32 v[106:107], v38
	s_wait_loadcnt 0x1
	v_cvt_f64_f32_e32 v[108:109], v42
	v_cvt_f64_f32_e32 v[30:31], v31
	v_ashrrev_i32_e32 v47, 31, v46
	v_cvt_f64_f32_e32 v[34:35], v35
	v_cvt_f64_f32_e32 v[38:39], v39
	;; [unrolled: 1-line block ×3, first 2 shown]
	s_wait_kmcnt 0x0
	v_lshl_add_u64 v[70:71], v[46:47], 3, s[4:5]
	s_clause 0x1
	global_load_b128 v[46:49], v[70:71], off
	global_load_b128 v[50:53], v[70:71], off offset:16
	s_clause 0x3
	global_load_b128 v[54:57], v[26:27], off offset:1024
	global_load_b128 v[58:61], v[26:27], off offset:1040
	global_load_b128 v[62:65], v[26:27], off offset:1056
	global_load_b128 v[66:69], v[26:27], off offset:1072
	s_wait_xcnt 0x4
	v_lshlrev_b32_e32 v70, 2, v11
	v_subrev_nc_u32_e32 v11, s12, v96
	s_delay_alu instid0(VALU_DEP_2) | instskip(NEXT) | instid1(VALU_DEP_1)
	v_ashrrev_i32_e32 v71, 31, v70
	v_lshl_add_u64 v[94:95], v[70:71], 3, s[4:5]
	s_clause 0x1
	global_load_b128 v[70:73], v[94:95], off
	global_load_b128 v[74:77], v[94:95], off offset:16
	s_clause 0x3
	global_load_b128 v[78:81], v[26:27], off offset:2048
	global_load_b128 v[82:85], v[26:27], off offset:2064
	;; [unrolled: 1-line block ×4, first 2 shown]
	s_wait_xcnt 0x4
	v_lshlrev_b32_e32 v94, 2, v11
	s_wait_loadcnt 0xc
	v_subrev_nc_u32_e32 v11, s12, v118
	s_delay_alu instid0(VALU_DEP_2) | instskip(NEXT) | instid1(VALU_DEP_1)
	v_ashrrev_i32_e32 v95, 31, v94
	v_lshl_add_u64 v[98:99], v[94:95], 3, s[4:5]
	s_clause 0x1
	global_load_b128 v[94:97], v[98:99], off
	global_load_b128 v[98:101], v[98:99], off offset:16
	s_wait_loadcnt 0xd
	v_fmac_f64_e32 v[14:15], v[102:103], v[46:47]
	v_fmac_f64_e32 v[20:21], v[104:105], v[46:47]
	;; [unrolled: 1-line block ×4, first 2 shown]
	s_clause 0x3
	global_load_b128 v[102:105], v[26:27], off offset:3120
	global_load_b128 v[106:109], v[26:27], off offset:3088
	;; [unrolled: 1-line block ×4, first 2 shown]
	v_cvt_f64_f32_e32 v[46:47], v40
	v_cvt_f64_f32_e32 v[40:41], v41
	s_wait_xcnt 0x0
	v_add_nc_u64_e32 v[26:27], 0x1000, v[26:27]
	v_fmac_f64_e32 v[14:15], v[30:31], v[48:49]
	v_fmac_f64_e32 v[20:21], v[34:35], v[48:49]
	;; [unrolled: 1-line block ×4, first 2 shown]
	v_cvt_f64_f32_e32 v[34:35], v32
	v_cvt_f64_f32_e32 v[38:39], v36
	;; [unrolled: 1-line block ×3, first 2 shown]
	v_lshlrev_b32_e32 v30, 2, v11
	v_cvt_f64_f32_e32 v[42:43], v33
	v_cvt_f64_f32_e32 v[36:37], v37
	;; [unrolled: 1-line block ×3, first 2 shown]
	s_delay_alu instid0(VALU_DEP_4) | instskip(NEXT) | instid1(VALU_DEP_1)
	v_ashrrev_i32_e32 v31, 31, v30
	v_lshl_add_u64 v[118:119], v[30:31], 3, s[4:5]
	global_load_b128 v[30:33], v[118:119], off
	s_wait_loadcnt 0x11
	v_fmac_f64_e32 v[12:13], v[46:47], v[50:51]
	s_wait_loadcnt 0xf
	v_cvt_f64_f32_e32 v[46:47], v58
	v_fmac_f64_e32 v[14:15], v[34:35], v[50:51]
	v_fmac_f64_e32 v[20:21], v[38:39], v[50:51]
	;; [unrolled: 1-line block ×3, first 2 shown]
	v_cvt_f64_f32_e32 v[38:39], v54
	s_wait_loadcnt 0xe
	v_cvt_f64_f32_e32 v[48:49], v62
	s_wait_loadcnt 0xd
	v_cvt_f64_f32_e32 v[50:51], v66
	v_fmac_f64_e32 v[12:13], v[40:41], v[52:53]
	v_cvt_f64_f32_e32 v[40:41], v55
	v_fmac_f64_e32 v[14:15], v[42:43], v[52:53]
	v_fmac_f64_e32 v[20:21], v[36:37], v[52:53]
	;; [unrolled: 1-line block ×3, first 2 shown]
	v_cvt_f64_f32_e32 v[42:43], v59
	v_cvt_f64_f32_e32 v[44:45], v63
	;; [unrolled: 1-line block ×3, first 2 shown]
	global_load_b128 v[34:37], v[118:119], off offset:16
	s_wait_loadcnt 0xd
	v_fmac_f64_e32 v[12:13], v[48:49], v[70:71]
	v_cvt_f64_f32_e32 v[48:49], v64
	v_fmac_f64_e32 v[14:15], v[38:39], v[70:71]
	v_fmac_f64_e32 v[20:21], v[46:47], v[70:71]
	;; [unrolled: 1-line block ×3, first 2 shown]
	v_cvt_f64_f32_e32 v[38:39], v56
	v_cvt_f64_f32_e32 v[46:47], v60
	;; [unrolled: 1-line block ×3, first 2 shown]
	v_fmac_f64_e32 v[12:13], v[44:45], v[72:73]
	v_cvt_f64_f32_e32 v[44:45], v65
	v_fmac_f64_e32 v[14:15], v[40:41], v[72:73]
	v_fmac_f64_e32 v[20:21], v[42:43], v[72:73]
	;; [unrolled: 1-line block ×3, first 2 shown]
	v_cvt_f64_f32_e32 v[40:41], v57
	v_cvt_f64_f32_e32 v[42:43], v61
	;; [unrolled: 1-line block ×3, first 2 shown]
	s_wait_loadcnt 0xc
	v_fmac_f64_e32 v[12:13], v[48:49], v[74:75]
	s_wait_loadcnt 0x9
	v_cvt_f64_f32_e32 v[48:49], v86
	v_fmac_f64_e32 v[14:15], v[38:39], v[74:75]
	v_fmac_f64_e32 v[20:21], v[46:47], v[74:75]
	;; [unrolled: 1-line block ×3, first 2 shown]
	v_cvt_f64_f32_e32 v[38:39], v78
	v_cvt_f64_f32_e32 v[46:47], v82
	s_wait_loadcnt 0x8
	v_cvt_f64_f32_e32 v[50:51], v90
	v_fmac_f64_e32 v[12:13], v[44:45], v[76:77]
	v_cvt_f64_f32_e32 v[44:45], v87
	v_fmac_f64_e32 v[14:15], v[40:41], v[76:77]
	v_fmac_f64_e32 v[20:21], v[42:43], v[76:77]
	;; [unrolled: 1-line block ×3, first 2 shown]
	v_cvt_f64_f32_e32 v[40:41], v79
	v_cvt_f64_f32_e32 v[42:43], v83
	;; [unrolled: 1-line block ×3, first 2 shown]
	s_wait_loadcnt 0x7
	v_fmac_f64_e32 v[12:13], v[48:49], v[94:95]
	v_cvt_f64_f32_e32 v[48:49], v88
	v_fmac_f64_e32 v[14:15], v[38:39], v[94:95]
	v_fmac_f64_e32 v[20:21], v[46:47], v[94:95]
	;; [unrolled: 1-line block ×3, first 2 shown]
	v_cvt_f64_f32_e32 v[38:39], v80
	v_cvt_f64_f32_e32 v[46:47], v84
	;; [unrolled: 1-line block ×3, first 2 shown]
	v_fmac_f64_e32 v[12:13], v[44:45], v[96:97]
	v_cvt_f64_f32_e32 v[44:45], v89
	v_fmac_f64_e32 v[14:15], v[40:41], v[96:97]
	v_fmac_f64_e32 v[20:21], v[42:43], v[96:97]
	;; [unrolled: 1-line block ×3, first 2 shown]
	v_cvt_f64_f32_e32 v[40:41], v81
	v_cvt_f64_f32_e32 v[42:43], v85
	;; [unrolled: 1-line block ×3, first 2 shown]
	s_wait_loadcnt 0x6
	v_fmac_f64_e32 v[12:13], v[48:49], v[98:99]
	v_fmac_f64_e32 v[14:15], v[38:39], v[98:99]
	;; [unrolled: 1-line block ×4, first 2 shown]
	s_wait_loadcnt 0x3
	v_cvt_f64_f32_e32 v[38:39], v110
	v_cvt_f64_f32_e32 v[46:47], v106
	s_wait_loadcnt 0x2
	v_cvt_f64_f32_e32 v[48:49], v114
	v_cvt_f64_f32_e32 v[50:51], v102
	v_fmac_f64_e32 v[12:13], v[44:45], v[100:101]
	v_cvt_f64_f32_e32 v[44:45], v115
	v_fmac_f64_e32 v[14:15], v[40:41], v[100:101]
	v_fmac_f64_e32 v[20:21], v[42:43], v[100:101]
	;; [unrolled: 1-line block ×3, first 2 shown]
	v_cvt_f64_f32_e32 v[40:41], v111
	v_cvt_f64_f32_e32 v[42:43], v107
	;; [unrolled: 1-line block ×3, first 2 shown]
	s_wait_loadcnt 0x1
	v_fmac_f64_e32 v[12:13], v[48:49], v[30:31]
	v_cvt_f64_f32_e32 v[48:49], v104
	v_fmac_f64_e32 v[14:15], v[38:39], v[30:31]
	v_fmac_f64_e32 v[20:21], v[46:47], v[30:31]
	;; [unrolled: 1-line block ×3, first 2 shown]
	v_cvt_f64_f32_e32 v[30:31], v112
	v_cvt_f64_f32_e32 v[38:39], v108
	;; [unrolled: 1-line block ×3, first 2 shown]
	v_fmac_f64_e32 v[12:13], v[44:45], v[32:33]
	v_cvt_f64_f32_e32 v[44:45], v105
	v_fmac_f64_e32 v[14:15], v[40:41], v[32:33]
	v_fmac_f64_e32 v[20:21], v[42:43], v[32:33]
	;; [unrolled: 1-line block ×3, first 2 shown]
	v_cvt_f64_f32_e32 v[32:33], v113
	v_cvt_f64_f32_e32 v[40:41], v109
	;; [unrolled: 1-line block ×3, first 2 shown]
	s_wait_loadcnt 0x0
	v_fmac_f64_e32 v[12:13], v[46:47], v[34:35]
	v_fmac_f64_e32 v[14:15], v[30:31], v[34:35]
	;; [unrolled: 1-line block ×4, first 2 shown]
	s_delay_alu instid0(VALU_DEP_4) | instskip(NEXT) | instid1(VALU_DEP_4)
	v_fmac_f64_e32 v[12:13], v[42:43], v[36:37]
	v_fmac_f64_e32 v[14:15], v[32:33], v[36:37]
	s_delay_alu instid0(VALU_DEP_4) | instskip(NEXT) | instid1(VALU_DEP_4)
	v_fmac_f64_e32 v[20:21], v[40:41], v[36:37]
	v_fmac_f64_e32 v[4:5], v[44:45], v[36:37]
	s_and_not1_b32 exec_lo, exec_lo, s7
	s_cbranch_execnz .LBB157_21
; %bb.22:
	s_or_b32 exec_lo, exec_lo, s7
.LBB157_23:
	s_delay_alu instid0(SALU_CYCLE_1)
	s_or_b32 exec_lo, exec_lo, s6
.LBB157_24:
	s_delay_alu instid0(SALU_CYCLE_1)
	s_or_b32 exec_lo, exec_lo, s3
	s_cbranch_execz .LBB157_26
	s_branch .LBB157_37
.LBB157_25:
                                        ; implicit-def: $vgpr4_vgpr5
                                        ; implicit-def: $vgpr12_vgpr13
                                        ; implicit-def: $vgpr20_vgpr21
                                        ; implicit-def: $vgpr14_vgpr15
.LBB157_26:
	v_mov_b64_e32 v[4:5], 0
	v_mov_b64_e32 v[12:13], 0
	;; [unrolled: 1-line block ×4, first 2 shown]
	s_and_saveexec_b32 s3, s2
	s_cbranch_execz .LBB157_36
; %bb.27:
	v_dual_mov_b32 v5, v1 :: v_dual_bitop2_b32 v4, 16, v0 bitop3:0x54
	v_sub_nc_u64_e32 v[12:13], s[12:13], v[0:1]
	v_not_b32_e32 v15, v23
	v_not_b32_e32 v14, v22
	v_mov_b64_e32 v[20:21], 0
	v_sub_nc_u64_e64 v[4:5], v[4:5], s[12:13]
	s_mov_b32 s2, exec_lo
	s_delay_alu instid0(VALU_DEP_3) | instskip(SKIP_1) | instid1(VALU_DEP_3)
	v_add_nc_u64_e32 v[12:13], v[12:13], v[14:15]
	v_mov_b64_e32 v[14:15], 0
	v_add_nc_u64_e32 v[4:5], v[4:5], v[22:23]
	s_delay_alu instid0(VALU_DEP_1) | instskip(NEXT) | instid1(VALU_DEP_1)
	v_max_i64 v[4:5], v[4:5], v[16:17]
	v_add_nc_u64_e32 v[22:23], v[12:13], v[4:5]
	v_mov_b64_e32 v[12:13], 0
	v_mov_b64_e32 v[4:5], 0
	s_delay_alu instid0(VALU_DEP_3) | instskip(NEXT) | instid1(VALU_DEP_1)
	v_dual_mov_b32 v25, 0 :: v_dual_bitop2_b32 v24, 48, v22 bitop3:0x40
	v_cmpx_ne_u64_e32 48, v[24:25]
	s_cbranch_execz .LBB157_31
; %bb.28:
	v_lshrrev_b32_e32 v1, 4, v22
	v_mov_b64_e32 v[4:5], 0
	v_mov_b64_e32 v[12:13], 0
	;; [unrolled: 1-line block ×4, first 2 shown]
	v_add_nc_u32_e32 v1, 1, v1
	v_lshl_add_u64 v[26:27], v[6:7], 2, s[8:9]
	s_mov_b32 s6, 0
	s_delay_alu instid0(VALU_DEP_2) | instskip(NEXT) | instid1(VALU_DEP_1)
	v_and_b32_e32 v24, 3, v1
	v_sub_nc_u64_e32 v[24:25], 0, v[24:25]
.LBB157_29:                             ; =>This Inner Loop Header: Depth=1
	global_load_b32 v1, v[26:27], off
	s_clause 0x1
	global_load_b128 v[28:31], v[18:19], off
	global_load_b128 v[32:35], v[18:19], off offset:16
	v_add_nc_u64_e32 v[24:25], 1, v[24:25]
	v_add_nc_u64_e32 v[6:7], 16, v[6:7]
	s_wait_xcnt 0x2
	v_add_nc_u64_e32 v[26:27], 64, v[26:27]
	s_delay_alu instid0(VALU_DEP_3)
	v_cmp_eq_u64_e32 vcc_lo, 0, v[24:25]
	s_or_b32 s6, vcc_lo, s6
	s_wait_loadcnt 0x2
	v_subrev_nc_u32_e32 v1, s12, v1
	s_wait_loadcnt 0x1
	v_cvt_f64_f32_e32 v[54:55], v30
	v_cvt_f64_f32_e32 v[30:31], v31
	s_wait_loadcnt 0x0
	v_cvt_f64_f32_e32 v[56:57], v32
	v_cvt_f64_f32_e32 v[32:33], v33
	v_lshlrev_b32_e32 v36, 2, v1
	v_cvt_f64_f32_e32 v[58:59], v34
	v_cvt_f64_f32_e32 v[34:35], v35
	s_delay_alu instid0(VALU_DEP_3) | instskip(SKIP_1) | instid1(VALU_DEP_1)
	v_ashrrev_i32_e32 v37, 31, v36
	s_wait_kmcnt 0x0
	v_lshl_add_u64 v[52:53], v[36:37], 3, s[4:5]
	s_clause 0x1
	global_load_b128 v[36:39], v[52:53], off
	global_load_b128 v[40:43], v[52:53], off offset:16
	s_clause 0x1
	global_load_b128 v[44:47], v[18:19], off offset:32
	global_load_b128 v[48:51], v[18:19], off offset:48
	s_wait_xcnt 0x2
	v_cvt_f64_f32_e32 v[52:53], v28
	v_cvt_f64_f32_e32 v[28:29], v29
	s_wait_xcnt 0x0
	v_add_nc_u64_e32 v[18:19], 0x400, v[18:19]
	s_wait_loadcnt 0x3
	s_delay_alu instid0(VALU_DEP_3) | instskip(NEXT) | instid1(VALU_DEP_3)
	v_fmac_f64_e32 v[14:15], v[52:53], v[36:37]
	v_fmac_f64_e32 v[20:21], v[28:29], v[36:37]
	;; [unrolled: 1-line block ×4, first 2 shown]
	s_wait_loadcnt 0x1
	v_cvt_f64_f32_e32 v[28:29], v44
	v_cvt_f64_f32_e32 v[30:31], v45
	;; [unrolled: 1-line block ×4, first 2 shown]
	s_wait_loadcnt 0x0
	v_cvt_f64_f32_e32 v[46:47], v51
	v_fmac_f64_e32 v[14:15], v[56:57], v[38:39]
	v_fmac_f64_e32 v[20:21], v[32:33], v[38:39]
	;; [unrolled: 1-line block ×4, first 2 shown]
	v_cvt_f64_f32_e32 v[32:33], v48
	v_cvt_f64_f32_e32 v[34:35], v49
	;; [unrolled: 1-line block ×3, first 2 shown]
	v_fmac_f64_e32 v[14:15], v[28:29], v[40:41]
	v_fmac_f64_e32 v[20:21], v[30:31], v[40:41]
	;; [unrolled: 1-line block ×4, first 2 shown]
	s_delay_alu instid0(VALU_DEP_4) | instskip(NEXT) | instid1(VALU_DEP_4)
	v_fmac_f64_e32 v[14:15], v[32:33], v[42:43]
	v_fmac_f64_e32 v[20:21], v[34:35], v[42:43]
	s_delay_alu instid0(VALU_DEP_4) | instskip(NEXT) | instid1(VALU_DEP_4)
	v_fmac_f64_e32 v[12:13], v[38:39], v[42:43]
	v_fmac_f64_e32 v[4:5], v[46:47], v[42:43]
	s_and_not1_b32 exec_lo, exec_lo, s6
	s_cbranch_execnz .LBB157_29
; %bb.30:
	s_or_b32 exec_lo, exec_lo, s6
.LBB157_31:
	s_delay_alu instid0(SALU_CYCLE_1) | instskip(NEXT) | instid1(SALU_CYCLE_1)
	s_or_b32 exec_lo, exec_lo, s2
	s_mov_b32 s2, exec_lo
	v_cmpx_lt_u64_e32 47, v[22:23]
	s_cbranch_execz .LBB157_35
; %bb.32:
	v_lshl_add_u64 v[22:23], v[6:7], 2, s[8:9]
	s_mov_b32 s6, 0
	s_delay_alu instid0(VALU_DEP_1)
	v_add_nc_u64_e32 v[22:23], 0x80, v[22:23]
.LBB157_33:                             ; =>This Inner Loop Header: Depth=1
	s_clause 0x2
	global_load_b32 v1, v[22:23], off offset:-128
	global_load_b32 v11, v[22:23], off offset:-64
	global_load_b32 v78, v[22:23], off
	global_load_b128 v[24:27], v[18:19], off
	global_load_b32 v108, v[22:23], off offset:64
	v_add_nc_u64_e32 v[6:7], 64, v[6:7]
	s_wait_xcnt 0x0
	v_add_nc_u64_e32 v[22:23], 0x100, v[22:23]
	s_delay_alu instid0(VALU_DEP_2)
	v_cmp_ge_i64_e32 vcc_lo, v[6:7], v[16:17]
	s_or_b32 s6, vcc_lo, s6
	s_wait_loadcnt 0x4
	v_subrev_nc_u32_e32 v1, s12, v1
	s_wait_loadcnt 0x1
	v_cvt_f64_f32_e32 v[90:91], v24
	v_cvt_f64_f32_e32 v[92:93], v25
	s_delay_alu instid0(VALU_DEP_3) | instskip(SKIP_3) | instid1(VALU_DEP_4)
	v_lshlrev_b32_e32 v28, 2, v1
	v_subrev_nc_u32_e32 v1, s12, v11
	v_cvt_f64_f32_e32 v[94:95], v26
	v_cvt_f64_f32_e32 v[96:97], v27
	v_ashrrev_i32_e32 v29, 31, v28
	s_wait_kmcnt 0x0
	s_delay_alu instid0(VALU_DEP_1)
	v_lshl_add_u64 v[52:53], v[28:29], 3, s[4:5]
	global_load_b128 v[28:31], v[18:19], off offset:16
	global_load_b128 v[32:35], v[52:53], off
	s_clause 0x1
	global_load_b128 v[36:39], v[18:19], off offset:32
	global_load_b128 v[40:43], v[18:19], off offset:48
	;; [unrolled: 1-line block ×4, first 2 shown]
	s_wait_xcnt 0x1
	v_lshlrev_b32_e32 v52, 2, v1
	v_subrev_nc_u32_e32 v1, s12, v78
	s_delay_alu instid0(VALU_DEP_2) | instskip(NEXT) | instid1(VALU_DEP_1)
	v_ashrrev_i32_e32 v53, 31, v52
	v_lshl_add_u64 v[76:77], v[52:53], 3, s[4:5]
	global_load_b128 v[52:55], v[18:19], off offset:1040
	global_load_b128 v[56:59], v[76:77], off
	s_clause 0x1
	global_load_b128 v[60:63], v[18:19], off offset:1056
	global_load_b128 v[64:67], v[18:19], off offset:1072
	;; [unrolled: 1-line block ×4, first 2 shown]
	s_wait_xcnt 0x1
	v_lshlrev_b32_e32 v76, 2, v1
	s_wait_loadcnt 0xc
	v_subrev_nc_u32_e32 v1, s12, v108
	s_delay_alu instid0(VALU_DEP_2) | instskip(NEXT) | instid1(VALU_DEP_1)
	v_ashrrev_i32_e32 v77, 31, v76
	v_lshl_add_u64 v[88:89], v[76:77], 3, s[4:5]
	global_load_b128 v[76:79], v[18:19], off offset:2064
	global_load_b128 v[80:83], v[88:89], off
	s_clause 0x1
	global_load_b128 v[84:87], v[18:19], off offset:2080
	global_load_b128 v[24:27], v[18:19], off offset:2096
	s_wait_loadcnt 0xf
	v_cvt_f64_f32_e32 v[98:99], v28
	v_cvt_f64_f32_e32 v[100:101], v29
	v_cvt_f64_f32_e32 v[102:103], v30
	v_cvt_f64_f32_e32 v[104:105], v31
	global_load_b128 v[28:31], v[88:89], off offset:16
	s_wait_loadcnt 0xf
	v_fmac_f64_e32 v[14:15], v[90:91], v[32:33]
	v_fmac_f64_e32 v[20:21], v[92:93], v[32:33]
	;; [unrolled: 1-line block ×4, first 2 shown]
	s_wait_loadcnt 0xe
	v_cvt_f64_f32_e32 v[92:93], v36
	v_lshlrev_b32_e32 v36, 2, v1
	v_cvt_f64_f32_e32 v[94:95], v37
	v_cvt_f64_f32_e32 v[96:97], v38
	;; [unrolled: 1-line block ×3, first 2 shown]
	s_delay_alu instid0(VALU_DEP_4) | instskip(NEXT) | instid1(VALU_DEP_1)
	v_ashrrev_i32_e32 v37, 31, v36
	v_lshl_add_u64 v[108:109], v[36:37], 3, s[4:5]
	global_load_b128 v[36:39], v[108:109], off
	global_load_b128 v[88:91], v[18:19], off offset:3072
	v_fmac_f64_e32 v[14:15], v[98:99], v[34:35]
	v_fmac_f64_e32 v[20:21], v[100:101], v[34:35]
	v_fmac_f64_e32 v[12:13], v[102:103], v[34:35]
	v_fmac_f64_e32 v[4:5], v[104:105], v[34:35]
	global_load_b128 v[32:35], v[18:19], off offset:3088
	s_wait_loadcnt 0x10
	v_cvt_f64_f32_e32 v[98:99], v40
	v_cvt_f64_f32_e32 v[100:101], v41
	;; [unrolled: 1-line block ×4, first 2 shown]
	global_load_b128 v[40:43], v[18:19], off offset:3104
	s_wait_loadcnt 0x10
	v_fmac_f64_e32 v[14:15], v[92:93], v[44:45]
	v_fmac_f64_e32 v[20:21], v[94:95], v[44:45]
	v_fmac_f64_e32 v[12:13], v[96:97], v[44:45]
	v_fmac_f64_e32 v[4:5], v[106:107], v[44:45]
	s_wait_loadcnt 0xf
	v_cvt_f64_f32_e32 v[92:93], v48
	v_cvt_f64_f32_e32 v[94:95], v49
	;; [unrolled: 1-line block ×4, first 2 shown]
	global_load_b128 v[48:51], v[108:109], off offset:16
	v_fmac_f64_e32 v[14:15], v[98:99], v[46:47]
	v_fmac_f64_e32 v[20:21], v[100:101], v[46:47]
	;; [unrolled: 1-line block ×4, first 2 shown]
	global_load_b128 v[44:47], v[18:19], off offset:3120
	s_wait_loadcnt 0x10
	v_cvt_f64_f32_e32 v[98:99], v52
	v_cvt_f64_f32_e32 v[52:53], v53
	;; [unrolled: 1-line block ×4, first 2 shown]
	s_wait_xcnt 0x0
	v_add_nc_u64_e32 v[18:19], 0x1000, v[18:19]
	s_wait_loadcnt 0xf
	v_fmac_f64_e32 v[14:15], v[92:93], v[56:57]
	v_fmac_f64_e32 v[20:21], v[94:95], v[56:57]
	;; [unrolled: 1-line block ×4, first 2 shown]
	s_wait_loadcnt 0xe
	v_cvt_f64_f32_e32 v[56:57], v60
	v_cvt_f64_f32_e32 v[60:61], v61
	;; [unrolled: 1-line block ×4, first 2 shown]
	v_fmac_f64_e32 v[14:15], v[98:99], v[58:59]
	v_fmac_f64_e32 v[20:21], v[52:53], v[58:59]
	;; [unrolled: 1-line block ×4, first 2 shown]
	s_wait_loadcnt 0xd
	v_cvt_f64_f32_e32 v[52:53], v64
	v_cvt_f64_f32_e32 v[54:55], v65
	;; [unrolled: 1-line block ×4, first 2 shown]
	s_wait_loadcnt 0xb
	v_cvt_f64_f32_e32 v[66:67], v75
	v_fmac_f64_e32 v[14:15], v[56:57], v[68:69]
	v_fmac_f64_e32 v[20:21], v[60:61], v[68:69]
	;; [unrolled: 1-line block ×4, first 2 shown]
	v_cvt_f64_f32_e32 v[56:57], v72
	v_cvt_f64_f32_e32 v[60:61], v73
	;; [unrolled: 1-line block ×3, first 2 shown]
	v_fmac_f64_e32 v[14:15], v[52:53], v[70:71]
	v_fmac_f64_e32 v[20:21], v[54:55], v[70:71]
	;; [unrolled: 1-line block ×4, first 2 shown]
	s_wait_loadcnt 0xa
	v_cvt_f64_f32_e32 v[52:53], v76
	v_cvt_f64_f32_e32 v[54:55], v77
	;; [unrolled: 1-line block ×4, first 2 shown]
	s_wait_loadcnt 0x9
	v_fmac_f64_e32 v[14:15], v[56:57], v[80:81]
	v_fmac_f64_e32 v[20:21], v[60:61], v[80:81]
	;; [unrolled: 1-line block ×4, first 2 shown]
	s_wait_loadcnt 0x8
	v_cvt_f64_f32_e32 v[56:57], v84
	v_cvt_f64_f32_e32 v[60:61], v85
	;; [unrolled: 1-line block ×4, first 2 shown]
	v_fmac_f64_e32 v[14:15], v[52:53], v[82:83]
	v_fmac_f64_e32 v[20:21], v[54:55], v[82:83]
	;; [unrolled: 1-line block ×4, first 2 shown]
	s_wait_loadcnt 0x7
	v_cvt_f64_f32_e32 v[52:53], v24
	v_cvt_f64_f32_e32 v[24:25], v25
	;; [unrolled: 1-line block ×4, first 2 shown]
	s_wait_loadcnt 0x6
	v_fmac_f64_e32 v[14:15], v[56:57], v[28:29]
	v_fmac_f64_e32 v[20:21], v[60:61], v[28:29]
	;; [unrolled: 1-line block ×4, first 2 shown]
	s_wait_loadcnt 0x4
	v_cvt_f64_f32_e32 v[28:29], v88
	v_cvt_f64_f32_e32 v[56:57], v89
	;; [unrolled: 1-line block ×4, first 2 shown]
	v_fmac_f64_e32 v[14:15], v[52:53], v[30:31]
	v_fmac_f64_e32 v[20:21], v[24:25], v[30:31]
	v_fmac_f64_e32 v[12:13], v[54:55], v[30:31]
	v_fmac_f64_e32 v[4:5], v[26:27], v[30:31]
	s_wait_loadcnt 0x3
	v_cvt_f64_f32_e32 v[24:25], v32
	v_cvt_f64_f32_e32 v[26:27], v33
	;; [unrolled: 1-line block ×4, first 2 shown]
	s_wait_loadcnt 0x2
	v_cvt_f64_f32_e32 v[34:35], v41
	v_fmac_f64_e32 v[14:15], v[28:29], v[36:37]
	v_fmac_f64_e32 v[20:21], v[56:57], v[36:37]
	;; [unrolled: 1-line block ×4, first 2 shown]
	v_cvt_f64_f32_e32 v[28:29], v40
	v_cvt_f64_f32_e32 v[36:37], v42
	;; [unrolled: 1-line block ×3, first 2 shown]
	v_fmac_f64_e32 v[14:15], v[24:25], v[38:39]
	v_fmac_f64_e32 v[20:21], v[26:27], v[38:39]
	;; [unrolled: 1-line block ×4, first 2 shown]
	s_wait_loadcnt 0x0
	v_cvt_f64_f32_e32 v[24:25], v44
	v_cvt_f64_f32_e32 v[26:27], v45
	;; [unrolled: 1-line block ×4, first 2 shown]
	v_fmac_f64_e32 v[14:15], v[28:29], v[48:49]
	v_fmac_f64_e32 v[20:21], v[34:35], v[48:49]
	;; [unrolled: 1-line block ×4, first 2 shown]
	s_delay_alu instid0(VALU_DEP_4) | instskip(NEXT) | instid1(VALU_DEP_4)
	v_fmac_f64_e32 v[14:15], v[24:25], v[50:51]
	v_fmac_f64_e32 v[20:21], v[26:27], v[50:51]
	s_delay_alu instid0(VALU_DEP_4) | instskip(NEXT) | instid1(VALU_DEP_4)
	v_fmac_f64_e32 v[12:13], v[30:31], v[50:51]
	v_fmac_f64_e32 v[4:5], v[32:33], v[50:51]
	s_and_not1_b32 exec_lo, exec_lo, s6
	s_cbranch_execnz .LBB157_33
; %bb.34:
	s_or_b32 exec_lo, exec_lo, s6
.LBB157_35:
	s_delay_alu instid0(SALU_CYCLE_1)
	s_or_b32 exec_lo, exec_lo, s2
.LBB157_36:
	s_delay_alu instid0(SALU_CYCLE_1)
	s_or_b32 exec_lo, exec_lo, s3
.LBB157_37:
	v_mbcnt_lo_u32_b32 v1, -1, 0
	s_delay_alu instid0(VALU_DEP_1) | instskip(NEXT) | instid1(VALU_DEP_1)
	v_xor_b32_e32 v6, 8, v1
	v_cmp_gt_i32_e32 vcc_lo, 32, v6
	v_cndmask_b32_e32 v6, v1, v6, vcc_lo
	s_delay_alu instid0(VALU_DEP_1)
	v_lshlrev_b32_e32 v11, 2, v6
	ds_bpermute_b32 v6, v11, v14
	ds_bpermute_b32 v7, v11, v15
	;; [unrolled: 1-line block ×4, first 2 shown]
	s_wait_dscnt 0x2
	v_add_f64_e32 v[6:7], v[14:15], v[6:7]
	s_wait_dscnt 0x0
	v_add_f64_e32 v[14:15], v[20:21], v[16:17]
	ds_bpermute_b32 v18, v11, v12
	ds_bpermute_b32 v19, v11, v13
	;; [unrolled: 1-line block ×4, first 2 shown]
	v_xor_b32_e32 v11, 4, v1
	s_delay_alu instid0(VALU_DEP_1) | instskip(SKIP_3) | instid1(VALU_DEP_2)
	v_cmp_gt_i32_e32 vcc_lo, 32, v11
	v_cndmask_b32_e32 v11, v1, v11, vcc_lo
	s_wait_dscnt 0x2
	v_add_f64_e32 v[12:13], v[12:13], v[18:19]
	v_lshlrev_b32_e32 v11, 2, v11
	s_wait_dscnt 0x0
	v_add_f64_e32 v[4:5], v[4:5], v[22:23]
	ds_bpermute_b32 v16, v11, v6
	ds_bpermute_b32 v17, v11, v7
	;; [unrolled: 1-line block ×4, first 2 shown]
	s_wait_dscnt 0x2
	v_add_f64_e32 v[6:7], v[6:7], v[16:17]
	s_wait_dscnt 0x0
	v_add_f64_e32 v[16:17], v[14:15], v[18:19]
	ds_bpermute_b32 v20, v11, v12
	ds_bpermute_b32 v21, v11, v13
	s_wait_dscnt 0x0
	v_add_f64_e32 v[18:19], v[12:13], v[20:21]
	ds_bpermute_b32 v22, v11, v4
	ds_bpermute_b32 v23, v11, v5
	s_wait_dscnt 0x0
	v_dual_add_f64 v[20:21], v[4:5], v[22:23] :: v_dual_bitop2_b32 v4, 2, v1 bitop3:0x14
	s_delay_alu instid0(VALU_DEP_1) | instskip(SKIP_1) | instid1(VALU_DEP_1)
	v_cmp_gt_i32_e32 vcc_lo, 32, v4
	v_cndmask_b32_e32 v4, v1, v4, vcc_lo
	v_lshlrev_b32_e32 v11, 2, v4
	ds_bpermute_b32 v4, v11, v6
	ds_bpermute_b32 v5, v11, v7
	;; [unrolled: 1-line block ×8, first 2 shown]
	v_xor_b32_e32 v11, 1, v1
	s_delay_alu instid0(VALU_DEP_1)
	v_cmp_gt_i32_e32 vcc_lo, 32, v11
	s_wait_dscnt 0x6
	v_dual_add_f64 v[14:15], v[6:7], v[4:5] :: v_dual_cndmask_b32 v1, v1, v11, vcc_lo
	s_wait_dscnt 0x4
	v_add_f64_e32 v[12:13], v[16:17], v[12:13]
	s_wait_dscnt 0x2
	v_add_f64_e32 v[4:5], v[18:19], v[22:23]
	v_cmp_eq_u32_e32 vcc_lo, 15, v0
	v_lshlrev_b32_e32 v1, 2, v1
	s_wait_dscnt 0x0
	v_add_f64_e32 v[6:7], v[20:21], v[24:25]
	ds_bpermute_b32 v22, v1, v14
	ds_bpermute_b32 v23, v1, v15
	;; [unrolled: 1-line block ×8, first 2 shown]
	s_and_b32 exec_lo, exec_lo, vcc_lo
	s_cbranch_execz .LBB157_10
; %bb.38:
	s_wait_dscnt 0x6
	v_add_f64_e32 v[0:1], v[14:15], v[22:23]
	s_wait_dscnt 0x4
	v_dual_add_f64 v[12:13], v[12:13], v[20:21] :: v_dual_lshlrev_b32 v10, 2, v10
	s_wait_dscnt 0x2
	v_add_f64_e32 v[14:15], v[4:5], v[18:19]
	s_wait_dscnt 0x0
	v_add_f64_e32 v[16:17], v[6:7], v[16:17]
	s_load_b64 s[0:1], s[0:1], 0x50
	s_mov_b32 s2, exec_lo
	s_delay_alu instid0(VALU_DEP_4) | instskip(NEXT) | instid1(VALU_DEP_4)
	v_mul_f64_e32 v[4:5], v[2:3], v[0:1]
	v_mul_f64_e32 v[6:7], v[2:3], v[12:13]
	s_delay_alu instid0(VALU_DEP_4) | instskip(NEXT) | instid1(VALU_DEP_4)
	v_mul_f64_e32 v[0:1], v[2:3], v[14:15]
	v_mul_f64_e32 v[2:3], v[2:3], v[16:17]
	v_cmpx_eq_f64_e32 0, v[8:9]
	s_xor_b32 s2, exec_lo, s2
	s_cbranch_execz .LBB157_40
; %bb.39:
	v_ashrrev_i32_e32 v11, 31, v10
	s_wait_kmcnt 0x0
	s_delay_alu instid0(VALU_DEP_1)
	v_lshl_add_u64 v[8:9], v[10:11], 3, s[0:1]
                                        ; implicit-def: $vgpr10
	s_clause 0x1
	global_store_b128 v[8:9], v[4:7], off
	global_store_b128 v[8:9], v[0:3], off offset:16
                                        ; implicit-def: $vgpr8_vgpr9
                                        ; implicit-def: $vgpr4_vgpr5
                                        ; implicit-def: $vgpr0_vgpr1
.LBB157_40:
	s_wait_xcnt 0x0
	s_and_not1_saveexec_b32 s2, s2
	s_cbranch_execz .LBB157_10
; %bb.41:
	v_ashrrev_i32_e32 v11, 31, v10
	s_wait_kmcnt 0x0
	s_delay_alu instid0(VALU_DEP_1)
	v_lshl_add_u64 v[18:19], v[10:11], 3, s[0:1]
	s_clause 0x1
	global_load_b128 v[10:13], v[18:19], off
	global_load_b128 v[14:17], v[18:19], off offset:16
	s_wait_loadcnt 0x1
	v_fmac_f64_e32 v[4:5], v[8:9], v[10:11]
	v_fmac_f64_e32 v[6:7], v[8:9], v[12:13]
	s_wait_loadcnt 0x0
	v_fmac_f64_e32 v[0:1], v[8:9], v[14:15]
	v_fmac_f64_e32 v[2:3], v[8:9], v[16:17]
	s_clause 0x1
	global_store_b128 v[18:19], v[4:7], off
	global_store_b128 v[18:19], v[0:3], off offset:16
	s_sendmsg sendmsg(MSG_DEALLOC_VGPRS)
	s_endpgm
	.section	.rodata,"a",@progbits
	.p2align	6, 0x0
	.amdhsa_kernel _ZN9rocsparseL18bsrxmvn_4x4_kernelILj128ELj16EdlifddEEvT3_20rocsparse_direction_NS_24const_host_device_scalarIT1_EES1_PKS1_PKT2_SA_S7_PKT4_PKT5_S5_PT6_21rocsparse_index_base_b
		.amdhsa_group_segment_fixed_size 0
		.amdhsa_private_segment_fixed_size 0
		.amdhsa_kernarg_size 96
		.amdhsa_user_sgpr_count 2
		.amdhsa_user_sgpr_dispatch_ptr 0
		.amdhsa_user_sgpr_queue_ptr 0
		.amdhsa_user_sgpr_kernarg_segment_ptr 1
		.amdhsa_user_sgpr_dispatch_id 0
		.amdhsa_user_sgpr_kernarg_preload_length 0
		.amdhsa_user_sgpr_kernarg_preload_offset 0
		.amdhsa_user_sgpr_private_segment_size 0
		.amdhsa_wavefront_size32 1
		.amdhsa_uses_dynamic_stack 0
		.amdhsa_enable_private_segment 0
		.amdhsa_system_sgpr_workgroup_id_x 1
		.amdhsa_system_sgpr_workgroup_id_y 0
		.amdhsa_system_sgpr_workgroup_id_z 0
		.amdhsa_system_sgpr_workgroup_info 0
		.amdhsa_system_vgpr_workitem_id 0
		.amdhsa_next_free_vgpr 120
		.amdhsa_next_free_sgpr 14
		.amdhsa_named_barrier_count 0
		.amdhsa_reserve_vcc 1
		.amdhsa_float_round_mode_32 0
		.amdhsa_float_round_mode_16_64 0
		.amdhsa_float_denorm_mode_32 3
		.amdhsa_float_denorm_mode_16_64 3
		.amdhsa_fp16_overflow 0
		.amdhsa_memory_ordered 1
		.amdhsa_forward_progress 1
		.amdhsa_inst_pref_size 37
		.amdhsa_round_robin_scheduling 0
		.amdhsa_exception_fp_ieee_invalid_op 0
		.amdhsa_exception_fp_denorm_src 0
		.amdhsa_exception_fp_ieee_div_zero 0
		.amdhsa_exception_fp_ieee_overflow 0
		.amdhsa_exception_fp_ieee_underflow 0
		.amdhsa_exception_fp_ieee_inexact 0
		.amdhsa_exception_int_div_zero 0
	.end_amdhsa_kernel
	.section	.text._ZN9rocsparseL18bsrxmvn_4x4_kernelILj128ELj16EdlifddEEvT3_20rocsparse_direction_NS_24const_host_device_scalarIT1_EES1_PKS1_PKT2_SA_S7_PKT4_PKT5_S5_PT6_21rocsparse_index_base_b,"axG",@progbits,_ZN9rocsparseL18bsrxmvn_4x4_kernelILj128ELj16EdlifddEEvT3_20rocsparse_direction_NS_24const_host_device_scalarIT1_EES1_PKS1_PKT2_SA_S7_PKT4_PKT5_S5_PT6_21rocsparse_index_base_b,comdat
.Lfunc_end157:
	.size	_ZN9rocsparseL18bsrxmvn_4x4_kernelILj128ELj16EdlifddEEvT3_20rocsparse_direction_NS_24const_host_device_scalarIT1_EES1_PKS1_PKT2_SA_S7_PKT4_PKT5_S5_PT6_21rocsparse_index_base_b, .Lfunc_end157-_ZN9rocsparseL18bsrxmvn_4x4_kernelILj128ELj16EdlifddEEvT3_20rocsparse_direction_NS_24const_host_device_scalarIT1_EES1_PKS1_PKT2_SA_S7_PKT4_PKT5_S5_PT6_21rocsparse_index_base_b
                                        ; -- End function
	.set _ZN9rocsparseL18bsrxmvn_4x4_kernelILj128ELj16EdlifddEEvT3_20rocsparse_direction_NS_24const_host_device_scalarIT1_EES1_PKS1_PKT2_SA_S7_PKT4_PKT5_S5_PT6_21rocsparse_index_base_b.num_vgpr, 120
	.set _ZN9rocsparseL18bsrxmvn_4x4_kernelILj128ELj16EdlifddEEvT3_20rocsparse_direction_NS_24const_host_device_scalarIT1_EES1_PKS1_PKT2_SA_S7_PKT4_PKT5_S5_PT6_21rocsparse_index_base_b.num_agpr, 0
	.set _ZN9rocsparseL18bsrxmvn_4x4_kernelILj128ELj16EdlifddEEvT3_20rocsparse_direction_NS_24const_host_device_scalarIT1_EES1_PKS1_PKT2_SA_S7_PKT4_PKT5_S5_PT6_21rocsparse_index_base_b.numbered_sgpr, 14
	.set _ZN9rocsparseL18bsrxmvn_4x4_kernelILj128ELj16EdlifddEEvT3_20rocsparse_direction_NS_24const_host_device_scalarIT1_EES1_PKS1_PKT2_SA_S7_PKT4_PKT5_S5_PT6_21rocsparse_index_base_b.num_named_barrier, 0
	.set _ZN9rocsparseL18bsrxmvn_4x4_kernelILj128ELj16EdlifddEEvT3_20rocsparse_direction_NS_24const_host_device_scalarIT1_EES1_PKS1_PKT2_SA_S7_PKT4_PKT5_S5_PT6_21rocsparse_index_base_b.private_seg_size, 0
	.set _ZN9rocsparseL18bsrxmvn_4x4_kernelILj128ELj16EdlifddEEvT3_20rocsparse_direction_NS_24const_host_device_scalarIT1_EES1_PKS1_PKT2_SA_S7_PKT4_PKT5_S5_PT6_21rocsparse_index_base_b.uses_vcc, 1
	.set _ZN9rocsparseL18bsrxmvn_4x4_kernelILj128ELj16EdlifddEEvT3_20rocsparse_direction_NS_24const_host_device_scalarIT1_EES1_PKS1_PKT2_SA_S7_PKT4_PKT5_S5_PT6_21rocsparse_index_base_b.uses_flat_scratch, 0
	.set _ZN9rocsparseL18bsrxmvn_4x4_kernelILj128ELj16EdlifddEEvT3_20rocsparse_direction_NS_24const_host_device_scalarIT1_EES1_PKS1_PKT2_SA_S7_PKT4_PKT5_S5_PT6_21rocsparse_index_base_b.has_dyn_sized_stack, 0
	.set _ZN9rocsparseL18bsrxmvn_4x4_kernelILj128ELj16EdlifddEEvT3_20rocsparse_direction_NS_24const_host_device_scalarIT1_EES1_PKS1_PKT2_SA_S7_PKT4_PKT5_S5_PT6_21rocsparse_index_base_b.has_recursion, 0
	.set _ZN9rocsparseL18bsrxmvn_4x4_kernelILj128ELj16EdlifddEEvT3_20rocsparse_direction_NS_24const_host_device_scalarIT1_EES1_PKS1_PKT2_SA_S7_PKT4_PKT5_S5_PT6_21rocsparse_index_base_b.has_indirect_call, 0
	.section	.AMDGPU.csdata,"",@progbits
; Kernel info:
; codeLenInByte = 4680
; TotalNumSgprs: 16
; NumVgprs: 120
; ScratchSize: 0
; MemoryBound: 0
; FloatMode: 240
; IeeeMode: 1
; LDSByteSize: 0 bytes/workgroup (compile time only)
; SGPRBlocks: 0
; VGPRBlocks: 7
; NumSGPRsForWavesPerEU: 16
; NumVGPRsForWavesPerEU: 120
; NamedBarCnt: 0
; Occupancy: 8
; WaveLimiterHint : 1
; COMPUTE_PGM_RSRC2:SCRATCH_EN: 0
; COMPUTE_PGM_RSRC2:USER_SGPR: 2
; COMPUTE_PGM_RSRC2:TRAP_HANDLER: 0
; COMPUTE_PGM_RSRC2:TGID_X_EN: 1
; COMPUTE_PGM_RSRC2:TGID_Y_EN: 0
; COMPUTE_PGM_RSRC2:TGID_Z_EN: 0
; COMPUTE_PGM_RSRC2:TIDIG_COMP_CNT: 0
	.section	.text._ZN9rocsparseL18bsrxmvn_4x4_kernelILj128ELj32EdlifddEEvT3_20rocsparse_direction_NS_24const_host_device_scalarIT1_EES1_PKS1_PKT2_SA_S7_PKT4_PKT5_S5_PT6_21rocsparse_index_base_b,"axG",@progbits,_ZN9rocsparseL18bsrxmvn_4x4_kernelILj128ELj32EdlifddEEvT3_20rocsparse_direction_NS_24const_host_device_scalarIT1_EES1_PKS1_PKT2_SA_S7_PKT4_PKT5_S5_PT6_21rocsparse_index_base_b,comdat
	.globl	_ZN9rocsparseL18bsrxmvn_4x4_kernelILj128ELj32EdlifddEEvT3_20rocsparse_direction_NS_24const_host_device_scalarIT1_EES1_PKS1_PKT2_SA_S7_PKT4_PKT5_S5_PT6_21rocsparse_index_base_b ; -- Begin function _ZN9rocsparseL18bsrxmvn_4x4_kernelILj128ELj32EdlifddEEvT3_20rocsparse_direction_NS_24const_host_device_scalarIT1_EES1_PKS1_PKT2_SA_S7_PKT4_PKT5_S5_PT6_21rocsparse_index_base_b
	.p2align	8
	.type	_ZN9rocsparseL18bsrxmvn_4x4_kernelILj128ELj32EdlifddEEvT3_20rocsparse_direction_NS_24const_host_device_scalarIT1_EES1_PKS1_PKT2_SA_S7_PKT4_PKT5_S5_PT6_21rocsparse_index_base_b,@function
_ZN9rocsparseL18bsrxmvn_4x4_kernelILj128ELj32EdlifddEEvT3_20rocsparse_direction_NS_24const_host_device_scalarIT1_EES1_PKS1_PKT2_SA_S7_PKT4_PKT5_S5_PT6_21rocsparse_index_base_b: ; @_ZN9rocsparseL18bsrxmvn_4x4_kernelILj128ELj32EdlifddEEvT3_20rocsparse_direction_NS_24const_host_device_scalarIT1_EES1_PKS1_PKT2_SA_S7_PKT4_PKT5_S5_PT6_21rocsparse_index_base_b
; %bb.0:
	s_clause 0x2
	s_load_b64 s[12:13], s[0:1], 0x58
	s_load_b64 s[4:5], s[0:1], 0x8
	s_load_b64 s[2:3], s[0:1], 0x48
	s_wait_kmcnt 0x0
	s_bitcmp1_b32 s13, 0
	v_mov_b64_e32 v[2:3], s[4:5]
	s_cselect_b32 s6, -1, 0
	s_delay_alu instid0(SALU_CYCLE_1)
	s_and_b32 vcc_lo, exec_lo, s6
	s_xor_b32 s6, s6, -1
	s_cbranch_vccnz .LBB158_2
; %bb.1:
	v_mov_b32_e32 v1, 0
	flat_load_b64 v[2:3], v1, s[4:5]
.LBB158_2:
	v_mov_b64_e32 v[8:9], s[2:3]
	s_and_not1_b32 vcc_lo, exec_lo, s6
	s_cbranch_vccnz .LBB158_4
; %bb.3:
	s_wait_xcnt 0x0
	v_mov_b32_e32 v1, 0
	flat_load_b64 v[8:9], v1, s[2:3]
.LBB158_4:
	s_wait_loadcnt_dscnt 0x0
	v_cmp_neq_f64_e32 vcc_lo, 0, v[2:3]
	s_delay_alu instid0(VALU_DEP_2) | instskip(SKIP_1) | instid1(SALU_CYCLE_1)
	v_cmp_neq_f64_e64 s2, 1.0, v[8:9]
	s_or_b32 s2, vcc_lo, s2
	s_and_saveexec_b32 s3, s2
	s_cbranch_execz .LBB158_10
; %bb.5:
	s_clause 0x1
	s_load_b64 s[4:5], s[0:1], 0x18
	s_load_b64 s[2:3], s[0:1], 0x0
	s_bfe_u32 s6, ttmp6, 0x4000c
	s_and_b32 s7, ttmp6, 15
	s_add_co_i32 s6, s6, 1
	s_getreg_b32 s8, hwreg(HW_REG_IB_STS2, 6, 4)
	s_mul_i32 s6, ttmp9, s6
	v_lshrrev_b32_e32 v1, 5, v0
	s_add_co_i32 s7, s7, s6
	s_cmp_eq_u32 s8, 0
	s_cselect_b32 s6, ttmp9, s7
	s_delay_alu instid0(VALU_DEP_1) | instid1(SALU_CYCLE_1)
	v_lshl_or_b32 v10, s6, 2, v1
	s_mov_b32 s6, 0
	s_wait_kmcnt 0x0
	s_cmp_lg_u64 s[4:5], 0
	s_cbranch_scc0 .LBB158_11
; %bb.6:
	s_load_b32 s6, s[0:1], 0x10
	s_mov_b32 s7, 0
                                        ; implicit-def: $vgpr1
	s_wait_kmcnt 0x0
	v_cmp_gt_i32_e32 vcc_lo, s6, v10
	s_mov_b32 s6, 0
	s_and_saveexec_b32 s8, vcc_lo
	s_delay_alu instid0(SALU_CYCLE_1)
	s_xor_b32 s8, exec_lo, s8
	s_cbranch_execz .LBB158_8
; %bb.7:
	global_load_b32 v1, v10, s[4:5] scale_offset
	s_mov_b32 s6, exec_lo
	s_wait_loadcnt 0x0
	v_subrev_nc_u32_e32 v1, s12, v1
.LBB158_8:
	s_or_b32 exec_lo, exec_lo, s8
	s_delay_alu instid0(SALU_CYCLE_1)
	s_and_b32 vcc_lo, exec_lo, s7
	s_cbranch_vccz .LBB158_12
.LBB158_9:
	v_cmp_gt_i32_e32 vcc_lo, s2, v10
	s_and_not1_b32 s2, s6, exec_lo
	s_and_b32 s4, vcc_lo, exec_lo
	s_delay_alu instid0(SALU_CYCLE_1) | instskip(NEXT) | instid1(SALU_CYCLE_1)
	s_or_b32 s6, s2, s4
	s_and_b32 exec_lo, exec_lo, s6
	s_cbranch_execnz .LBB158_13
.LBB158_10:
	s_sendmsg sendmsg(MSG_DEALLOC_VGPRS)
	s_endpgm
.LBB158_11:
                                        ; implicit-def: $vgpr1
	s_cbranch_execnz .LBB158_9
.LBB158_12:
	s_delay_alu instid0(VALU_DEP_1)
	v_mov_b32_e32 v10, v1
	s_and_b32 exec_lo, exec_lo, s6
	s_cbranch_execz .LBB158_10
.LBB158_13:
	s_load_b256 s[4:11], s[0:1], 0x20
	s_mov_b32 s13, 0
	v_dual_mov_b32 v1, 0 :: v_dual_bitop2_b32 v0, 31, v0 bitop3:0x40
	s_wait_kmcnt 0x0
	s_cmp_eq_u64 s[6:7], 0
	global_load_b64 v[22:23], v10, s[4:5] scale_offset
	s_cselect_b32 vcc_lo, -1, 0
	v_ashrrev_i32_e32 v11, 31, v10
	s_cmp_eq_u32 s3, 1
	s_delay_alu instid0(VALU_DEP_1) | instskip(NEXT) | instid1(VALU_DEP_1)
	v_lshlrev_b64_e32 v[4:5], 3, v[10:11]
	v_add_nc_u64_e32 v[6:7], s[4:5], v[4:5]
	v_add_nc_u64_e32 v[4:5], s[6:7], v[4:5]
	s_wait_xcnt 0x0
	s_load_b64 s[4:5], s[0:1], 0x40
	s_delay_alu instid0(VALU_DEP_2) | instskip(NEXT) | instid1(VALU_DEP_1)
	v_add_nc_u64_e32 v[6:7], 8, v[6:7]
	v_dual_cndmask_b32 v5, v5, v7 :: v_dual_cndmask_b32 v4, v4, v6
	global_load_b64 v[4:5], v[4:5], off
	s_wait_loadcnt 0x1
	v_sub_nc_u64_e64 v[6:7], v[22:23], s[12:13]
	s_delay_alu instid0(VALU_DEP_1) | instskip(NEXT) | instid1(VALU_DEP_1)
	v_add_nc_u64_e32 v[16:17], v[6:7], v[0:1]
	v_lshlrev_b64_e32 v[6:7], 6, v[16:17]
	s_delay_alu instid0(VALU_DEP_1) | instskip(SKIP_2) | instid1(VALU_DEP_1)
	v_add_nc_u64_e32 v[20:21], s[10:11], v[6:7]
	s_wait_loadcnt 0x0
	v_sub_nc_u64_e64 v[18:19], v[4:5], s[12:13]
	v_cmp_lt_i64_e64 s2, v[16:17], v[18:19]
	s_cbranch_scc1 .LBB158_25
; %bb.14:
	v_mov_b64_e32 v[4:5], 0
	v_mov_b64_e32 v[6:7], 0
	;; [unrolled: 1-line block ×4, first 2 shown]
	s_and_saveexec_b32 s3, s2
	s_cbranch_execz .LBB158_24
; %bb.15:
	v_dual_mov_b32 v5, v1 :: v_dual_bitop2_b32 v4, 32, v0 bitop3:0x54
	v_sub_nc_u64_e32 v[6:7], s[12:13], v[0:1]
	v_not_b32_e32 v13, v23
	v_not_b32_e32 v12, v22
	v_mov_b64_e32 v[14:15], 0
	v_sub_nc_u64_e64 v[4:5], v[4:5], s[12:13]
	v_mov_b64_e32 v[24:25], v[16:17]
	v_mov_b64_e32 v[26:27], v[20:21]
	v_add_nc_u64_e32 v[6:7], v[6:7], v[12:13]
	v_mov_b64_e32 v[12:13], 0
	v_mov_b32_e32 v33, 0
	s_mov_b32 s6, exec_lo
	v_add_nc_u64_e32 v[4:5], v[4:5], v[22:23]
	s_delay_alu instid0(VALU_DEP_1) | instskip(NEXT) | instid1(VALU_DEP_1)
	v_max_i64 v[4:5], v[4:5], v[18:19]
	v_add_nc_u64_e32 v[28:29], v[6:7], v[4:5]
	v_mov_b64_e32 v[6:7], 0
	v_mov_b64_e32 v[4:5], 0
	s_delay_alu instid0(VALU_DEP_3) | instskip(NEXT) | instid1(VALU_DEP_1)
	v_and_b32_e32 v32, 0x60, v28
	v_cmpx_ne_u64_e32 0x60, v[32:33]
	s_cbranch_execz .LBB158_19
; %bb.16:
	v_lshrrev_b32_e32 v4, 5, v28
	v_mov_b64_e32 v[6:7], 0
	v_mov_b64_e32 v[14:15], 0
	;; [unrolled: 1-line block ×4, first 2 shown]
	v_add_nc_u32_e32 v4, 1, v4
	v_mov_b64_e32 v[24:25], v[16:17]
	v_lshl_add_u64 v[30:31], v[16:17], 2, s[8:9]
	s_mov_b32 s7, 0
	s_delay_alu instid0(VALU_DEP_3) | instskip(SKIP_1) | instid1(VALU_DEP_2)
	v_and_b32_e32 v32, 3, v4
	v_mov_b64_e32 v[4:5], 0
	v_sub_nc_u64_e32 v[32:33], 0, v[32:33]
.LBB158_17:                             ; =>This Inner Loop Header: Depth=1
	global_load_b32 v11, v[30:31], off
	s_clause 0x3
	global_load_b128 v[34:37], v[26:27], off
	global_load_b128 v[38:41], v[26:27], off offset:16
	global_load_b128 v[42:45], v[26:27], off offset:32
	;; [unrolled: 1-line block ×3, first 2 shown]
	v_add_nc_u64_e32 v[32:33], 1, v[32:33]
	s_wait_xcnt 0x0
	v_add_nc_u64_e32 v[26:27], 0x800, v[26:27]
	v_add_nc_u64_e32 v[24:25], 32, v[24:25]
	;; [unrolled: 1-line block ×3, first 2 shown]
	s_delay_alu instid0(VALU_DEP_4)
	v_cmp_eq_u64_e32 vcc_lo, 0, v[32:33]
	s_or_b32 s7, vcc_lo, s7
	s_wait_loadcnt 0x4
	v_subrev_nc_u32_e32 v11, s12, v11
	s_wait_loadcnt 0x2
	v_cvt_f64_f32_e32 v[60:61], v38
	s_wait_loadcnt 0x1
	v_cvt_f64_f32_e32 v[62:63], v42
	;; [unrolled: 2-line block ×3, first 2 shown]
	v_lshlrev_b32_e32 v50, 2, v11
	v_cvt_f64_f32_e32 v[38:39], v39
	v_cvt_f64_f32_e32 v[42:43], v43
	;; [unrolled: 1-line block ×3, first 2 shown]
	s_delay_alu instid0(VALU_DEP_4) | instskip(SKIP_1) | instid1(VALU_DEP_1)
	v_ashrrev_i32_e32 v51, 31, v50
	s_wait_kmcnt 0x0
	v_lshl_add_u64 v[58:59], v[50:51], 3, s[4:5]
	s_clause 0x1
	global_load_b128 v[50:53], v[58:59], off
	global_load_b128 v[54:57], v[58:59], off offset:16
	s_wait_xcnt 0x0
	v_cvt_f64_f32_e32 v[58:59], v34
	v_cvt_f64_f32_e32 v[34:35], v35
	s_wait_loadcnt 0x1
	s_delay_alu instid0(VALU_DEP_2)
	v_fmac_f64_e32 v[12:13], v[58:59], v[50:51]
	v_fmac_f64_e32 v[14:15], v[60:61], v[50:51]
	;; [unrolled: 1-line block ×4, first 2 shown]
	v_cvt_f64_f32_e32 v[50:51], v36
	v_cvt_f64_f32_e32 v[58:59], v40
	v_cvt_f64_f32_e32 v[60:61], v44
	v_cvt_f64_f32_e32 v[62:63], v48
	v_fmac_f64_e32 v[12:13], v[34:35], v[52:53]
	v_fmac_f64_e32 v[14:15], v[38:39], v[52:53]
	v_fmac_f64_e32 v[6:7], v[42:43], v[52:53]
	v_fmac_f64_e32 v[4:5], v[46:47], v[52:53]
	v_cvt_f64_f32_e32 v[34:35], v37
	v_cvt_f64_f32_e32 v[36:37], v41
	;; [unrolled: 1-line block ×4, first 2 shown]
	s_wait_loadcnt 0x0
	v_fmac_f64_e32 v[12:13], v[50:51], v[54:55]
	v_fmac_f64_e32 v[14:15], v[58:59], v[54:55]
	;; [unrolled: 1-line block ×4, first 2 shown]
	s_delay_alu instid0(VALU_DEP_4) | instskip(NEXT) | instid1(VALU_DEP_4)
	v_fmac_f64_e32 v[12:13], v[34:35], v[56:57]
	v_fmac_f64_e32 v[14:15], v[36:37], v[56:57]
	s_delay_alu instid0(VALU_DEP_4) | instskip(NEXT) | instid1(VALU_DEP_4)
	v_fmac_f64_e32 v[6:7], v[38:39], v[56:57]
	v_fmac_f64_e32 v[4:5], v[40:41], v[56:57]
	s_and_not1_b32 exec_lo, exec_lo, s7
	s_cbranch_execnz .LBB158_17
; %bb.18:
	s_or_b32 exec_lo, exec_lo, s7
.LBB158_19:
	s_delay_alu instid0(SALU_CYCLE_1) | instskip(NEXT) | instid1(SALU_CYCLE_1)
	s_or_b32 exec_lo, exec_lo, s6
	s_mov_b32 s6, exec_lo
	v_cmpx_lt_u64_e32 0x5f, v[28:29]
	s_cbranch_execz .LBB158_23
; %bb.20:
	v_lshl_add_u64 v[28:29], v[24:25], 2, s[8:9]
	s_mov_b32 s7, 0
	s_delay_alu instid0(VALU_DEP_1)
	v_add_nc_u64_e32 v[28:29], 0x100, v[28:29]
.LBB158_21:                             ; =>This Inner Loop Header: Depth=1
	s_clause 0x2
	global_load_b32 v11, v[28:29], off offset:-256
	global_load_b32 v72, v[28:29], off offset:-128
	global_load_b32 v96, v[28:29], off
	s_clause 0x3
	global_load_b128 v[30:33], v[26:27], off
	global_load_b128 v[34:37], v[26:27], off offset:16
	global_load_b128 v[38:41], v[26:27], off offset:32
	;; [unrolled: 1-line block ×3, first 2 shown]
	global_load_b32 v118, v[28:29], off offset:128
	v_add_nc_u64_e32 v[24:25], 0x80, v[24:25]
	s_wait_xcnt 0x0
	v_add_nc_u64_e32 v[28:29], 0x200, v[28:29]
	s_delay_alu instid0(VALU_DEP_2)
	v_cmp_ge_i64_e32 vcc_lo, v[24:25], v[18:19]
	s_or_b32 s7, vcc_lo, s7
	s_wait_loadcnt 0x7
	v_subrev_nc_u32_e32 v11, s12, v11
	s_wait_loadcnt 0x4
	v_cvt_f64_f32_e32 v[102:103], v30
	s_wait_loadcnt 0x3
	v_cvt_f64_f32_e32 v[104:105], v34
	v_lshlrev_b32_e32 v46, 2, v11
	v_subrev_nc_u32_e32 v11, s12, v72
	s_wait_loadcnt 0x2
	v_cvt_f64_f32_e32 v[106:107], v38
	s_wait_loadcnt 0x1
	v_cvt_f64_f32_e32 v[108:109], v42
	v_cvt_f64_f32_e32 v[30:31], v31
	v_ashrrev_i32_e32 v47, 31, v46
	v_cvt_f64_f32_e32 v[34:35], v35
	v_cvt_f64_f32_e32 v[38:39], v39
	;; [unrolled: 1-line block ×3, first 2 shown]
	s_wait_kmcnt 0x0
	v_lshl_add_u64 v[70:71], v[46:47], 3, s[4:5]
	s_clause 0x1
	global_load_b128 v[46:49], v[70:71], off
	global_load_b128 v[50:53], v[70:71], off offset:16
	s_clause 0x3
	global_load_b128 v[54:57], v[26:27], off offset:2048
	global_load_b128 v[58:61], v[26:27], off offset:2064
	;; [unrolled: 1-line block ×4, first 2 shown]
	s_wait_xcnt 0x4
	v_lshlrev_b32_e32 v70, 2, v11
	v_subrev_nc_u32_e32 v11, s12, v96
	s_delay_alu instid0(VALU_DEP_2) | instskip(NEXT) | instid1(VALU_DEP_1)
	v_ashrrev_i32_e32 v71, 31, v70
	v_lshl_add_u64 v[94:95], v[70:71], 3, s[4:5]
	s_clause 0x1
	global_load_b128 v[70:73], v[94:95], off
	global_load_b128 v[74:77], v[94:95], off offset:16
	s_clause 0x3
	global_load_b128 v[78:81], v[26:27], off offset:4096
	global_load_b128 v[82:85], v[26:27], off offset:4112
	;; [unrolled: 1-line block ×4, first 2 shown]
	s_wait_xcnt 0x4
	v_lshlrev_b32_e32 v94, 2, v11
	s_wait_loadcnt 0xc
	v_subrev_nc_u32_e32 v11, s12, v118
	s_delay_alu instid0(VALU_DEP_2) | instskip(NEXT) | instid1(VALU_DEP_1)
	v_ashrrev_i32_e32 v95, 31, v94
	v_lshl_add_u64 v[98:99], v[94:95], 3, s[4:5]
	s_clause 0x1
	global_load_b128 v[94:97], v[98:99], off
	global_load_b128 v[98:101], v[98:99], off offset:16
	s_wait_loadcnt 0xd
	v_fmac_f64_e32 v[12:13], v[102:103], v[46:47]
	v_fmac_f64_e32 v[14:15], v[104:105], v[46:47]
	;; [unrolled: 1-line block ×4, first 2 shown]
	s_clause 0x3
	global_load_b128 v[102:105], v[26:27], off offset:6192
	global_load_b128 v[106:109], v[26:27], off offset:6160
	;; [unrolled: 1-line block ×4, first 2 shown]
	v_cvt_f64_f32_e32 v[46:47], v40
	v_cvt_f64_f32_e32 v[40:41], v41
	s_wait_xcnt 0x0
	v_add_nc_u64_e32 v[26:27], 0x2000, v[26:27]
	v_fmac_f64_e32 v[12:13], v[30:31], v[48:49]
	v_fmac_f64_e32 v[14:15], v[34:35], v[48:49]
	;; [unrolled: 1-line block ×4, first 2 shown]
	v_cvt_f64_f32_e32 v[34:35], v32
	v_cvt_f64_f32_e32 v[38:39], v36
	;; [unrolled: 1-line block ×3, first 2 shown]
	v_lshlrev_b32_e32 v30, 2, v11
	v_cvt_f64_f32_e32 v[42:43], v33
	v_cvt_f64_f32_e32 v[36:37], v37
	;; [unrolled: 1-line block ×3, first 2 shown]
	s_delay_alu instid0(VALU_DEP_4) | instskip(NEXT) | instid1(VALU_DEP_1)
	v_ashrrev_i32_e32 v31, 31, v30
	v_lshl_add_u64 v[118:119], v[30:31], 3, s[4:5]
	global_load_b128 v[30:33], v[118:119], off
	s_wait_loadcnt 0x11
	v_fmac_f64_e32 v[6:7], v[46:47], v[50:51]
	s_wait_loadcnt 0xf
	v_cvt_f64_f32_e32 v[46:47], v58
	v_fmac_f64_e32 v[12:13], v[34:35], v[50:51]
	v_fmac_f64_e32 v[14:15], v[38:39], v[50:51]
	v_fmac_f64_e32 v[4:5], v[48:49], v[50:51]
	v_cvt_f64_f32_e32 v[38:39], v54
	s_wait_loadcnt 0xe
	v_cvt_f64_f32_e32 v[48:49], v62
	s_wait_loadcnt 0xd
	v_cvt_f64_f32_e32 v[50:51], v66
	v_fmac_f64_e32 v[6:7], v[40:41], v[52:53]
	v_cvt_f64_f32_e32 v[40:41], v55
	v_fmac_f64_e32 v[12:13], v[42:43], v[52:53]
	v_fmac_f64_e32 v[14:15], v[36:37], v[52:53]
	;; [unrolled: 1-line block ×3, first 2 shown]
	v_cvt_f64_f32_e32 v[42:43], v59
	v_cvt_f64_f32_e32 v[44:45], v63
	;; [unrolled: 1-line block ×3, first 2 shown]
	global_load_b128 v[34:37], v[118:119], off offset:16
	s_wait_loadcnt 0xd
	v_fmac_f64_e32 v[6:7], v[48:49], v[70:71]
	v_cvt_f64_f32_e32 v[48:49], v64
	v_fmac_f64_e32 v[12:13], v[38:39], v[70:71]
	v_fmac_f64_e32 v[14:15], v[46:47], v[70:71]
	v_fmac_f64_e32 v[4:5], v[50:51], v[70:71]
	v_cvt_f64_f32_e32 v[38:39], v56
	v_cvt_f64_f32_e32 v[46:47], v60
	;; [unrolled: 1-line block ×3, first 2 shown]
	v_fmac_f64_e32 v[6:7], v[44:45], v[72:73]
	v_cvt_f64_f32_e32 v[44:45], v65
	v_fmac_f64_e32 v[12:13], v[40:41], v[72:73]
	v_fmac_f64_e32 v[14:15], v[42:43], v[72:73]
	;; [unrolled: 1-line block ×3, first 2 shown]
	v_cvt_f64_f32_e32 v[40:41], v57
	v_cvt_f64_f32_e32 v[42:43], v61
	;; [unrolled: 1-line block ×3, first 2 shown]
	s_wait_loadcnt 0xc
	v_fmac_f64_e32 v[6:7], v[48:49], v[74:75]
	s_wait_loadcnt 0x9
	v_cvt_f64_f32_e32 v[48:49], v86
	v_fmac_f64_e32 v[12:13], v[38:39], v[74:75]
	v_fmac_f64_e32 v[14:15], v[46:47], v[74:75]
	;; [unrolled: 1-line block ×3, first 2 shown]
	v_cvt_f64_f32_e32 v[38:39], v78
	v_cvt_f64_f32_e32 v[46:47], v82
	s_wait_loadcnt 0x8
	v_cvt_f64_f32_e32 v[50:51], v90
	v_fmac_f64_e32 v[6:7], v[44:45], v[76:77]
	v_cvt_f64_f32_e32 v[44:45], v87
	v_fmac_f64_e32 v[12:13], v[40:41], v[76:77]
	v_fmac_f64_e32 v[14:15], v[42:43], v[76:77]
	;; [unrolled: 1-line block ×3, first 2 shown]
	v_cvt_f64_f32_e32 v[40:41], v79
	v_cvt_f64_f32_e32 v[42:43], v83
	;; [unrolled: 1-line block ×3, first 2 shown]
	s_wait_loadcnt 0x7
	v_fmac_f64_e32 v[6:7], v[48:49], v[94:95]
	v_cvt_f64_f32_e32 v[48:49], v88
	v_fmac_f64_e32 v[12:13], v[38:39], v[94:95]
	v_fmac_f64_e32 v[14:15], v[46:47], v[94:95]
	;; [unrolled: 1-line block ×3, first 2 shown]
	v_cvt_f64_f32_e32 v[38:39], v80
	v_cvt_f64_f32_e32 v[46:47], v84
	v_cvt_f64_f32_e32 v[50:51], v92
	v_fmac_f64_e32 v[6:7], v[44:45], v[96:97]
	v_cvt_f64_f32_e32 v[44:45], v89
	v_fmac_f64_e32 v[12:13], v[40:41], v[96:97]
	v_fmac_f64_e32 v[14:15], v[42:43], v[96:97]
	;; [unrolled: 1-line block ×3, first 2 shown]
	v_cvt_f64_f32_e32 v[40:41], v81
	v_cvt_f64_f32_e32 v[42:43], v85
	;; [unrolled: 1-line block ×3, first 2 shown]
	s_wait_loadcnt 0x6
	v_fmac_f64_e32 v[6:7], v[48:49], v[98:99]
	v_fmac_f64_e32 v[12:13], v[38:39], v[98:99]
	;; [unrolled: 1-line block ×4, first 2 shown]
	s_wait_loadcnt 0x3
	v_cvt_f64_f32_e32 v[38:39], v110
	v_cvt_f64_f32_e32 v[46:47], v106
	s_wait_loadcnt 0x2
	v_cvt_f64_f32_e32 v[48:49], v114
	v_cvt_f64_f32_e32 v[50:51], v102
	v_fmac_f64_e32 v[6:7], v[44:45], v[100:101]
	v_cvt_f64_f32_e32 v[44:45], v115
	v_fmac_f64_e32 v[12:13], v[40:41], v[100:101]
	v_fmac_f64_e32 v[14:15], v[42:43], v[100:101]
	;; [unrolled: 1-line block ×3, first 2 shown]
	v_cvt_f64_f32_e32 v[40:41], v111
	v_cvt_f64_f32_e32 v[42:43], v107
	;; [unrolled: 1-line block ×3, first 2 shown]
	s_wait_loadcnt 0x1
	v_fmac_f64_e32 v[6:7], v[48:49], v[30:31]
	v_cvt_f64_f32_e32 v[48:49], v104
	v_fmac_f64_e32 v[12:13], v[38:39], v[30:31]
	v_fmac_f64_e32 v[14:15], v[46:47], v[30:31]
	;; [unrolled: 1-line block ×3, first 2 shown]
	v_cvt_f64_f32_e32 v[30:31], v112
	v_cvt_f64_f32_e32 v[38:39], v108
	;; [unrolled: 1-line block ×3, first 2 shown]
	v_fmac_f64_e32 v[6:7], v[44:45], v[32:33]
	v_cvt_f64_f32_e32 v[44:45], v105
	v_fmac_f64_e32 v[12:13], v[40:41], v[32:33]
	v_fmac_f64_e32 v[14:15], v[42:43], v[32:33]
	;; [unrolled: 1-line block ×3, first 2 shown]
	v_cvt_f64_f32_e32 v[32:33], v113
	v_cvt_f64_f32_e32 v[40:41], v109
	;; [unrolled: 1-line block ×3, first 2 shown]
	s_wait_loadcnt 0x0
	v_fmac_f64_e32 v[6:7], v[46:47], v[34:35]
	v_fmac_f64_e32 v[12:13], v[30:31], v[34:35]
	;; [unrolled: 1-line block ×4, first 2 shown]
	s_delay_alu instid0(VALU_DEP_4) | instskip(NEXT) | instid1(VALU_DEP_4)
	v_fmac_f64_e32 v[6:7], v[42:43], v[36:37]
	v_fmac_f64_e32 v[12:13], v[32:33], v[36:37]
	s_delay_alu instid0(VALU_DEP_4) | instskip(NEXT) | instid1(VALU_DEP_4)
	v_fmac_f64_e32 v[14:15], v[40:41], v[36:37]
	v_fmac_f64_e32 v[4:5], v[44:45], v[36:37]
	s_and_not1_b32 exec_lo, exec_lo, s7
	s_cbranch_execnz .LBB158_21
; %bb.22:
	s_or_b32 exec_lo, exec_lo, s7
.LBB158_23:
	s_delay_alu instid0(SALU_CYCLE_1)
	s_or_b32 exec_lo, exec_lo, s6
.LBB158_24:
	s_delay_alu instid0(SALU_CYCLE_1)
	s_or_b32 exec_lo, exec_lo, s3
	s_cbranch_execz .LBB158_26
	s_branch .LBB158_37
.LBB158_25:
                                        ; implicit-def: $vgpr4_vgpr5
                                        ; implicit-def: $vgpr6_vgpr7
                                        ; implicit-def: $vgpr14_vgpr15
                                        ; implicit-def: $vgpr12_vgpr13
.LBB158_26:
	v_mov_b64_e32 v[4:5], 0
	v_mov_b64_e32 v[6:7], 0
	;; [unrolled: 1-line block ×4, first 2 shown]
	s_and_saveexec_b32 s3, s2
	s_cbranch_execz .LBB158_36
; %bb.27:
	v_dual_mov_b32 v5, v1 :: v_dual_bitop2_b32 v4, 32, v0 bitop3:0x54
	v_sub_nc_u64_e32 v[6:7], s[12:13], v[0:1]
	v_not_b32_e32 v13, v23
	v_not_b32_e32 v12, v22
	v_mov_b64_e32 v[14:15], 0
	v_sub_nc_u64_e64 v[4:5], v[4:5], s[12:13]
	v_mov_b32_e32 v25, 0
	s_mov_b32 s2, exec_lo
	v_add_nc_u64_e32 v[6:7], v[6:7], v[12:13]
	v_mov_b64_e32 v[12:13], 0
	s_delay_alu instid0(VALU_DEP_4) | instskip(NEXT) | instid1(VALU_DEP_1)
	v_add_nc_u64_e32 v[4:5], v[4:5], v[22:23]
	v_max_i64 v[4:5], v[4:5], v[18:19]
	s_delay_alu instid0(VALU_DEP_1) | instskip(SKIP_2) | instid1(VALU_DEP_3)
	v_add_nc_u64_e32 v[22:23], v[6:7], v[4:5]
	v_mov_b64_e32 v[6:7], 0
	v_mov_b64_e32 v[4:5], 0
	v_and_b32_e32 v24, 0x60, v22
	s_delay_alu instid0(VALU_DEP_1)
	v_cmpx_ne_u64_e32 0x60, v[24:25]
	s_cbranch_execz .LBB158_31
; %bb.28:
	v_lshrrev_b32_e32 v1, 5, v22
	v_mov_b64_e32 v[4:5], 0
	v_mov_b64_e32 v[6:7], 0
	;; [unrolled: 1-line block ×4, first 2 shown]
	v_add_nc_u32_e32 v1, 1, v1
	v_lshl_add_u64 v[26:27], v[16:17], 2, s[8:9]
	s_mov_b32 s6, 0
	s_delay_alu instid0(VALU_DEP_2) | instskip(NEXT) | instid1(VALU_DEP_1)
	v_and_b32_e32 v24, 3, v1
	v_sub_nc_u64_e32 v[24:25], 0, v[24:25]
.LBB158_29:                             ; =>This Inner Loop Header: Depth=1
	global_load_b32 v1, v[26:27], off
	s_clause 0x1
	global_load_b128 v[28:31], v[20:21], off
	global_load_b128 v[32:35], v[20:21], off offset:16
	v_add_nc_u64_e32 v[24:25], 1, v[24:25]
	v_add_nc_u64_e32 v[16:17], 32, v[16:17]
	s_wait_xcnt 0x2
	v_add_nc_u64_e32 v[26:27], 0x80, v[26:27]
	s_delay_alu instid0(VALU_DEP_3)
	v_cmp_eq_u64_e32 vcc_lo, 0, v[24:25]
	s_or_b32 s6, vcc_lo, s6
	s_wait_loadcnt 0x2
	v_subrev_nc_u32_e32 v1, s12, v1
	s_wait_loadcnt 0x1
	v_cvt_f64_f32_e32 v[54:55], v30
	v_cvt_f64_f32_e32 v[30:31], v31
	s_wait_loadcnt 0x0
	v_cvt_f64_f32_e32 v[56:57], v32
	v_cvt_f64_f32_e32 v[32:33], v33
	v_lshlrev_b32_e32 v36, 2, v1
	v_cvt_f64_f32_e32 v[58:59], v34
	v_cvt_f64_f32_e32 v[34:35], v35
	s_delay_alu instid0(VALU_DEP_3) | instskip(SKIP_1) | instid1(VALU_DEP_1)
	v_ashrrev_i32_e32 v37, 31, v36
	s_wait_kmcnt 0x0
	v_lshl_add_u64 v[52:53], v[36:37], 3, s[4:5]
	s_clause 0x1
	global_load_b128 v[36:39], v[52:53], off
	global_load_b128 v[40:43], v[52:53], off offset:16
	s_clause 0x1
	global_load_b128 v[44:47], v[20:21], off offset:32
	global_load_b128 v[48:51], v[20:21], off offset:48
	s_wait_xcnt 0x2
	v_cvt_f64_f32_e32 v[52:53], v28
	v_cvt_f64_f32_e32 v[28:29], v29
	s_wait_xcnt 0x0
	v_add_nc_u64_e32 v[20:21], 0x800, v[20:21]
	s_wait_loadcnt 0x3
	s_delay_alu instid0(VALU_DEP_3) | instskip(NEXT) | instid1(VALU_DEP_3)
	v_fmac_f64_e32 v[12:13], v[52:53], v[36:37]
	v_fmac_f64_e32 v[14:15], v[28:29], v[36:37]
	;; [unrolled: 1-line block ×4, first 2 shown]
	s_wait_loadcnt 0x1
	v_cvt_f64_f32_e32 v[28:29], v44
	v_cvt_f64_f32_e32 v[30:31], v45
	;; [unrolled: 1-line block ×4, first 2 shown]
	s_wait_loadcnt 0x0
	v_cvt_f64_f32_e32 v[46:47], v51
	v_fmac_f64_e32 v[12:13], v[56:57], v[38:39]
	v_fmac_f64_e32 v[14:15], v[32:33], v[38:39]
	;; [unrolled: 1-line block ×4, first 2 shown]
	v_cvt_f64_f32_e32 v[32:33], v48
	v_cvt_f64_f32_e32 v[34:35], v49
	;; [unrolled: 1-line block ×3, first 2 shown]
	v_fmac_f64_e32 v[12:13], v[28:29], v[40:41]
	v_fmac_f64_e32 v[14:15], v[30:31], v[40:41]
	;; [unrolled: 1-line block ×4, first 2 shown]
	s_delay_alu instid0(VALU_DEP_4) | instskip(NEXT) | instid1(VALU_DEP_4)
	v_fmac_f64_e32 v[12:13], v[32:33], v[42:43]
	v_fmac_f64_e32 v[14:15], v[34:35], v[42:43]
	s_delay_alu instid0(VALU_DEP_4) | instskip(NEXT) | instid1(VALU_DEP_4)
	v_fmac_f64_e32 v[6:7], v[38:39], v[42:43]
	v_fmac_f64_e32 v[4:5], v[46:47], v[42:43]
	s_and_not1_b32 exec_lo, exec_lo, s6
	s_cbranch_execnz .LBB158_29
; %bb.30:
	s_or_b32 exec_lo, exec_lo, s6
.LBB158_31:
	s_delay_alu instid0(SALU_CYCLE_1) | instskip(NEXT) | instid1(SALU_CYCLE_1)
	s_or_b32 exec_lo, exec_lo, s2
	s_mov_b32 s2, exec_lo
	v_cmpx_lt_u64_e32 0x5f, v[22:23]
	s_cbranch_execz .LBB158_35
; %bb.32:
	v_lshl_add_u64 v[22:23], v[16:17], 2, s[8:9]
	s_mov_b32 s6, 0
	s_delay_alu instid0(VALU_DEP_1)
	v_add_nc_u64_e32 v[22:23], 0x100, v[22:23]
.LBB158_33:                             ; =>This Inner Loop Header: Depth=1
	s_clause 0x2
	global_load_b32 v1, v[22:23], off offset:-256
	global_load_b32 v11, v[22:23], off offset:-128
	global_load_b32 v78, v[22:23], off
	global_load_b128 v[24:27], v[20:21], off
	global_load_b32 v108, v[22:23], off offset:128
	v_add_nc_u64_e32 v[16:17], 0x80, v[16:17]
	s_wait_xcnt 0x0
	v_add_nc_u64_e32 v[22:23], 0x200, v[22:23]
	s_delay_alu instid0(VALU_DEP_2)
	v_cmp_ge_i64_e32 vcc_lo, v[16:17], v[18:19]
	s_or_b32 s6, vcc_lo, s6
	s_wait_loadcnt 0x4
	v_subrev_nc_u32_e32 v1, s12, v1
	s_wait_loadcnt 0x1
	v_cvt_f64_f32_e32 v[90:91], v24
	v_cvt_f64_f32_e32 v[92:93], v25
	s_delay_alu instid0(VALU_DEP_3) | instskip(SKIP_3) | instid1(VALU_DEP_4)
	v_lshlrev_b32_e32 v28, 2, v1
	v_subrev_nc_u32_e32 v1, s12, v11
	v_cvt_f64_f32_e32 v[94:95], v26
	v_cvt_f64_f32_e32 v[96:97], v27
	v_ashrrev_i32_e32 v29, 31, v28
	s_wait_kmcnt 0x0
	s_delay_alu instid0(VALU_DEP_1)
	v_lshl_add_u64 v[52:53], v[28:29], 3, s[4:5]
	global_load_b128 v[28:31], v[20:21], off offset:16
	global_load_b128 v[32:35], v[52:53], off
	s_clause 0x1
	global_load_b128 v[36:39], v[20:21], off offset:32
	global_load_b128 v[40:43], v[20:21], off offset:48
	;; [unrolled: 1-line block ×4, first 2 shown]
	s_wait_xcnt 0x1
	v_lshlrev_b32_e32 v52, 2, v1
	v_subrev_nc_u32_e32 v1, s12, v78
	s_delay_alu instid0(VALU_DEP_2) | instskip(NEXT) | instid1(VALU_DEP_1)
	v_ashrrev_i32_e32 v53, 31, v52
	v_lshl_add_u64 v[76:77], v[52:53], 3, s[4:5]
	global_load_b128 v[52:55], v[20:21], off offset:2064
	global_load_b128 v[56:59], v[76:77], off
	s_clause 0x1
	global_load_b128 v[60:63], v[20:21], off offset:2080
	global_load_b128 v[64:67], v[20:21], off offset:2096
	;; [unrolled: 1-line block ×4, first 2 shown]
	s_wait_xcnt 0x1
	v_lshlrev_b32_e32 v76, 2, v1
	s_wait_loadcnt 0xc
	v_subrev_nc_u32_e32 v1, s12, v108
	s_delay_alu instid0(VALU_DEP_2) | instskip(NEXT) | instid1(VALU_DEP_1)
	v_ashrrev_i32_e32 v77, 31, v76
	v_lshl_add_u64 v[88:89], v[76:77], 3, s[4:5]
	global_load_b128 v[76:79], v[20:21], off offset:4112
	global_load_b128 v[80:83], v[88:89], off
	s_clause 0x1
	global_load_b128 v[84:87], v[20:21], off offset:4128
	global_load_b128 v[24:27], v[20:21], off offset:4144
	s_wait_loadcnt 0xf
	v_cvt_f64_f32_e32 v[98:99], v28
	v_cvt_f64_f32_e32 v[100:101], v29
	;; [unrolled: 1-line block ×4, first 2 shown]
	global_load_b128 v[28:31], v[88:89], off offset:16
	s_wait_loadcnt 0xf
	v_fmac_f64_e32 v[12:13], v[90:91], v[32:33]
	v_fmac_f64_e32 v[14:15], v[92:93], v[32:33]
	;; [unrolled: 1-line block ×4, first 2 shown]
	s_wait_loadcnt 0xe
	v_cvt_f64_f32_e32 v[92:93], v36
	v_lshlrev_b32_e32 v36, 2, v1
	v_cvt_f64_f32_e32 v[94:95], v37
	v_cvt_f64_f32_e32 v[96:97], v38
	;; [unrolled: 1-line block ×3, first 2 shown]
	s_delay_alu instid0(VALU_DEP_4) | instskip(NEXT) | instid1(VALU_DEP_1)
	v_ashrrev_i32_e32 v37, 31, v36
	v_lshl_add_u64 v[108:109], v[36:37], 3, s[4:5]
	global_load_b128 v[36:39], v[108:109], off
	global_load_b128 v[88:91], v[20:21], off offset:6144
	v_fmac_f64_e32 v[12:13], v[98:99], v[34:35]
	v_fmac_f64_e32 v[14:15], v[100:101], v[34:35]
	;; [unrolled: 1-line block ×4, first 2 shown]
	global_load_b128 v[32:35], v[20:21], off offset:6160
	s_wait_loadcnt 0x10
	v_cvt_f64_f32_e32 v[98:99], v40
	v_cvt_f64_f32_e32 v[100:101], v41
	;; [unrolled: 1-line block ×4, first 2 shown]
	global_load_b128 v[40:43], v[20:21], off offset:6176
	s_wait_loadcnt 0x10
	v_fmac_f64_e32 v[12:13], v[92:93], v[44:45]
	v_fmac_f64_e32 v[14:15], v[94:95], v[44:45]
	v_fmac_f64_e32 v[6:7], v[96:97], v[44:45]
	v_fmac_f64_e32 v[4:5], v[106:107], v[44:45]
	s_wait_loadcnt 0xf
	v_cvt_f64_f32_e32 v[92:93], v48
	v_cvt_f64_f32_e32 v[94:95], v49
	;; [unrolled: 1-line block ×4, first 2 shown]
	global_load_b128 v[48:51], v[108:109], off offset:16
	v_fmac_f64_e32 v[12:13], v[98:99], v[46:47]
	v_fmac_f64_e32 v[14:15], v[100:101], v[46:47]
	;; [unrolled: 1-line block ×4, first 2 shown]
	global_load_b128 v[44:47], v[20:21], off offset:6192
	s_wait_loadcnt 0x10
	v_cvt_f64_f32_e32 v[98:99], v52
	v_cvt_f64_f32_e32 v[52:53], v53
	;; [unrolled: 1-line block ×4, first 2 shown]
	s_wait_xcnt 0x0
	v_add_nc_u64_e32 v[20:21], 0x2000, v[20:21]
	s_wait_loadcnt 0xf
	v_fmac_f64_e32 v[12:13], v[92:93], v[56:57]
	v_fmac_f64_e32 v[14:15], v[94:95], v[56:57]
	;; [unrolled: 1-line block ×4, first 2 shown]
	s_wait_loadcnt 0xe
	v_cvt_f64_f32_e32 v[56:57], v60
	v_cvt_f64_f32_e32 v[60:61], v61
	v_cvt_f64_f32_e32 v[92:93], v62
	v_cvt_f64_f32_e32 v[62:63], v63
	v_fmac_f64_e32 v[12:13], v[98:99], v[58:59]
	v_fmac_f64_e32 v[14:15], v[52:53], v[58:59]
	;; [unrolled: 1-line block ×4, first 2 shown]
	s_wait_loadcnt 0xd
	v_cvt_f64_f32_e32 v[52:53], v64
	v_cvt_f64_f32_e32 v[54:55], v65
	;; [unrolled: 1-line block ×4, first 2 shown]
	s_wait_loadcnt 0xb
	v_cvt_f64_f32_e32 v[66:67], v75
	v_fmac_f64_e32 v[12:13], v[56:57], v[68:69]
	v_fmac_f64_e32 v[14:15], v[60:61], v[68:69]
	v_fmac_f64_e32 v[6:7], v[92:93], v[68:69]
	v_fmac_f64_e32 v[4:5], v[62:63], v[68:69]
	v_cvt_f64_f32_e32 v[56:57], v72
	v_cvt_f64_f32_e32 v[60:61], v73
	;; [unrolled: 1-line block ×3, first 2 shown]
	v_fmac_f64_e32 v[12:13], v[52:53], v[70:71]
	v_fmac_f64_e32 v[14:15], v[54:55], v[70:71]
	;; [unrolled: 1-line block ×4, first 2 shown]
	s_wait_loadcnt 0xa
	v_cvt_f64_f32_e32 v[52:53], v76
	v_cvt_f64_f32_e32 v[54:55], v77
	;; [unrolled: 1-line block ×4, first 2 shown]
	s_wait_loadcnt 0x9
	v_fmac_f64_e32 v[12:13], v[56:57], v[80:81]
	v_fmac_f64_e32 v[14:15], v[60:61], v[80:81]
	;; [unrolled: 1-line block ×4, first 2 shown]
	s_wait_loadcnt 0x8
	v_cvt_f64_f32_e32 v[56:57], v84
	v_cvt_f64_f32_e32 v[60:61], v85
	;; [unrolled: 1-line block ×4, first 2 shown]
	v_fmac_f64_e32 v[12:13], v[52:53], v[82:83]
	v_fmac_f64_e32 v[14:15], v[54:55], v[82:83]
	;; [unrolled: 1-line block ×4, first 2 shown]
	s_wait_loadcnt 0x7
	v_cvt_f64_f32_e32 v[52:53], v24
	v_cvt_f64_f32_e32 v[24:25], v25
	;; [unrolled: 1-line block ×4, first 2 shown]
	s_wait_loadcnt 0x6
	v_fmac_f64_e32 v[12:13], v[56:57], v[28:29]
	v_fmac_f64_e32 v[14:15], v[60:61], v[28:29]
	;; [unrolled: 1-line block ×4, first 2 shown]
	s_wait_loadcnt 0x4
	v_cvt_f64_f32_e32 v[28:29], v88
	v_cvt_f64_f32_e32 v[56:57], v89
	;; [unrolled: 1-line block ×4, first 2 shown]
	v_fmac_f64_e32 v[12:13], v[52:53], v[30:31]
	v_fmac_f64_e32 v[14:15], v[24:25], v[30:31]
	;; [unrolled: 1-line block ×4, first 2 shown]
	s_wait_loadcnt 0x3
	v_cvt_f64_f32_e32 v[24:25], v32
	v_cvt_f64_f32_e32 v[26:27], v33
	;; [unrolled: 1-line block ×4, first 2 shown]
	s_wait_loadcnt 0x2
	v_cvt_f64_f32_e32 v[34:35], v41
	v_fmac_f64_e32 v[12:13], v[28:29], v[36:37]
	v_fmac_f64_e32 v[14:15], v[56:57], v[36:37]
	;; [unrolled: 1-line block ×4, first 2 shown]
	v_cvt_f64_f32_e32 v[28:29], v40
	v_cvt_f64_f32_e32 v[36:37], v42
	;; [unrolled: 1-line block ×3, first 2 shown]
	v_fmac_f64_e32 v[12:13], v[24:25], v[38:39]
	v_fmac_f64_e32 v[14:15], v[26:27], v[38:39]
	;; [unrolled: 1-line block ×4, first 2 shown]
	s_wait_loadcnt 0x0
	v_cvt_f64_f32_e32 v[24:25], v44
	v_cvt_f64_f32_e32 v[26:27], v45
	;; [unrolled: 1-line block ×4, first 2 shown]
	v_fmac_f64_e32 v[12:13], v[28:29], v[48:49]
	v_fmac_f64_e32 v[14:15], v[34:35], v[48:49]
	;; [unrolled: 1-line block ×4, first 2 shown]
	s_delay_alu instid0(VALU_DEP_4) | instskip(NEXT) | instid1(VALU_DEP_4)
	v_fmac_f64_e32 v[12:13], v[24:25], v[50:51]
	v_fmac_f64_e32 v[14:15], v[26:27], v[50:51]
	s_delay_alu instid0(VALU_DEP_4) | instskip(NEXT) | instid1(VALU_DEP_4)
	v_fmac_f64_e32 v[6:7], v[30:31], v[50:51]
	v_fmac_f64_e32 v[4:5], v[32:33], v[50:51]
	s_and_not1_b32 exec_lo, exec_lo, s6
	s_cbranch_execnz .LBB158_33
; %bb.34:
	s_or_b32 exec_lo, exec_lo, s6
.LBB158_35:
	s_delay_alu instid0(SALU_CYCLE_1)
	s_or_b32 exec_lo, exec_lo, s2
.LBB158_36:
	s_delay_alu instid0(SALU_CYCLE_1)
	s_or_b32 exec_lo, exec_lo, s3
.LBB158_37:
	v_mbcnt_lo_u32_b32 v1, -1, 0
	s_delay_alu instid0(VALU_DEP_1) | instskip(NEXT) | instid1(VALU_DEP_1)
	v_xor_b32_e32 v11, 16, v1
	v_cmp_gt_i32_e32 vcc_lo, 32, v11
	v_cndmask_b32_e32 v11, v1, v11, vcc_lo
	s_delay_alu instid0(VALU_DEP_1)
	v_lshlrev_b32_e32 v11, 2, v11
	ds_bpermute_b32 v16, v11, v12
	ds_bpermute_b32 v17, v11, v13
	s_wait_dscnt 0x0
	v_add_f64_e32 v[12:13], v[12:13], v[16:17]
	ds_bpermute_b32 v22, v11, v4
	ds_bpermute_b32 v23, v11, v5
	;; [unrolled: 1-line block ×6, first 2 shown]
	v_xor_b32_e32 v11, 8, v1
	s_delay_alu instid0(VALU_DEP_1)
	v_cmp_gt_i32_e32 vcc_lo, 32, v11
	s_wait_dscnt 0x4
	v_add_f64_e32 v[4:5], v[4:5], v[22:23]
	s_wait_dscnt 0x2
	v_add_f64_e32 v[14:15], v[14:15], v[18:19]
	s_wait_dscnt 0x0
	v_dual_add_f64 v[6:7], v[6:7], v[20:21] :: v_dual_cndmask_b32 v11, v1, v11, vcc_lo
	s_delay_alu instid0(VALU_DEP_1)
	v_lshlrev_b32_e32 v11, 2, v11
	ds_bpermute_b32 v16, v11, v12
	ds_bpermute_b32 v17, v11, v13
	s_wait_dscnt 0x0
	v_add_f64_e32 v[12:13], v[12:13], v[16:17]
	ds_bpermute_b32 v18, v11, v14
	ds_bpermute_b32 v19, v11, v15
	ds_bpermute_b32 v20, v11, v6
	ds_bpermute_b32 v21, v11, v7
	ds_bpermute_b32 v22, v11, v4
	ds_bpermute_b32 v23, v11, v5
	v_xor_b32_e32 v11, 4, v1
	s_delay_alu instid0(VALU_DEP_1)
	v_cmp_gt_i32_e32 vcc_lo, 32, v11
	s_wait_dscnt 0x4
	v_add_f64_e32 v[14:15], v[14:15], v[18:19]
	s_wait_dscnt 0x2
	v_dual_add_f64 v[6:7], v[6:7], v[20:21] :: v_dual_cndmask_b32 v11, v1, v11, vcc_lo
	s_wait_dscnt 0x0
	v_add_f64_e32 v[4:5], v[4:5], v[22:23]
	s_delay_alu instid0(VALU_DEP_2)
	v_lshlrev_b32_e32 v11, 2, v11
	ds_bpermute_b32 v16, v11, v12
	ds_bpermute_b32 v17, v11, v13
	s_wait_dscnt 0x0
	v_add_f64_e32 v[12:13], v[12:13], v[16:17]
	ds_bpermute_b32 v18, v11, v14
	ds_bpermute_b32 v19, v11, v15
	;; [unrolled: 1-line block ×6, first 2 shown]
	s_wait_dscnt 0x4
	v_add_f64_e32 v[16:17], v[14:15], v[18:19]
	s_wait_dscnt 0x2
	v_add_f64_e32 v[6:7], v[6:7], v[20:21]
	s_wait_dscnt 0x0
	v_dual_add_f64 v[18:19], v[4:5], v[22:23] :: v_dual_bitop2_b32 v4, 2, v1 bitop3:0x14
	s_delay_alu instid0(VALU_DEP_1) | instskip(SKIP_1) | instid1(VALU_DEP_1)
	v_cmp_gt_i32_e32 vcc_lo, 32, v4
	v_cndmask_b32_e32 v4, v1, v4, vcc_lo
	v_lshlrev_b32_e32 v11, 2, v4
	ds_bpermute_b32 v4, v11, v12
	ds_bpermute_b32 v5, v11, v13
	;; [unrolled: 1-line block ×8, first 2 shown]
	v_xor_b32_e32 v11, 1, v1
	s_delay_alu instid0(VALU_DEP_1)
	v_cmp_gt_i32_e32 vcc_lo, 32, v11
	s_wait_dscnt 0x6
	v_add_f64_e32 v[14:15], v[12:13], v[4:5]
	v_cndmask_b32_e32 v1, v1, v11, vcc_lo
	v_cmp_eq_u32_e32 vcc_lo, 31, v0
	s_wait_dscnt 0x4
	v_add_f64_e32 v[12:13], v[16:17], v[20:21]
	s_wait_dscnt 0x2
	v_dual_add_f64 v[4:5], v[6:7], v[22:23] :: v_dual_lshlrev_b32 v1, 2, v1
	s_wait_dscnt 0x0
	v_add_f64_e32 v[6:7], v[18:19], v[24:25]
	ds_bpermute_b32 v22, v1, v14
	ds_bpermute_b32 v23, v1, v15
	;; [unrolled: 1-line block ×8, first 2 shown]
	s_and_b32 exec_lo, exec_lo, vcc_lo
	s_cbranch_execz .LBB158_10
; %bb.38:
	s_wait_dscnt 0x6
	v_add_f64_e32 v[0:1], v[14:15], v[22:23]
	s_wait_dscnt 0x4
	v_dual_add_f64 v[12:13], v[12:13], v[20:21] :: v_dual_lshlrev_b32 v10, 2, v10
	s_wait_dscnt 0x2
	v_add_f64_e32 v[14:15], v[4:5], v[18:19]
	s_wait_dscnt 0x0
	v_add_f64_e32 v[16:17], v[6:7], v[16:17]
	s_load_b64 s[0:1], s[0:1], 0x50
	s_mov_b32 s2, exec_lo
	s_delay_alu instid0(VALU_DEP_4) | instskip(NEXT) | instid1(VALU_DEP_4)
	v_mul_f64_e32 v[4:5], v[2:3], v[0:1]
	v_mul_f64_e32 v[6:7], v[2:3], v[12:13]
	s_delay_alu instid0(VALU_DEP_4) | instskip(NEXT) | instid1(VALU_DEP_4)
	v_mul_f64_e32 v[0:1], v[2:3], v[14:15]
	v_mul_f64_e32 v[2:3], v[2:3], v[16:17]
	v_cmpx_eq_f64_e32 0, v[8:9]
	s_xor_b32 s2, exec_lo, s2
	s_cbranch_execz .LBB158_40
; %bb.39:
	v_ashrrev_i32_e32 v11, 31, v10
	s_wait_kmcnt 0x0
	s_delay_alu instid0(VALU_DEP_1)
	v_lshl_add_u64 v[8:9], v[10:11], 3, s[0:1]
                                        ; implicit-def: $vgpr10
	s_clause 0x1
	global_store_b128 v[8:9], v[4:7], off
	global_store_b128 v[8:9], v[0:3], off offset:16
                                        ; implicit-def: $vgpr8_vgpr9
                                        ; implicit-def: $vgpr4_vgpr5
                                        ; implicit-def: $vgpr0_vgpr1
.LBB158_40:
	s_wait_xcnt 0x0
	s_and_not1_saveexec_b32 s2, s2
	s_cbranch_execz .LBB158_10
; %bb.41:
	v_ashrrev_i32_e32 v11, 31, v10
	s_wait_kmcnt 0x0
	s_delay_alu instid0(VALU_DEP_1)
	v_lshl_add_u64 v[18:19], v[10:11], 3, s[0:1]
	s_clause 0x1
	global_load_b128 v[10:13], v[18:19], off
	global_load_b128 v[14:17], v[18:19], off offset:16
	s_wait_loadcnt 0x1
	v_fmac_f64_e32 v[4:5], v[8:9], v[10:11]
	v_fmac_f64_e32 v[6:7], v[8:9], v[12:13]
	s_wait_loadcnt 0x0
	v_fmac_f64_e32 v[0:1], v[8:9], v[14:15]
	v_fmac_f64_e32 v[2:3], v[8:9], v[16:17]
	s_clause 0x1
	global_store_b128 v[18:19], v[4:7], off
	global_store_b128 v[18:19], v[0:3], off offset:16
	s_sendmsg sendmsg(MSG_DEALLOC_VGPRS)
	s_endpgm
	.section	.rodata,"a",@progbits
	.p2align	6, 0x0
	.amdhsa_kernel _ZN9rocsparseL18bsrxmvn_4x4_kernelILj128ELj32EdlifddEEvT3_20rocsparse_direction_NS_24const_host_device_scalarIT1_EES1_PKS1_PKT2_SA_S7_PKT4_PKT5_S5_PT6_21rocsparse_index_base_b
		.amdhsa_group_segment_fixed_size 0
		.amdhsa_private_segment_fixed_size 0
		.amdhsa_kernarg_size 96
		.amdhsa_user_sgpr_count 2
		.amdhsa_user_sgpr_dispatch_ptr 0
		.amdhsa_user_sgpr_queue_ptr 0
		.amdhsa_user_sgpr_kernarg_segment_ptr 1
		.amdhsa_user_sgpr_dispatch_id 0
		.amdhsa_user_sgpr_kernarg_preload_length 0
		.amdhsa_user_sgpr_kernarg_preload_offset 0
		.amdhsa_user_sgpr_private_segment_size 0
		.amdhsa_wavefront_size32 1
		.amdhsa_uses_dynamic_stack 0
		.amdhsa_enable_private_segment 0
		.amdhsa_system_sgpr_workgroup_id_x 1
		.amdhsa_system_sgpr_workgroup_id_y 0
		.amdhsa_system_sgpr_workgroup_id_z 0
		.amdhsa_system_sgpr_workgroup_info 0
		.amdhsa_system_vgpr_workitem_id 0
		.amdhsa_next_free_vgpr 120
		.amdhsa_next_free_sgpr 14
		.amdhsa_named_barrier_count 0
		.amdhsa_reserve_vcc 1
		.amdhsa_float_round_mode_32 0
		.amdhsa_float_round_mode_16_64 0
		.amdhsa_float_denorm_mode_32 3
		.amdhsa_float_denorm_mode_16_64 3
		.amdhsa_fp16_overflow 0
		.amdhsa_memory_ordered 1
		.amdhsa_forward_progress 1
		.amdhsa_inst_pref_size 38
		.amdhsa_round_robin_scheduling 0
		.amdhsa_exception_fp_ieee_invalid_op 0
		.amdhsa_exception_fp_denorm_src 0
		.amdhsa_exception_fp_ieee_div_zero 0
		.amdhsa_exception_fp_ieee_overflow 0
		.amdhsa_exception_fp_ieee_underflow 0
		.amdhsa_exception_fp_ieee_inexact 0
		.amdhsa_exception_int_div_zero 0
	.end_amdhsa_kernel
	.section	.text._ZN9rocsparseL18bsrxmvn_4x4_kernelILj128ELj32EdlifddEEvT3_20rocsparse_direction_NS_24const_host_device_scalarIT1_EES1_PKS1_PKT2_SA_S7_PKT4_PKT5_S5_PT6_21rocsparse_index_base_b,"axG",@progbits,_ZN9rocsparseL18bsrxmvn_4x4_kernelILj128ELj32EdlifddEEvT3_20rocsparse_direction_NS_24const_host_device_scalarIT1_EES1_PKS1_PKT2_SA_S7_PKT4_PKT5_S5_PT6_21rocsparse_index_base_b,comdat
.Lfunc_end158:
	.size	_ZN9rocsparseL18bsrxmvn_4x4_kernelILj128ELj32EdlifddEEvT3_20rocsparse_direction_NS_24const_host_device_scalarIT1_EES1_PKS1_PKT2_SA_S7_PKT4_PKT5_S5_PT6_21rocsparse_index_base_b, .Lfunc_end158-_ZN9rocsparseL18bsrxmvn_4x4_kernelILj128ELj32EdlifddEEvT3_20rocsparse_direction_NS_24const_host_device_scalarIT1_EES1_PKS1_PKT2_SA_S7_PKT4_PKT5_S5_PT6_21rocsparse_index_base_b
                                        ; -- End function
	.set _ZN9rocsparseL18bsrxmvn_4x4_kernelILj128ELj32EdlifddEEvT3_20rocsparse_direction_NS_24const_host_device_scalarIT1_EES1_PKS1_PKT2_SA_S7_PKT4_PKT5_S5_PT6_21rocsparse_index_base_b.num_vgpr, 120
	.set _ZN9rocsparseL18bsrxmvn_4x4_kernelILj128ELj32EdlifddEEvT3_20rocsparse_direction_NS_24const_host_device_scalarIT1_EES1_PKS1_PKT2_SA_S7_PKT4_PKT5_S5_PT6_21rocsparse_index_base_b.num_agpr, 0
	.set _ZN9rocsparseL18bsrxmvn_4x4_kernelILj128ELj32EdlifddEEvT3_20rocsparse_direction_NS_24const_host_device_scalarIT1_EES1_PKS1_PKT2_SA_S7_PKT4_PKT5_S5_PT6_21rocsparse_index_base_b.numbered_sgpr, 14
	.set _ZN9rocsparseL18bsrxmvn_4x4_kernelILj128ELj32EdlifddEEvT3_20rocsparse_direction_NS_24const_host_device_scalarIT1_EES1_PKS1_PKT2_SA_S7_PKT4_PKT5_S5_PT6_21rocsparse_index_base_b.num_named_barrier, 0
	.set _ZN9rocsparseL18bsrxmvn_4x4_kernelILj128ELj32EdlifddEEvT3_20rocsparse_direction_NS_24const_host_device_scalarIT1_EES1_PKS1_PKT2_SA_S7_PKT4_PKT5_S5_PT6_21rocsparse_index_base_b.private_seg_size, 0
	.set _ZN9rocsparseL18bsrxmvn_4x4_kernelILj128ELj32EdlifddEEvT3_20rocsparse_direction_NS_24const_host_device_scalarIT1_EES1_PKS1_PKT2_SA_S7_PKT4_PKT5_S5_PT6_21rocsparse_index_base_b.uses_vcc, 1
	.set _ZN9rocsparseL18bsrxmvn_4x4_kernelILj128ELj32EdlifddEEvT3_20rocsparse_direction_NS_24const_host_device_scalarIT1_EES1_PKS1_PKT2_SA_S7_PKT4_PKT5_S5_PT6_21rocsparse_index_base_b.uses_flat_scratch, 0
	.set _ZN9rocsparseL18bsrxmvn_4x4_kernelILj128ELj32EdlifddEEvT3_20rocsparse_direction_NS_24const_host_device_scalarIT1_EES1_PKS1_PKT2_SA_S7_PKT4_PKT5_S5_PT6_21rocsparse_index_base_b.has_dyn_sized_stack, 0
	.set _ZN9rocsparseL18bsrxmvn_4x4_kernelILj128ELj32EdlifddEEvT3_20rocsparse_direction_NS_24const_host_device_scalarIT1_EES1_PKS1_PKT2_SA_S7_PKT4_PKT5_S5_PT6_21rocsparse_index_base_b.has_recursion, 0
	.set _ZN9rocsparseL18bsrxmvn_4x4_kernelILj128ELj32EdlifddEEvT3_20rocsparse_direction_NS_24const_host_device_scalarIT1_EES1_PKS1_PKT2_SA_S7_PKT4_PKT5_S5_PT6_21rocsparse_index_base_b.has_indirect_call, 0
	.section	.AMDGPU.csdata,"",@progbits
; Kernel info:
; codeLenInByte = 4844
; TotalNumSgprs: 16
; NumVgprs: 120
; ScratchSize: 0
; MemoryBound: 0
; FloatMode: 240
; IeeeMode: 1
; LDSByteSize: 0 bytes/workgroup (compile time only)
; SGPRBlocks: 0
; VGPRBlocks: 7
; NumSGPRsForWavesPerEU: 16
; NumVGPRsForWavesPerEU: 120
; NamedBarCnt: 0
; Occupancy: 8
; WaveLimiterHint : 1
; COMPUTE_PGM_RSRC2:SCRATCH_EN: 0
; COMPUTE_PGM_RSRC2:USER_SGPR: 2
; COMPUTE_PGM_RSRC2:TRAP_HANDLER: 0
; COMPUTE_PGM_RSRC2:TGID_X_EN: 1
; COMPUTE_PGM_RSRC2:TGID_Y_EN: 0
; COMPUTE_PGM_RSRC2:TGID_Z_EN: 0
; COMPUTE_PGM_RSRC2:TIDIG_COMP_CNT: 0
	.section	.text._ZN9rocsparseL18bsrxmvn_4x4_kernelILj128ELj64EdlifddEEvT3_20rocsparse_direction_NS_24const_host_device_scalarIT1_EES1_PKS1_PKT2_SA_S7_PKT4_PKT5_S5_PT6_21rocsparse_index_base_b,"axG",@progbits,_ZN9rocsparseL18bsrxmvn_4x4_kernelILj128ELj64EdlifddEEvT3_20rocsparse_direction_NS_24const_host_device_scalarIT1_EES1_PKS1_PKT2_SA_S7_PKT4_PKT5_S5_PT6_21rocsparse_index_base_b,comdat
	.globl	_ZN9rocsparseL18bsrxmvn_4x4_kernelILj128ELj64EdlifddEEvT3_20rocsparse_direction_NS_24const_host_device_scalarIT1_EES1_PKS1_PKT2_SA_S7_PKT4_PKT5_S5_PT6_21rocsparse_index_base_b ; -- Begin function _ZN9rocsparseL18bsrxmvn_4x4_kernelILj128ELj64EdlifddEEvT3_20rocsparse_direction_NS_24const_host_device_scalarIT1_EES1_PKS1_PKT2_SA_S7_PKT4_PKT5_S5_PT6_21rocsparse_index_base_b
	.p2align	8
	.type	_ZN9rocsparseL18bsrxmvn_4x4_kernelILj128ELj64EdlifddEEvT3_20rocsparse_direction_NS_24const_host_device_scalarIT1_EES1_PKS1_PKT2_SA_S7_PKT4_PKT5_S5_PT6_21rocsparse_index_base_b,@function
_ZN9rocsparseL18bsrxmvn_4x4_kernelILj128ELj64EdlifddEEvT3_20rocsparse_direction_NS_24const_host_device_scalarIT1_EES1_PKS1_PKT2_SA_S7_PKT4_PKT5_S5_PT6_21rocsparse_index_base_b: ; @_ZN9rocsparseL18bsrxmvn_4x4_kernelILj128ELj64EdlifddEEvT3_20rocsparse_direction_NS_24const_host_device_scalarIT1_EES1_PKS1_PKT2_SA_S7_PKT4_PKT5_S5_PT6_21rocsparse_index_base_b
; %bb.0:
	s_clause 0x2
	s_load_b64 s[12:13], s[0:1], 0x58
	s_load_b64 s[4:5], s[0:1], 0x8
	;; [unrolled: 1-line block ×3, first 2 shown]
	s_wait_kmcnt 0x0
	s_bitcmp1_b32 s13, 0
	v_mov_b64_e32 v[2:3], s[4:5]
	s_cselect_b32 s6, -1, 0
	s_delay_alu instid0(SALU_CYCLE_1)
	s_and_b32 vcc_lo, exec_lo, s6
	s_xor_b32 s6, s6, -1
	s_cbranch_vccnz .LBB159_2
; %bb.1:
	v_mov_b32_e32 v1, 0
	flat_load_b64 v[2:3], v1, s[4:5]
.LBB159_2:
	v_mov_b64_e32 v[8:9], s[2:3]
	s_and_not1_b32 vcc_lo, exec_lo, s6
	s_cbranch_vccnz .LBB159_4
; %bb.3:
	s_wait_xcnt 0x0
	v_mov_b32_e32 v1, 0
	flat_load_b64 v[8:9], v1, s[2:3]
.LBB159_4:
	s_wait_loadcnt_dscnt 0x0
	v_cmp_neq_f64_e32 vcc_lo, 0, v[2:3]
	s_delay_alu instid0(VALU_DEP_2) | instskip(SKIP_1) | instid1(SALU_CYCLE_1)
	v_cmp_neq_f64_e64 s2, 1.0, v[8:9]
	s_or_b32 s2, vcc_lo, s2
	s_and_saveexec_b32 s3, s2
	s_cbranch_execz .LBB159_10
; %bb.5:
	s_clause 0x1
	s_load_b64 s[4:5], s[0:1], 0x18
	s_load_b64 s[2:3], s[0:1], 0x0
	s_bfe_u32 s6, ttmp6, 0x4000c
	s_and_b32 s7, ttmp6, 15
	s_add_co_i32 s6, s6, 1
	s_getreg_b32 s8, hwreg(HW_REG_IB_STS2, 6, 4)
	s_mul_i32 s6, ttmp9, s6
	v_lshrrev_b32_e32 v1, 6, v0
	s_add_co_i32 s7, s7, s6
	s_cmp_eq_u32 s8, 0
	s_cselect_b32 s6, ttmp9, s7
	s_delay_alu instid0(VALU_DEP_1) | instid1(SALU_CYCLE_1)
	v_lshl_or_b32 v10, s6, 1, v1
	s_mov_b32 s6, 0
	s_wait_kmcnt 0x0
	s_cmp_lg_u64 s[4:5], 0
	s_cbranch_scc0 .LBB159_11
; %bb.6:
	s_load_b32 s6, s[0:1], 0x10
	s_mov_b32 s7, 0
                                        ; implicit-def: $vgpr1
	s_wait_kmcnt 0x0
	v_cmp_gt_i32_e32 vcc_lo, s6, v10
	s_mov_b32 s6, 0
	s_and_saveexec_b32 s8, vcc_lo
	s_delay_alu instid0(SALU_CYCLE_1)
	s_xor_b32 s8, exec_lo, s8
	s_cbranch_execz .LBB159_8
; %bb.7:
	global_load_b32 v1, v10, s[4:5] scale_offset
	s_mov_b32 s6, exec_lo
	s_wait_loadcnt 0x0
	v_subrev_nc_u32_e32 v1, s12, v1
.LBB159_8:
	s_or_b32 exec_lo, exec_lo, s8
	s_delay_alu instid0(SALU_CYCLE_1)
	s_and_b32 vcc_lo, exec_lo, s7
	s_cbranch_vccz .LBB159_12
.LBB159_9:
	v_cmp_gt_i32_e32 vcc_lo, s2, v10
	s_and_not1_b32 s2, s6, exec_lo
	s_and_b32 s4, vcc_lo, exec_lo
	s_delay_alu instid0(SALU_CYCLE_1) | instskip(NEXT) | instid1(SALU_CYCLE_1)
	s_or_b32 s6, s2, s4
	s_and_b32 exec_lo, exec_lo, s6
	s_cbranch_execnz .LBB159_13
.LBB159_10:
	s_sendmsg sendmsg(MSG_DEALLOC_VGPRS)
	s_endpgm
.LBB159_11:
                                        ; implicit-def: $vgpr1
	s_cbranch_execnz .LBB159_9
.LBB159_12:
	s_delay_alu instid0(VALU_DEP_1)
	v_mov_b32_e32 v10, v1
	s_and_b32 exec_lo, exec_lo, s6
	s_cbranch_execz .LBB159_10
.LBB159_13:
	s_load_b256 s[4:11], s[0:1], 0x20
	s_mov_b32 s13, 0
	v_dual_mov_b32 v1, 0 :: v_dual_bitop2_b32 v0, 63, v0 bitop3:0x40
	s_wait_kmcnt 0x0
	s_cmp_eq_u64 s[6:7], 0
	global_load_b64 v[22:23], v10, s[4:5] scale_offset
	s_cselect_b32 vcc_lo, -1, 0
	v_ashrrev_i32_e32 v11, 31, v10
	s_cmp_eq_u32 s3, 1
	s_delay_alu instid0(VALU_DEP_1) | instskip(NEXT) | instid1(VALU_DEP_1)
	v_lshlrev_b64_e32 v[4:5], 3, v[10:11]
	v_add_nc_u64_e32 v[6:7], s[4:5], v[4:5]
	v_add_nc_u64_e32 v[4:5], s[6:7], v[4:5]
	s_wait_xcnt 0x0
	s_load_b64 s[4:5], s[0:1], 0x40
	s_delay_alu instid0(VALU_DEP_2) | instskip(NEXT) | instid1(VALU_DEP_1)
	v_add_nc_u64_e32 v[6:7], 8, v[6:7]
	v_dual_cndmask_b32 v5, v5, v7 :: v_dual_cndmask_b32 v4, v4, v6
	global_load_b64 v[4:5], v[4:5], off
	s_wait_loadcnt 0x1
	v_sub_nc_u64_e64 v[6:7], v[22:23], s[12:13]
	s_delay_alu instid0(VALU_DEP_1) | instskip(NEXT) | instid1(VALU_DEP_1)
	v_add_nc_u64_e32 v[16:17], v[6:7], v[0:1]
	v_lshlrev_b64_e32 v[6:7], 6, v[16:17]
	s_delay_alu instid0(VALU_DEP_1) | instskip(SKIP_2) | instid1(VALU_DEP_1)
	v_add_nc_u64_e32 v[20:21], s[10:11], v[6:7]
	s_wait_loadcnt 0x0
	v_sub_nc_u64_e64 v[18:19], v[4:5], s[12:13]
	v_cmp_lt_i64_e64 s2, v[16:17], v[18:19]
	s_cbranch_scc1 .LBB159_25
; %bb.14:
	v_mov_b64_e32 v[4:5], 0
	v_mov_b64_e32 v[6:7], 0
	;; [unrolled: 1-line block ×4, first 2 shown]
	s_and_saveexec_b32 s3, s2
	s_cbranch_execz .LBB159_24
; %bb.15:
	v_dual_mov_b32 v5, v1 :: v_dual_bitop2_b32 v4, 64, v0 bitop3:0x54
	v_sub_nc_u64_e32 v[6:7], s[12:13], v[0:1]
	v_not_b32_e32 v13, v23
	v_not_b32_e32 v12, v22
	v_mov_b64_e32 v[14:15], 0
	v_sub_nc_u64_e64 v[4:5], v[4:5], s[12:13]
	v_mov_b64_e32 v[24:25], v[16:17]
	v_mov_b64_e32 v[26:27], v[20:21]
	v_add_nc_u64_e32 v[6:7], v[6:7], v[12:13]
	v_mov_b64_e32 v[12:13], 0
	v_mov_b32_e32 v33, 0
	s_mov_b32 s6, exec_lo
	v_add_nc_u64_e32 v[4:5], v[4:5], v[22:23]
	s_delay_alu instid0(VALU_DEP_1) | instskip(NEXT) | instid1(VALU_DEP_1)
	v_max_i64 v[4:5], v[4:5], v[18:19]
	v_add_nc_u64_e32 v[28:29], v[6:7], v[4:5]
	v_mov_b64_e32 v[6:7], 0
	v_mov_b64_e32 v[4:5], 0
	s_delay_alu instid0(VALU_DEP_3) | instskip(NEXT) | instid1(VALU_DEP_1)
	v_and_b32_e32 v32, 0xc0, v28
	v_cmpx_ne_u64_e32 0xc0, v[32:33]
	s_cbranch_execz .LBB159_19
; %bb.16:
	v_lshrrev_b32_e32 v4, 6, v28
	v_mov_b64_e32 v[6:7], 0
	v_mov_b64_e32 v[14:15], 0
	;; [unrolled: 1-line block ×4, first 2 shown]
	v_add_nc_u32_e32 v4, 1, v4
	v_mov_b64_e32 v[24:25], v[16:17]
	v_lshl_add_u64 v[30:31], v[16:17], 2, s[8:9]
	s_mov_b32 s7, 0
	s_delay_alu instid0(VALU_DEP_3) | instskip(SKIP_1) | instid1(VALU_DEP_2)
	v_and_b32_e32 v32, 3, v4
	v_mov_b64_e32 v[4:5], 0
	v_sub_nc_u64_e32 v[32:33], 0, v[32:33]
.LBB159_17:                             ; =>This Inner Loop Header: Depth=1
	global_load_b32 v11, v[30:31], off
	s_clause 0x3
	global_load_b128 v[34:37], v[26:27], off
	global_load_b128 v[38:41], v[26:27], off offset:16
	global_load_b128 v[42:45], v[26:27], off offset:32
	;; [unrolled: 1-line block ×3, first 2 shown]
	v_add_nc_u64_e32 v[32:33], 1, v[32:33]
	s_wait_xcnt 0x0
	v_add_nc_u64_e32 v[26:27], 0x1000, v[26:27]
	v_add_nc_u64_e32 v[24:25], 64, v[24:25]
	;; [unrolled: 1-line block ×3, first 2 shown]
	s_delay_alu instid0(VALU_DEP_4)
	v_cmp_eq_u64_e32 vcc_lo, 0, v[32:33]
	s_or_b32 s7, vcc_lo, s7
	s_wait_loadcnt 0x4
	v_subrev_nc_u32_e32 v11, s12, v11
	s_wait_loadcnt 0x2
	v_cvt_f64_f32_e32 v[60:61], v38
	s_wait_loadcnt 0x1
	v_cvt_f64_f32_e32 v[62:63], v42
	;; [unrolled: 2-line block ×3, first 2 shown]
	v_lshlrev_b32_e32 v50, 2, v11
	v_cvt_f64_f32_e32 v[38:39], v39
	v_cvt_f64_f32_e32 v[42:43], v43
	;; [unrolled: 1-line block ×3, first 2 shown]
	s_delay_alu instid0(VALU_DEP_4) | instskip(SKIP_1) | instid1(VALU_DEP_1)
	v_ashrrev_i32_e32 v51, 31, v50
	s_wait_kmcnt 0x0
	v_lshl_add_u64 v[58:59], v[50:51], 3, s[4:5]
	s_clause 0x1
	global_load_b128 v[50:53], v[58:59], off
	global_load_b128 v[54:57], v[58:59], off offset:16
	s_wait_xcnt 0x0
	v_cvt_f64_f32_e32 v[58:59], v34
	v_cvt_f64_f32_e32 v[34:35], v35
	s_wait_loadcnt 0x1
	s_delay_alu instid0(VALU_DEP_2)
	v_fmac_f64_e32 v[12:13], v[58:59], v[50:51]
	v_fmac_f64_e32 v[14:15], v[60:61], v[50:51]
	;; [unrolled: 1-line block ×4, first 2 shown]
	v_cvt_f64_f32_e32 v[50:51], v36
	v_cvt_f64_f32_e32 v[58:59], v40
	;; [unrolled: 1-line block ×4, first 2 shown]
	v_fmac_f64_e32 v[12:13], v[34:35], v[52:53]
	v_fmac_f64_e32 v[14:15], v[38:39], v[52:53]
	;; [unrolled: 1-line block ×4, first 2 shown]
	v_cvt_f64_f32_e32 v[34:35], v37
	v_cvt_f64_f32_e32 v[36:37], v41
	;; [unrolled: 1-line block ×4, first 2 shown]
	s_wait_loadcnt 0x0
	v_fmac_f64_e32 v[12:13], v[50:51], v[54:55]
	v_fmac_f64_e32 v[14:15], v[58:59], v[54:55]
	;; [unrolled: 1-line block ×4, first 2 shown]
	s_delay_alu instid0(VALU_DEP_4) | instskip(NEXT) | instid1(VALU_DEP_4)
	v_fmac_f64_e32 v[12:13], v[34:35], v[56:57]
	v_fmac_f64_e32 v[14:15], v[36:37], v[56:57]
	s_delay_alu instid0(VALU_DEP_4) | instskip(NEXT) | instid1(VALU_DEP_4)
	v_fmac_f64_e32 v[6:7], v[38:39], v[56:57]
	v_fmac_f64_e32 v[4:5], v[40:41], v[56:57]
	s_and_not1_b32 exec_lo, exec_lo, s7
	s_cbranch_execnz .LBB159_17
; %bb.18:
	s_or_b32 exec_lo, exec_lo, s7
.LBB159_19:
	s_delay_alu instid0(SALU_CYCLE_1) | instskip(NEXT) | instid1(SALU_CYCLE_1)
	s_or_b32 exec_lo, exec_lo, s6
	s_mov_b32 s6, exec_lo
	v_cmpx_lt_u64_e32 0xbf, v[28:29]
	s_cbranch_execz .LBB159_23
; %bb.20:
	v_lshl_add_u64 v[28:29], v[24:25], 2, s[8:9]
	s_mov_b32 s7, 0
	s_delay_alu instid0(VALU_DEP_1)
	v_add_nc_u64_e32 v[28:29], 0x200, v[28:29]
.LBB159_21:                             ; =>This Inner Loop Header: Depth=1
	s_clause 0x2
	global_load_b32 v11, v[28:29], off offset:-512
	global_load_b32 v72, v[28:29], off offset:-256
	global_load_b32 v96, v[28:29], off
	s_clause 0x3
	global_load_b128 v[30:33], v[26:27], off
	global_load_b128 v[34:37], v[26:27], off offset:16
	global_load_b128 v[38:41], v[26:27], off offset:32
	;; [unrolled: 1-line block ×3, first 2 shown]
	global_load_b32 v118, v[28:29], off offset:256
	v_add_nc_u64_e32 v[24:25], 0x100, v[24:25]
	s_wait_xcnt 0x0
	v_add_nc_u64_e32 v[28:29], 0x400, v[28:29]
	s_delay_alu instid0(VALU_DEP_2)
	v_cmp_ge_i64_e32 vcc_lo, v[24:25], v[18:19]
	s_or_b32 s7, vcc_lo, s7
	s_wait_loadcnt 0x7
	v_subrev_nc_u32_e32 v11, s12, v11
	s_wait_loadcnt 0x4
	v_cvt_f64_f32_e32 v[102:103], v30
	s_wait_loadcnt 0x3
	v_cvt_f64_f32_e32 v[104:105], v34
	v_lshlrev_b32_e32 v46, 2, v11
	v_subrev_nc_u32_e32 v11, s12, v72
	s_wait_loadcnt 0x2
	v_cvt_f64_f32_e32 v[106:107], v38
	s_wait_loadcnt 0x1
	v_cvt_f64_f32_e32 v[108:109], v42
	v_cvt_f64_f32_e32 v[30:31], v31
	v_ashrrev_i32_e32 v47, 31, v46
	v_cvt_f64_f32_e32 v[34:35], v35
	v_cvt_f64_f32_e32 v[38:39], v39
	;; [unrolled: 1-line block ×3, first 2 shown]
	s_wait_kmcnt 0x0
	v_lshl_add_u64 v[70:71], v[46:47], 3, s[4:5]
	s_clause 0x1
	global_load_b128 v[46:49], v[70:71], off
	global_load_b128 v[50:53], v[70:71], off offset:16
	s_clause 0x3
	global_load_b128 v[54:57], v[26:27], off offset:4096
	global_load_b128 v[58:61], v[26:27], off offset:4112
	;; [unrolled: 1-line block ×4, first 2 shown]
	s_wait_xcnt 0x4
	v_lshlrev_b32_e32 v70, 2, v11
	v_subrev_nc_u32_e32 v11, s12, v96
	s_delay_alu instid0(VALU_DEP_2) | instskip(NEXT) | instid1(VALU_DEP_1)
	v_ashrrev_i32_e32 v71, 31, v70
	v_lshl_add_u64 v[94:95], v[70:71], 3, s[4:5]
	s_clause 0x1
	global_load_b128 v[70:73], v[94:95], off
	global_load_b128 v[74:77], v[94:95], off offset:16
	s_clause 0x3
	global_load_b128 v[78:81], v[26:27], off offset:8192
	global_load_b128 v[82:85], v[26:27], off offset:8208
	global_load_b128 v[86:89], v[26:27], off offset:8224
	global_load_b128 v[90:93], v[26:27], off offset:8240
	s_wait_xcnt 0x4
	v_lshlrev_b32_e32 v94, 2, v11
	s_wait_loadcnt 0xc
	v_subrev_nc_u32_e32 v11, s12, v118
	s_delay_alu instid0(VALU_DEP_2) | instskip(NEXT) | instid1(VALU_DEP_1)
	v_ashrrev_i32_e32 v95, 31, v94
	v_lshl_add_u64 v[98:99], v[94:95], 3, s[4:5]
	s_clause 0x1
	global_load_b128 v[94:97], v[98:99], off
	global_load_b128 v[98:101], v[98:99], off offset:16
	s_wait_loadcnt 0xd
	v_fmac_f64_e32 v[12:13], v[102:103], v[46:47]
	v_fmac_f64_e32 v[14:15], v[104:105], v[46:47]
	;; [unrolled: 1-line block ×4, first 2 shown]
	s_clause 0x3
	global_load_b128 v[102:105], v[26:27], off offset:12336
	global_load_b128 v[106:109], v[26:27], off offset:12304
	global_load_b128 v[110:113], v[26:27], off offset:12288
	global_load_b128 v[114:117], v[26:27], off offset:12320
	v_cvt_f64_f32_e32 v[46:47], v40
	v_cvt_f64_f32_e32 v[40:41], v41
	s_wait_xcnt 0x0
	v_add_nc_u64_e32 v[26:27], 0x4000, v[26:27]
	v_fmac_f64_e32 v[12:13], v[30:31], v[48:49]
	v_fmac_f64_e32 v[14:15], v[34:35], v[48:49]
	;; [unrolled: 1-line block ×4, first 2 shown]
	v_cvt_f64_f32_e32 v[34:35], v32
	v_cvt_f64_f32_e32 v[38:39], v36
	;; [unrolled: 1-line block ×3, first 2 shown]
	v_lshlrev_b32_e32 v30, 2, v11
	v_cvt_f64_f32_e32 v[42:43], v33
	v_cvt_f64_f32_e32 v[36:37], v37
	;; [unrolled: 1-line block ×3, first 2 shown]
	s_delay_alu instid0(VALU_DEP_4) | instskip(NEXT) | instid1(VALU_DEP_1)
	v_ashrrev_i32_e32 v31, 31, v30
	v_lshl_add_u64 v[118:119], v[30:31], 3, s[4:5]
	global_load_b128 v[30:33], v[118:119], off
	s_wait_loadcnt 0x11
	v_fmac_f64_e32 v[6:7], v[46:47], v[50:51]
	s_wait_loadcnt 0xf
	v_cvt_f64_f32_e32 v[46:47], v58
	v_fmac_f64_e32 v[12:13], v[34:35], v[50:51]
	v_fmac_f64_e32 v[14:15], v[38:39], v[50:51]
	;; [unrolled: 1-line block ×3, first 2 shown]
	v_cvt_f64_f32_e32 v[38:39], v54
	s_wait_loadcnt 0xe
	v_cvt_f64_f32_e32 v[48:49], v62
	s_wait_loadcnt 0xd
	v_cvt_f64_f32_e32 v[50:51], v66
	v_fmac_f64_e32 v[6:7], v[40:41], v[52:53]
	v_cvt_f64_f32_e32 v[40:41], v55
	v_fmac_f64_e32 v[12:13], v[42:43], v[52:53]
	v_fmac_f64_e32 v[14:15], v[36:37], v[52:53]
	;; [unrolled: 1-line block ×3, first 2 shown]
	v_cvt_f64_f32_e32 v[42:43], v59
	v_cvt_f64_f32_e32 v[44:45], v63
	;; [unrolled: 1-line block ×3, first 2 shown]
	global_load_b128 v[34:37], v[118:119], off offset:16
	s_wait_loadcnt 0xd
	v_fmac_f64_e32 v[6:7], v[48:49], v[70:71]
	v_cvt_f64_f32_e32 v[48:49], v64
	v_fmac_f64_e32 v[12:13], v[38:39], v[70:71]
	v_fmac_f64_e32 v[14:15], v[46:47], v[70:71]
	;; [unrolled: 1-line block ×3, first 2 shown]
	v_cvt_f64_f32_e32 v[38:39], v56
	v_cvt_f64_f32_e32 v[46:47], v60
	;; [unrolled: 1-line block ×3, first 2 shown]
	v_fmac_f64_e32 v[6:7], v[44:45], v[72:73]
	v_cvt_f64_f32_e32 v[44:45], v65
	v_fmac_f64_e32 v[12:13], v[40:41], v[72:73]
	v_fmac_f64_e32 v[14:15], v[42:43], v[72:73]
	v_fmac_f64_e32 v[4:5], v[52:53], v[72:73]
	v_cvt_f64_f32_e32 v[40:41], v57
	v_cvt_f64_f32_e32 v[42:43], v61
	;; [unrolled: 1-line block ×3, first 2 shown]
	s_wait_loadcnt 0xc
	v_fmac_f64_e32 v[6:7], v[48:49], v[74:75]
	s_wait_loadcnt 0x9
	v_cvt_f64_f32_e32 v[48:49], v86
	v_fmac_f64_e32 v[12:13], v[38:39], v[74:75]
	v_fmac_f64_e32 v[14:15], v[46:47], v[74:75]
	;; [unrolled: 1-line block ×3, first 2 shown]
	v_cvt_f64_f32_e32 v[38:39], v78
	v_cvt_f64_f32_e32 v[46:47], v82
	s_wait_loadcnt 0x8
	v_cvt_f64_f32_e32 v[50:51], v90
	v_fmac_f64_e32 v[6:7], v[44:45], v[76:77]
	v_cvt_f64_f32_e32 v[44:45], v87
	v_fmac_f64_e32 v[12:13], v[40:41], v[76:77]
	v_fmac_f64_e32 v[14:15], v[42:43], v[76:77]
	;; [unrolled: 1-line block ×3, first 2 shown]
	v_cvt_f64_f32_e32 v[40:41], v79
	v_cvt_f64_f32_e32 v[42:43], v83
	;; [unrolled: 1-line block ×3, first 2 shown]
	s_wait_loadcnt 0x7
	v_fmac_f64_e32 v[6:7], v[48:49], v[94:95]
	v_cvt_f64_f32_e32 v[48:49], v88
	v_fmac_f64_e32 v[12:13], v[38:39], v[94:95]
	v_fmac_f64_e32 v[14:15], v[46:47], v[94:95]
	;; [unrolled: 1-line block ×3, first 2 shown]
	v_cvt_f64_f32_e32 v[38:39], v80
	v_cvt_f64_f32_e32 v[46:47], v84
	;; [unrolled: 1-line block ×3, first 2 shown]
	v_fmac_f64_e32 v[6:7], v[44:45], v[96:97]
	v_cvt_f64_f32_e32 v[44:45], v89
	v_fmac_f64_e32 v[12:13], v[40:41], v[96:97]
	v_fmac_f64_e32 v[14:15], v[42:43], v[96:97]
	;; [unrolled: 1-line block ×3, first 2 shown]
	v_cvt_f64_f32_e32 v[40:41], v81
	v_cvt_f64_f32_e32 v[42:43], v85
	;; [unrolled: 1-line block ×3, first 2 shown]
	s_wait_loadcnt 0x6
	v_fmac_f64_e32 v[6:7], v[48:49], v[98:99]
	v_fmac_f64_e32 v[12:13], v[38:39], v[98:99]
	;; [unrolled: 1-line block ×4, first 2 shown]
	s_wait_loadcnt 0x3
	v_cvt_f64_f32_e32 v[38:39], v110
	v_cvt_f64_f32_e32 v[46:47], v106
	s_wait_loadcnt 0x2
	v_cvt_f64_f32_e32 v[48:49], v114
	v_cvt_f64_f32_e32 v[50:51], v102
	v_fmac_f64_e32 v[6:7], v[44:45], v[100:101]
	v_cvt_f64_f32_e32 v[44:45], v115
	v_fmac_f64_e32 v[12:13], v[40:41], v[100:101]
	v_fmac_f64_e32 v[14:15], v[42:43], v[100:101]
	;; [unrolled: 1-line block ×3, first 2 shown]
	v_cvt_f64_f32_e32 v[40:41], v111
	v_cvt_f64_f32_e32 v[42:43], v107
	;; [unrolled: 1-line block ×3, first 2 shown]
	s_wait_loadcnt 0x1
	v_fmac_f64_e32 v[6:7], v[48:49], v[30:31]
	v_cvt_f64_f32_e32 v[48:49], v104
	v_fmac_f64_e32 v[12:13], v[38:39], v[30:31]
	v_fmac_f64_e32 v[14:15], v[46:47], v[30:31]
	;; [unrolled: 1-line block ×3, first 2 shown]
	v_cvt_f64_f32_e32 v[30:31], v112
	v_cvt_f64_f32_e32 v[38:39], v108
	;; [unrolled: 1-line block ×3, first 2 shown]
	v_fmac_f64_e32 v[6:7], v[44:45], v[32:33]
	v_cvt_f64_f32_e32 v[44:45], v105
	v_fmac_f64_e32 v[12:13], v[40:41], v[32:33]
	v_fmac_f64_e32 v[14:15], v[42:43], v[32:33]
	;; [unrolled: 1-line block ×3, first 2 shown]
	v_cvt_f64_f32_e32 v[32:33], v113
	v_cvt_f64_f32_e32 v[40:41], v109
	;; [unrolled: 1-line block ×3, first 2 shown]
	s_wait_loadcnt 0x0
	v_fmac_f64_e32 v[6:7], v[46:47], v[34:35]
	v_fmac_f64_e32 v[12:13], v[30:31], v[34:35]
	;; [unrolled: 1-line block ×4, first 2 shown]
	s_delay_alu instid0(VALU_DEP_4) | instskip(NEXT) | instid1(VALU_DEP_4)
	v_fmac_f64_e32 v[6:7], v[42:43], v[36:37]
	v_fmac_f64_e32 v[12:13], v[32:33], v[36:37]
	s_delay_alu instid0(VALU_DEP_4) | instskip(NEXT) | instid1(VALU_DEP_4)
	v_fmac_f64_e32 v[14:15], v[40:41], v[36:37]
	v_fmac_f64_e32 v[4:5], v[44:45], v[36:37]
	s_and_not1_b32 exec_lo, exec_lo, s7
	s_cbranch_execnz .LBB159_21
; %bb.22:
	s_or_b32 exec_lo, exec_lo, s7
.LBB159_23:
	s_delay_alu instid0(SALU_CYCLE_1)
	s_or_b32 exec_lo, exec_lo, s6
.LBB159_24:
	s_delay_alu instid0(SALU_CYCLE_1)
	s_or_b32 exec_lo, exec_lo, s3
	s_cbranch_execz .LBB159_26
	s_branch .LBB159_37
.LBB159_25:
                                        ; implicit-def: $vgpr4_vgpr5
                                        ; implicit-def: $vgpr6_vgpr7
                                        ; implicit-def: $vgpr14_vgpr15
                                        ; implicit-def: $vgpr12_vgpr13
.LBB159_26:
	v_mov_b64_e32 v[4:5], 0
	v_mov_b64_e32 v[6:7], 0
	;; [unrolled: 1-line block ×4, first 2 shown]
	s_and_saveexec_b32 s3, s2
	s_cbranch_execz .LBB159_36
; %bb.27:
	v_dual_mov_b32 v5, v1 :: v_dual_bitop2_b32 v4, 64, v0 bitop3:0x54
	v_sub_nc_u64_e32 v[6:7], s[12:13], v[0:1]
	v_not_b32_e32 v13, v23
	v_not_b32_e32 v12, v22
	v_mov_b64_e32 v[14:15], 0
	v_sub_nc_u64_e64 v[4:5], v[4:5], s[12:13]
	v_mov_b32_e32 v25, 0
	s_mov_b32 s2, exec_lo
	v_add_nc_u64_e32 v[6:7], v[6:7], v[12:13]
	v_mov_b64_e32 v[12:13], 0
	s_delay_alu instid0(VALU_DEP_4) | instskip(NEXT) | instid1(VALU_DEP_1)
	v_add_nc_u64_e32 v[4:5], v[4:5], v[22:23]
	v_max_i64 v[4:5], v[4:5], v[18:19]
	s_delay_alu instid0(VALU_DEP_1) | instskip(SKIP_2) | instid1(VALU_DEP_3)
	v_add_nc_u64_e32 v[22:23], v[6:7], v[4:5]
	v_mov_b64_e32 v[6:7], 0
	v_mov_b64_e32 v[4:5], 0
	v_and_b32_e32 v24, 0xc0, v22
	s_delay_alu instid0(VALU_DEP_1)
	v_cmpx_ne_u64_e32 0xc0, v[24:25]
	s_cbranch_execz .LBB159_31
; %bb.28:
	v_lshrrev_b32_e32 v1, 6, v22
	v_mov_b64_e32 v[4:5], 0
	v_mov_b64_e32 v[6:7], 0
	;; [unrolled: 1-line block ×4, first 2 shown]
	v_add_nc_u32_e32 v1, 1, v1
	v_lshl_add_u64 v[26:27], v[16:17], 2, s[8:9]
	s_mov_b32 s6, 0
	s_delay_alu instid0(VALU_DEP_2) | instskip(NEXT) | instid1(VALU_DEP_1)
	v_and_b32_e32 v24, 3, v1
	v_sub_nc_u64_e32 v[24:25], 0, v[24:25]
.LBB159_29:                             ; =>This Inner Loop Header: Depth=1
	global_load_b32 v1, v[26:27], off
	s_clause 0x1
	global_load_b128 v[28:31], v[20:21], off
	global_load_b128 v[32:35], v[20:21], off offset:16
	v_add_nc_u64_e32 v[24:25], 1, v[24:25]
	v_add_nc_u64_e32 v[16:17], 64, v[16:17]
	s_wait_xcnt 0x2
	v_add_nc_u64_e32 v[26:27], 0x100, v[26:27]
	s_delay_alu instid0(VALU_DEP_3)
	v_cmp_eq_u64_e32 vcc_lo, 0, v[24:25]
	s_or_b32 s6, vcc_lo, s6
	s_wait_loadcnt 0x2
	v_subrev_nc_u32_e32 v1, s12, v1
	s_wait_loadcnt 0x1
	v_cvt_f64_f32_e32 v[54:55], v30
	v_cvt_f64_f32_e32 v[30:31], v31
	s_wait_loadcnt 0x0
	v_cvt_f64_f32_e32 v[56:57], v32
	v_cvt_f64_f32_e32 v[32:33], v33
	v_lshlrev_b32_e32 v36, 2, v1
	v_cvt_f64_f32_e32 v[58:59], v34
	v_cvt_f64_f32_e32 v[34:35], v35
	s_delay_alu instid0(VALU_DEP_3) | instskip(SKIP_1) | instid1(VALU_DEP_1)
	v_ashrrev_i32_e32 v37, 31, v36
	s_wait_kmcnt 0x0
	v_lshl_add_u64 v[52:53], v[36:37], 3, s[4:5]
	s_clause 0x1
	global_load_b128 v[36:39], v[52:53], off
	global_load_b128 v[40:43], v[52:53], off offset:16
	s_clause 0x1
	global_load_b128 v[44:47], v[20:21], off offset:32
	global_load_b128 v[48:51], v[20:21], off offset:48
	s_wait_xcnt 0x2
	v_cvt_f64_f32_e32 v[52:53], v28
	v_cvt_f64_f32_e32 v[28:29], v29
	s_wait_xcnt 0x0
	v_add_nc_u64_e32 v[20:21], 0x1000, v[20:21]
	s_wait_loadcnt 0x3
	s_delay_alu instid0(VALU_DEP_3) | instskip(NEXT) | instid1(VALU_DEP_3)
	v_fmac_f64_e32 v[12:13], v[52:53], v[36:37]
	v_fmac_f64_e32 v[14:15], v[28:29], v[36:37]
	;; [unrolled: 1-line block ×4, first 2 shown]
	s_wait_loadcnt 0x1
	v_cvt_f64_f32_e32 v[28:29], v44
	v_cvt_f64_f32_e32 v[30:31], v45
	;; [unrolled: 1-line block ×4, first 2 shown]
	s_wait_loadcnt 0x0
	v_cvt_f64_f32_e32 v[46:47], v51
	v_fmac_f64_e32 v[12:13], v[56:57], v[38:39]
	v_fmac_f64_e32 v[14:15], v[32:33], v[38:39]
	;; [unrolled: 1-line block ×4, first 2 shown]
	v_cvt_f64_f32_e32 v[32:33], v48
	v_cvt_f64_f32_e32 v[34:35], v49
	;; [unrolled: 1-line block ×3, first 2 shown]
	v_fmac_f64_e32 v[12:13], v[28:29], v[40:41]
	v_fmac_f64_e32 v[14:15], v[30:31], v[40:41]
	;; [unrolled: 1-line block ×4, first 2 shown]
	s_delay_alu instid0(VALU_DEP_4) | instskip(NEXT) | instid1(VALU_DEP_4)
	v_fmac_f64_e32 v[12:13], v[32:33], v[42:43]
	v_fmac_f64_e32 v[14:15], v[34:35], v[42:43]
	s_delay_alu instid0(VALU_DEP_4) | instskip(NEXT) | instid1(VALU_DEP_4)
	v_fmac_f64_e32 v[6:7], v[38:39], v[42:43]
	v_fmac_f64_e32 v[4:5], v[46:47], v[42:43]
	s_and_not1_b32 exec_lo, exec_lo, s6
	s_cbranch_execnz .LBB159_29
; %bb.30:
	s_or_b32 exec_lo, exec_lo, s6
.LBB159_31:
	s_delay_alu instid0(SALU_CYCLE_1) | instskip(NEXT) | instid1(SALU_CYCLE_1)
	s_or_b32 exec_lo, exec_lo, s2
	s_mov_b32 s2, exec_lo
	v_cmpx_lt_u64_e32 0xbf, v[22:23]
	s_cbranch_execz .LBB159_35
; %bb.32:
	v_lshl_add_u64 v[22:23], v[16:17], 2, s[8:9]
	s_mov_b32 s6, 0
	s_delay_alu instid0(VALU_DEP_1)
	v_add_nc_u64_e32 v[22:23], 0x200, v[22:23]
.LBB159_33:                             ; =>This Inner Loop Header: Depth=1
	s_clause 0x2
	global_load_b32 v1, v[22:23], off offset:-512
	global_load_b32 v11, v[22:23], off offset:-256
	global_load_b32 v78, v[22:23], off
	global_load_b128 v[24:27], v[20:21], off
	global_load_b32 v108, v[22:23], off offset:256
	v_add_nc_u64_e32 v[16:17], 0x100, v[16:17]
	s_wait_xcnt 0x0
	v_add_nc_u64_e32 v[22:23], 0x400, v[22:23]
	s_delay_alu instid0(VALU_DEP_2)
	v_cmp_ge_i64_e32 vcc_lo, v[16:17], v[18:19]
	s_or_b32 s6, vcc_lo, s6
	s_wait_loadcnt 0x4
	v_subrev_nc_u32_e32 v1, s12, v1
	s_wait_loadcnt 0x1
	v_cvt_f64_f32_e32 v[90:91], v24
	v_cvt_f64_f32_e32 v[92:93], v25
	s_delay_alu instid0(VALU_DEP_3) | instskip(SKIP_3) | instid1(VALU_DEP_4)
	v_lshlrev_b32_e32 v28, 2, v1
	v_subrev_nc_u32_e32 v1, s12, v11
	v_cvt_f64_f32_e32 v[94:95], v26
	v_cvt_f64_f32_e32 v[96:97], v27
	v_ashrrev_i32_e32 v29, 31, v28
	s_wait_kmcnt 0x0
	s_delay_alu instid0(VALU_DEP_1)
	v_lshl_add_u64 v[52:53], v[28:29], 3, s[4:5]
	global_load_b128 v[28:31], v[20:21], off offset:16
	global_load_b128 v[32:35], v[52:53], off
	s_clause 0x1
	global_load_b128 v[36:39], v[20:21], off offset:32
	global_load_b128 v[40:43], v[20:21], off offset:48
	;; [unrolled: 1-line block ×4, first 2 shown]
	s_wait_xcnt 0x1
	v_lshlrev_b32_e32 v52, 2, v1
	v_subrev_nc_u32_e32 v1, s12, v78
	s_delay_alu instid0(VALU_DEP_2) | instskip(NEXT) | instid1(VALU_DEP_1)
	v_ashrrev_i32_e32 v53, 31, v52
	v_lshl_add_u64 v[76:77], v[52:53], 3, s[4:5]
	global_load_b128 v[52:55], v[20:21], off offset:4112
	global_load_b128 v[56:59], v[76:77], off
	s_clause 0x1
	global_load_b128 v[60:63], v[20:21], off offset:4128
	global_load_b128 v[64:67], v[20:21], off offset:4144
	;; [unrolled: 1-line block ×4, first 2 shown]
	s_wait_xcnt 0x1
	v_lshlrev_b32_e32 v76, 2, v1
	s_wait_loadcnt 0xc
	v_subrev_nc_u32_e32 v1, s12, v108
	s_delay_alu instid0(VALU_DEP_2) | instskip(NEXT) | instid1(VALU_DEP_1)
	v_ashrrev_i32_e32 v77, 31, v76
	v_lshl_add_u64 v[88:89], v[76:77], 3, s[4:5]
	global_load_b128 v[76:79], v[20:21], off offset:8208
	global_load_b128 v[80:83], v[88:89], off
	s_clause 0x1
	global_load_b128 v[84:87], v[20:21], off offset:8224
	global_load_b128 v[24:27], v[20:21], off offset:8240
	s_wait_loadcnt 0xf
	v_cvt_f64_f32_e32 v[98:99], v28
	v_cvt_f64_f32_e32 v[100:101], v29
	;; [unrolled: 1-line block ×4, first 2 shown]
	global_load_b128 v[28:31], v[88:89], off offset:16
	s_wait_loadcnt 0xf
	v_fmac_f64_e32 v[12:13], v[90:91], v[32:33]
	v_fmac_f64_e32 v[14:15], v[92:93], v[32:33]
	;; [unrolled: 1-line block ×4, first 2 shown]
	s_wait_loadcnt 0xe
	v_cvt_f64_f32_e32 v[92:93], v36
	v_lshlrev_b32_e32 v36, 2, v1
	v_cvt_f64_f32_e32 v[94:95], v37
	v_cvt_f64_f32_e32 v[96:97], v38
	;; [unrolled: 1-line block ×3, first 2 shown]
	s_delay_alu instid0(VALU_DEP_4) | instskip(NEXT) | instid1(VALU_DEP_1)
	v_ashrrev_i32_e32 v37, 31, v36
	v_lshl_add_u64 v[108:109], v[36:37], 3, s[4:5]
	global_load_b128 v[36:39], v[108:109], off
	global_load_b128 v[88:91], v[20:21], off offset:12288
	v_fmac_f64_e32 v[12:13], v[98:99], v[34:35]
	v_fmac_f64_e32 v[14:15], v[100:101], v[34:35]
	;; [unrolled: 1-line block ×4, first 2 shown]
	global_load_b128 v[32:35], v[20:21], off offset:12304
	s_wait_loadcnt 0x10
	v_cvt_f64_f32_e32 v[98:99], v40
	v_cvt_f64_f32_e32 v[100:101], v41
	;; [unrolled: 1-line block ×4, first 2 shown]
	global_load_b128 v[40:43], v[20:21], off offset:12320
	s_wait_loadcnt 0x10
	v_fmac_f64_e32 v[12:13], v[92:93], v[44:45]
	v_fmac_f64_e32 v[14:15], v[94:95], v[44:45]
	;; [unrolled: 1-line block ×4, first 2 shown]
	s_wait_loadcnt 0xf
	v_cvt_f64_f32_e32 v[92:93], v48
	v_cvt_f64_f32_e32 v[94:95], v49
	;; [unrolled: 1-line block ×4, first 2 shown]
	global_load_b128 v[48:51], v[108:109], off offset:16
	v_fmac_f64_e32 v[12:13], v[98:99], v[46:47]
	v_fmac_f64_e32 v[14:15], v[100:101], v[46:47]
	;; [unrolled: 1-line block ×4, first 2 shown]
	global_load_b128 v[44:47], v[20:21], off offset:12336
	s_wait_loadcnt 0x10
	v_cvt_f64_f32_e32 v[98:99], v52
	v_cvt_f64_f32_e32 v[52:53], v53
	;; [unrolled: 1-line block ×4, first 2 shown]
	s_wait_xcnt 0x0
	v_add_nc_u64_e32 v[20:21], 0x4000, v[20:21]
	s_wait_loadcnt 0xf
	v_fmac_f64_e32 v[12:13], v[92:93], v[56:57]
	v_fmac_f64_e32 v[14:15], v[94:95], v[56:57]
	;; [unrolled: 1-line block ×4, first 2 shown]
	s_wait_loadcnt 0xe
	v_cvt_f64_f32_e32 v[56:57], v60
	v_cvt_f64_f32_e32 v[60:61], v61
	;; [unrolled: 1-line block ×4, first 2 shown]
	v_fmac_f64_e32 v[12:13], v[98:99], v[58:59]
	v_fmac_f64_e32 v[14:15], v[52:53], v[58:59]
	;; [unrolled: 1-line block ×4, first 2 shown]
	s_wait_loadcnt 0xd
	v_cvt_f64_f32_e32 v[52:53], v64
	v_cvt_f64_f32_e32 v[54:55], v65
	;; [unrolled: 1-line block ×4, first 2 shown]
	s_wait_loadcnt 0xb
	v_cvt_f64_f32_e32 v[66:67], v75
	v_fmac_f64_e32 v[12:13], v[56:57], v[68:69]
	v_fmac_f64_e32 v[14:15], v[60:61], v[68:69]
	;; [unrolled: 1-line block ×4, first 2 shown]
	v_cvt_f64_f32_e32 v[56:57], v72
	v_cvt_f64_f32_e32 v[60:61], v73
	;; [unrolled: 1-line block ×3, first 2 shown]
	v_fmac_f64_e32 v[12:13], v[52:53], v[70:71]
	v_fmac_f64_e32 v[14:15], v[54:55], v[70:71]
	;; [unrolled: 1-line block ×4, first 2 shown]
	s_wait_loadcnt 0xa
	v_cvt_f64_f32_e32 v[52:53], v76
	v_cvt_f64_f32_e32 v[54:55], v77
	;; [unrolled: 1-line block ×4, first 2 shown]
	s_wait_loadcnt 0x9
	v_fmac_f64_e32 v[12:13], v[56:57], v[80:81]
	v_fmac_f64_e32 v[14:15], v[60:61], v[80:81]
	;; [unrolled: 1-line block ×4, first 2 shown]
	s_wait_loadcnt 0x8
	v_cvt_f64_f32_e32 v[56:57], v84
	v_cvt_f64_f32_e32 v[60:61], v85
	;; [unrolled: 1-line block ×4, first 2 shown]
	v_fmac_f64_e32 v[12:13], v[52:53], v[82:83]
	v_fmac_f64_e32 v[14:15], v[54:55], v[82:83]
	;; [unrolled: 1-line block ×4, first 2 shown]
	s_wait_loadcnt 0x7
	v_cvt_f64_f32_e32 v[52:53], v24
	v_cvt_f64_f32_e32 v[24:25], v25
	;; [unrolled: 1-line block ×4, first 2 shown]
	s_wait_loadcnt 0x6
	v_fmac_f64_e32 v[12:13], v[56:57], v[28:29]
	v_fmac_f64_e32 v[14:15], v[60:61], v[28:29]
	;; [unrolled: 1-line block ×4, first 2 shown]
	s_wait_loadcnt 0x4
	v_cvt_f64_f32_e32 v[28:29], v88
	v_cvt_f64_f32_e32 v[56:57], v89
	;; [unrolled: 1-line block ×4, first 2 shown]
	v_fmac_f64_e32 v[12:13], v[52:53], v[30:31]
	v_fmac_f64_e32 v[14:15], v[24:25], v[30:31]
	v_fmac_f64_e32 v[6:7], v[54:55], v[30:31]
	v_fmac_f64_e32 v[4:5], v[26:27], v[30:31]
	s_wait_loadcnt 0x3
	v_cvt_f64_f32_e32 v[24:25], v32
	v_cvt_f64_f32_e32 v[26:27], v33
	;; [unrolled: 1-line block ×4, first 2 shown]
	s_wait_loadcnt 0x2
	v_cvt_f64_f32_e32 v[34:35], v41
	v_fmac_f64_e32 v[12:13], v[28:29], v[36:37]
	v_fmac_f64_e32 v[14:15], v[56:57], v[36:37]
	v_fmac_f64_e32 v[6:7], v[58:59], v[36:37]
	v_fmac_f64_e32 v[4:5], v[60:61], v[36:37]
	v_cvt_f64_f32_e32 v[28:29], v40
	v_cvt_f64_f32_e32 v[36:37], v42
	;; [unrolled: 1-line block ×3, first 2 shown]
	v_fmac_f64_e32 v[12:13], v[24:25], v[38:39]
	v_fmac_f64_e32 v[14:15], v[26:27], v[38:39]
	;; [unrolled: 1-line block ×4, first 2 shown]
	s_wait_loadcnt 0x0
	v_cvt_f64_f32_e32 v[24:25], v44
	v_cvt_f64_f32_e32 v[26:27], v45
	;; [unrolled: 1-line block ×4, first 2 shown]
	v_fmac_f64_e32 v[12:13], v[28:29], v[48:49]
	v_fmac_f64_e32 v[14:15], v[34:35], v[48:49]
	;; [unrolled: 1-line block ×4, first 2 shown]
	s_delay_alu instid0(VALU_DEP_4) | instskip(NEXT) | instid1(VALU_DEP_4)
	v_fmac_f64_e32 v[12:13], v[24:25], v[50:51]
	v_fmac_f64_e32 v[14:15], v[26:27], v[50:51]
	s_delay_alu instid0(VALU_DEP_4) | instskip(NEXT) | instid1(VALU_DEP_4)
	v_fmac_f64_e32 v[6:7], v[30:31], v[50:51]
	v_fmac_f64_e32 v[4:5], v[32:33], v[50:51]
	s_and_not1_b32 exec_lo, exec_lo, s6
	s_cbranch_execnz .LBB159_33
; %bb.34:
	s_or_b32 exec_lo, exec_lo, s6
.LBB159_35:
	s_delay_alu instid0(SALU_CYCLE_1)
	s_or_b32 exec_lo, exec_lo, s2
.LBB159_36:
	s_delay_alu instid0(SALU_CYCLE_1)
	s_or_b32 exec_lo, exec_lo, s3
.LBB159_37:
	v_mbcnt_lo_u32_b32 v1, -1, 0
	s_delay_alu instid0(VALU_DEP_1) | instskip(NEXT) | instid1(VALU_DEP_1)
	v_or_b32_e32 v11, 32, v1
	v_cmp_gt_i32_e32 vcc_lo, 32, v11
	v_cndmask_b32_e32 v11, v1, v11, vcc_lo
	s_delay_alu instid0(VALU_DEP_1)
	v_lshlrev_b32_e32 v11, 2, v11
	ds_bpermute_b32 v16, v11, v12
	ds_bpermute_b32 v17, v11, v13
	s_wait_dscnt 0x0
	v_add_f64_e32 v[12:13], v[12:13], v[16:17]
	ds_bpermute_b32 v22, v11, v4
	ds_bpermute_b32 v23, v11, v5
	;; [unrolled: 1-line block ×6, first 2 shown]
	v_xor_b32_e32 v11, 16, v1
	s_delay_alu instid0(VALU_DEP_1)
	v_cmp_gt_i32_e32 vcc_lo, 32, v11
	s_wait_dscnt 0x4
	v_add_f64_e32 v[4:5], v[4:5], v[22:23]
	s_wait_dscnt 0x2
	v_add_f64_e32 v[14:15], v[14:15], v[18:19]
	s_wait_dscnt 0x0
	v_dual_add_f64 v[6:7], v[6:7], v[20:21] :: v_dual_cndmask_b32 v11, v1, v11, vcc_lo
	s_delay_alu instid0(VALU_DEP_1)
	v_lshlrev_b32_e32 v11, 2, v11
	ds_bpermute_b32 v16, v11, v12
	ds_bpermute_b32 v17, v11, v13
	s_wait_dscnt 0x0
	v_add_f64_e32 v[12:13], v[12:13], v[16:17]
	ds_bpermute_b32 v18, v11, v14
	ds_bpermute_b32 v19, v11, v15
	ds_bpermute_b32 v20, v11, v6
	ds_bpermute_b32 v21, v11, v7
	ds_bpermute_b32 v22, v11, v4
	ds_bpermute_b32 v23, v11, v5
	v_xor_b32_e32 v11, 8, v1
	s_delay_alu instid0(VALU_DEP_1)
	v_cmp_gt_i32_e32 vcc_lo, 32, v11
	s_wait_dscnt 0x4
	v_add_f64_e32 v[14:15], v[14:15], v[18:19]
	s_wait_dscnt 0x2
	v_dual_add_f64 v[6:7], v[6:7], v[20:21] :: v_dual_cndmask_b32 v11, v1, v11, vcc_lo
	s_wait_dscnt 0x0
	v_add_f64_e32 v[4:5], v[4:5], v[22:23]
	s_delay_alu instid0(VALU_DEP_2)
	v_lshlrev_b32_e32 v11, 2, v11
	ds_bpermute_b32 v16, v11, v12
	ds_bpermute_b32 v17, v11, v13
	s_wait_dscnt 0x0
	v_add_f64_e32 v[12:13], v[12:13], v[16:17]
	ds_bpermute_b32 v18, v11, v14
	ds_bpermute_b32 v19, v11, v15
	ds_bpermute_b32 v20, v11, v6
	ds_bpermute_b32 v21, v11, v7
	ds_bpermute_b32 v22, v11, v4
	ds_bpermute_b32 v23, v11, v5
	v_xor_b32_e32 v11, 4, v1
	s_delay_alu instid0(VALU_DEP_1)
	v_cmp_gt_i32_e32 vcc_lo, 32, v11
	s_wait_dscnt 0x4
	v_add_f64_e32 v[14:15], v[14:15], v[18:19]
	s_wait_dscnt 0x2
	v_dual_add_f64 v[6:7], v[6:7], v[20:21] :: v_dual_cndmask_b32 v11, v1, v11, vcc_lo
	s_wait_dscnt 0x0
	v_add_f64_e32 v[4:5], v[4:5], v[22:23]
	s_delay_alu instid0(VALU_DEP_2)
	v_lshlrev_b32_e32 v11, 2, v11
	ds_bpermute_b32 v16, v11, v12
	ds_bpermute_b32 v17, v11, v13
	s_wait_dscnt 0x0
	v_add_f64_e32 v[12:13], v[12:13], v[16:17]
	ds_bpermute_b32 v18, v11, v14
	ds_bpermute_b32 v19, v11, v15
	;; [unrolled: 1-line block ×6, first 2 shown]
	s_wait_dscnt 0x4
	v_add_f64_e32 v[16:17], v[14:15], v[18:19]
	s_wait_dscnt 0x2
	v_add_f64_e32 v[6:7], v[6:7], v[20:21]
	s_wait_dscnt 0x0
	v_dual_add_f64 v[18:19], v[4:5], v[22:23] :: v_dual_bitop2_b32 v4, 2, v1 bitop3:0x14
	s_delay_alu instid0(VALU_DEP_1) | instskip(SKIP_1) | instid1(VALU_DEP_1)
	v_cmp_gt_i32_e32 vcc_lo, 32, v4
	v_cndmask_b32_e32 v4, v1, v4, vcc_lo
	v_lshlrev_b32_e32 v11, 2, v4
	ds_bpermute_b32 v4, v11, v12
	ds_bpermute_b32 v5, v11, v13
	;; [unrolled: 1-line block ×8, first 2 shown]
	v_xor_b32_e32 v11, 1, v1
	s_delay_alu instid0(VALU_DEP_1)
	v_cmp_gt_i32_e32 vcc_lo, 32, v11
	s_wait_dscnt 0x6
	v_add_f64_e32 v[14:15], v[12:13], v[4:5]
	v_cndmask_b32_e32 v1, v1, v11, vcc_lo
	v_cmp_eq_u32_e32 vcc_lo, 63, v0
	s_wait_dscnt 0x4
	v_add_f64_e32 v[12:13], v[16:17], v[20:21]
	s_wait_dscnt 0x2
	v_dual_add_f64 v[4:5], v[6:7], v[22:23] :: v_dual_lshlrev_b32 v1, 2, v1
	s_wait_dscnt 0x0
	v_add_f64_e32 v[6:7], v[18:19], v[24:25]
	ds_bpermute_b32 v22, v1, v14
	ds_bpermute_b32 v23, v1, v15
	ds_bpermute_b32 v20, v1, v12
	ds_bpermute_b32 v21, v1, v13
	ds_bpermute_b32 v18, v1, v4
	ds_bpermute_b32 v19, v1, v5
	ds_bpermute_b32 v16, v1, v6
	ds_bpermute_b32 v17, v1, v7
	s_and_b32 exec_lo, exec_lo, vcc_lo
	s_cbranch_execz .LBB159_10
; %bb.38:
	s_wait_dscnt 0x6
	v_add_f64_e32 v[0:1], v[14:15], v[22:23]
	s_wait_dscnt 0x4
	v_dual_add_f64 v[12:13], v[12:13], v[20:21] :: v_dual_lshlrev_b32 v10, 2, v10
	s_wait_dscnt 0x2
	v_add_f64_e32 v[14:15], v[4:5], v[18:19]
	s_wait_dscnt 0x0
	v_add_f64_e32 v[16:17], v[6:7], v[16:17]
	s_load_b64 s[0:1], s[0:1], 0x50
	s_mov_b32 s2, exec_lo
	s_delay_alu instid0(VALU_DEP_4) | instskip(NEXT) | instid1(VALU_DEP_4)
	v_mul_f64_e32 v[4:5], v[2:3], v[0:1]
	v_mul_f64_e32 v[6:7], v[2:3], v[12:13]
	s_delay_alu instid0(VALU_DEP_4) | instskip(NEXT) | instid1(VALU_DEP_4)
	v_mul_f64_e32 v[0:1], v[2:3], v[14:15]
	v_mul_f64_e32 v[2:3], v[2:3], v[16:17]
	v_cmpx_eq_f64_e32 0, v[8:9]
	s_xor_b32 s2, exec_lo, s2
	s_cbranch_execz .LBB159_40
; %bb.39:
	v_ashrrev_i32_e32 v11, 31, v10
	s_wait_kmcnt 0x0
	s_delay_alu instid0(VALU_DEP_1)
	v_lshl_add_u64 v[8:9], v[10:11], 3, s[0:1]
                                        ; implicit-def: $vgpr10
	s_clause 0x1
	global_store_b128 v[8:9], v[4:7], off
	global_store_b128 v[8:9], v[0:3], off offset:16
                                        ; implicit-def: $vgpr8_vgpr9
                                        ; implicit-def: $vgpr4_vgpr5
                                        ; implicit-def: $vgpr0_vgpr1
.LBB159_40:
	s_wait_xcnt 0x0
	s_and_not1_saveexec_b32 s2, s2
	s_cbranch_execz .LBB159_10
; %bb.41:
	v_ashrrev_i32_e32 v11, 31, v10
	s_wait_kmcnt 0x0
	s_delay_alu instid0(VALU_DEP_1)
	v_lshl_add_u64 v[18:19], v[10:11], 3, s[0:1]
	s_clause 0x1
	global_load_b128 v[10:13], v[18:19], off
	global_load_b128 v[14:17], v[18:19], off offset:16
	s_wait_loadcnt 0x1
	v_fmac_f64_e32 v[4:5], v[8:9], v[10:11]
	v_fmac_f64_e32 v[6:7], v[8:9], v[12:13]
	s_wait_loadcnt 0x0
	v_fmac_f64_e32 v[0:1], v[8:9], v[14:15]
	v_fmac_f64_e32 v[2:3], v[8:9], v[16:17]
	s_clause 0x1
	global_store_b128 v[18:19], v[4:7], off
	global_store_b128 v[18:19], v[0:3], off offset:16
	s_sendmsg sendmsg(MSG_DEALLOC_VGPRS)
	s_endpgm
	.section	.rodata,"a",@progbits
	.p2align	6, 0x0
	.amdhsa_kernel _ZN9rocsparseL18bsrxmvn_4x4_kernelILj128ELj64EdlifddEEvT3_20rocsparse_direction_NS_24const_host_device_scalarIT1_EES1_PKS1_PKT2_SA_S7_PKT4_PKT5_S5_PT6_21rocsparse_index_base_b
		.amdhsa_group_segment_fixed_size 0
		.amdhsa_private_segment_fixed_size 0
		.amdhsa_kernarg_size 96
		.amdhsa_user_sgpr_count 2
		.amdhsa_user_sgpr_dispatch_ptr 0
		.amdhsa_user_sgpr_queue_ptr 0
		.amdhsa_user_sgpr_kernarg_segment_ptr 1
		.amdhsa_user_sgpr_dispatch_id 0
		.amdhsa_user_sgpr_kernarg_preload_length 0
		.amdhsa_user_sgpr_kernarg_preload_offset 0
		.amdhsa_user_sgpr_private_segment_size 0
		.amdhsa_wavefront_size32 1
		.amdhsa_uses_dynamic_stack 0
		.amdhsa_enable_private_segment 0
		.amdhsa_system_sgpr_workgroup_id_x 1
		.amdhsa_system_sgpr_workgroup_id_y 0
		.amdhsa_system_sgpr_workgroup_id_z 0
		.amdhsa_system_sgpr_workgroup_info 0
		.amdhsa_system_vgpr_workitem_id 0
		.amdhsa_next_free_vgpr 120
		.amdhsa_next_free_sgpr 14
		.amdhsa_named_barrier_count 0
		.amdhsa_reserve_vcc 1
		.amdhsa_float_round_mode_32 0
		.amdhsa_float_round_mode_16_64 0
		.amdhsa_float_denorm_mode_32 3
		.amdhsa_float_denorm_mode_16_64 3
		.amdhsa_fp16_overflow 0
		.amdhsa_memory_ordered 1
		.amdhsa_forward_progress 1
		.amdhsa_inst_pref_size 39
		.amdhsa_round_robin_scheduling 0
		.amdhsa_exception_fp_ieee_invalid_op 0
		.amdhsa_exception_fp_denorm_src 0
		.amdhsa_exception_fp_ieee_div_zero 0
		.amdhsa_exception_fp_ieee_overflow 0
		.amdhsa_exception_fp_ieee_underflow 0
		.amdhsa_exception_fp_ieee_inexact 0
		.amdhsa_exception_int_div_zero 0
	.end_amdhsa_kernel
	.section	.text._ZN9rocsparseL18bsrxmvn_4x4_kernelILj128ELj64EdlifddEEvT3_20rocsparse_direction_NS_24const_host_device_scalarIT1_EES1_PKS1_PKT2_SA_S7_PKT4_PKT5_S5_PT6_21rocsparse_index_base_b,"axG",@progbits,_ZN9rocsparseL18bsrxmvn_4x4_kernelILj128ELj64EdlifddEEvT3_20rocsparse_direction_NS_24const_host_device_scalarIT1_EES1_PKS1_PKT2_SA_S7_PKT4_PKT5_S5_PT6_21rocsparse_index_base_b,comdat
.Lfunc_end159:
	.size	_ZN9rocsparseL18bsrxmvn_4x4_kernelILj128ELj64EdlifddEEvT3_20rocsparse_direction_NS_24const_host_device_scalarIT1_EES1_PKS1_PKT2_SA_S7_PKT4_PKT5_S5_PT6_21rocsparse_index_base_b, .Lfunc_end159-_ZN9rocsparseL18bsrxmvn_4x4_kernelILj128ELj64EdlifddEEvT3_20rocsparse_direction_NS_24const_host_device_scalarIT1_EES1_PKS1_PKT2_SA_S7_PKT4_PKT5_S5_PT6_21rocsparse_index_base_b
                                        ; -- End function
	.set _ZN9rocsparseL18bsrxmvn_4x4_kernelILj128ELj64EdlifddEEvT3_20rocsparse_direction_NS_24const_host_device_scalarIT1_EES1_PKS1_PKT2_SA_S7_PKT4_PKT5_S5_PT6_21rocsparse_index_base_b.num_vgpr, 120
	.set _ZN9rocsparseL18bsrxmvn_4x4_kernelILj128ELj64EdlifddEEvT3_20rocsparse_direction_NS_24const_host_device_scalarIT1_EES1_PKS1_PKT2_SA_S7_PKT4_PKT5_S5_PT6_21rocsparse_index_base_b.num_agpr, 0
	.set _ZN9rocsparseL18bsrxmvn_4x4_kernelILj128ELj64EdlifddEEvT3_20rocsparse_direction_NS_24const_host_device_scalarIT1_EES1_PKS1_PKT2_SA_S7_PKT4_PKT5_S5_PT6_21rocsparse_index_base_b.numbered_sgpr, 14
	.set _ZN9rocsparseL18bsrxmvn_4x4_kernelILj128ELj64EdlifddEEvT3_20rocsparse_direction_NS_24const_host_device_scalarIT1_EES1_PKS1_PKT2_SA_S7_PKT4_PKT5_S5_PT6_21rocsparse_index_base_b.num_named_barrier, 0
	.set _ZN9rocsparseL18bsrxmvn_4x4_kernelILj128ELj64EdlifddEEvT3_20rocsparse_direction_NS_24const_host_device_scalarIT1_EES1_PKS1_PKT2_SA_S7_PKT4_PKT5_S5_PT6_21rocsparse_index_base_b.private_seg_size, 0
	.set _ZN9rocsparseL18bsrxmvn_4x4_kernelILj128ELj64EdlifddEEvT3_20rocsparse_direction_NS_24const_host_device_scalarIT1_EES1_PKS1_PKT2_SA_S7_PKT4_PKT5_S5_PT6_21rocsparse_index_base_b.uses_vcc, 1
	.set _ZN9rocsparseL18bsrxmvn_4x4_kernelILj128ELj64EdlifddEEvT3_20rocsparse_direction_NS_24const_host_device_scalarIT1_EES1_PKS1_PKT2_SA_S7_PKT4_PKT5_S5_PT6_21rocsparse_index_base_b.uses_flat_scratch, 0
	.set _ZN9rocsparseL18bsrxmvn_4x4_kernelILj128ELj64EdlifddEEvT3_20rocsparse_direction_NS_24const_host_device_scalarIT1_EES1_PKS1_PKT2_SA_S7_PKT4_PKT5_S5_PT6_21rocsparse_index_base_b.has_dyn_sized_stack, 0
	.set _ZN9rocsparseL18bsrxmvn_4x4_kernelILj128ELj64EdlifddEEvT3_20rocsparse_direction_NS_24const_host_device_scalarIT1_EES1_PKS1_PKT2_SA_S7_PKT4_PKT5_S5_PT6_21rocsparse_index_base_b.has_recursion, 0
	.set _ZN9rocsparseL18bsrxmvn_4x4_kernelILj128ELj64EdlifddEEvT3_20rocsparse_direction_NS_24const_host_device_scalarIT1_EES1_PKS1_PKT2_SA_S7_PKT4_PKT5_S5_PT6_21rocsparse_index_base_b.has_indirect_call, 0
	.section	.AMDGPU.csdata,"",@progbits
; Kernel info:
; codeLenInByte = 4968
; TotalNumSgprs: 16
; NumVgprs: 120
; ScratchSize: 0
; MemoryBound: 0
; FloatMode: 240
; IeeeMode: 1
; LDSByteSize: 0 bytes/workgroup (compile time only)
; SGPRBlocks: 0
; VGPRBlocks: 7
; NumSGPRsForWavesPerEU: 16
; NumVGPRsForWavesPerEU: 120
; NamedBarCnt: 0
; Occupancy: 8
; WaveLimiterHint : 1
; COMPUTE_PGM_RSRC2:SCRATCH_EN: 0
; COMPUTE_PGM_RSRC2:USER_SGPR: 2
; COMPUTE_PGM_RSRC2:TRAP_HANDLER: 0
; COMPUTE_PGM_RSRC2:TGID_X_EN: 1
; COMPUTE_PGM_RSRC2:TGID_Y_EN: 0
; COMPUTE_PGM_RSRC2:TGID_Z_EN: 0
; COMPUTE_PGM_RSRC2:TIDIG_COMP_CNT: 0
	.section	.text._ZN9rocsparseL18bsrxmvn_4x4_kernelILj128ELj4EdllfddEEvT3_20rocsparse_direction_NS_24const_host_device_scalarIT1_EES1_PKS1_PKT2_SA_S7_PKT4_PKT5_S5_PT6_21rocsparse_index_base_b,"axG",@progbits,_ZN9rocsparseL18bsrxmvn_4x4_kernelILj128ELj4EdllfddEEvT3_20rocsparse_direction_NS_24const_host_device_scalarIT1_EES1_PKS1_PKT2_SA_S7_PKT4_PKT5_S5_PT6_21rocsparse_index_base_b,comdat
	.globl	_ZN9rocsparseL18bsrxmvn_4x4_kernelILj128ELj4EdllfddEEvT3_20rocsparse_direction_NS_24const_host_device_scalarIT1_EES1_PKS1_PKT2_SA_S7_PKT4_PKT5_S5_PT6_21rocsparse_index_base_b ; -- Begin function _ZN9rocsparseL18bsrxmvn_4x4_kernelILj128ELj4EdllfddEEvT3_20rocsparse_direction_NS_24const_host_device_scalarIT1_EES1_PKS1_PKT2_SA_S7_PKT4_PKT5_S5_PT6_21rocsparse_index_base_b
	.p2align	8
	.type	_ZN9rocsparseL18bsrxmvn_4x4_kernelILj128ELj4EdllfddEEvT3_20rocsparse_direction_NS_24const_host_device_scalarIT1_EES1_PKS1_PKT2_SA_S7_PKT4_PKT5_S5_PT6_21rocsparse_index_base_b,@function
_ZN9rocsparseL18bsrxmvn_4x4_kernelILj128ELj4EdllfddEEvT3_20rocsparse_direction_NS_24const_host_device_scalarIT1_EES1_PKS1_PKT2_SA_S7_PKT4_PKT5_S5_PT6_21rocsparse_index_base_b: ; @_ZN9rocsparseL18bsrxmvn_4x4_kernelILj128ELj4EdllfddEEvT3_20rocsparse_direction_NS_24const_host_device_scalarIT1_EES1_PKS1_PKT2_SA_S7_PKT4_PKT5_S5_PT6_21rocsparse_index_base_b
; %bb.0:
	s_clause 0x2
	s_load_b64 s[8:9], s[0:1], 0x60
	s_load_b128 s[4:7], s[0:1], 0x10
	s_load_b64 s[2:3], s[0:1], 0x50
	s_wait_kmcnt 0x0
	s_bitcmp1_b32 s9, 0
	v_mov_b64_e32 v[2:3], s[4:5]
	s_cselect_b32 s9, -1, 0
	s_delay_alu instid0(SALU_CYCLE_1)
	s_and_b32 vcc_lo, exec_lo, s9
	s_xor_b32 s9, s9, -1
	s_cbranch_vccnz .LBB160_2
; %bb.1:
	v_mov_b32_e32 v1, 0
	flat_load_b64 v[2:3], v1, s[4:5]
.LBB160_2:
	v_mov_b64_e32 v[8:9], s[2:3]
	s_and_not1_b32 vcc_lo, exec_lo, s9
	s_cbranch_vccnz .LBB160_4
; %bb.3:
	s_wait_xcnt 0x0
	v_mov_b32_e32 v1, 0
	flat_load_b64 v[8:9], v1, s[2:3]
.LBB160_4:
	s_wait_loadcnt_dscnt 0x0
	v_cmp_neq_f64_e32 vcc_lo, 0, v[2:3]
	s_delay_alu instid0(VALU_DEP_2) | instskip(SKIP_1) | instid1(SALU_CYCLE_1)
	v_cmp_neq_f64_e64 s2, 1.0, v[8:9]
	s_or_b32 s2, vcc_lo, s2
	s_and_saveexec_b32 s3, s2
	s_cbranch_execz .LBB160_10
; %bb.5:
	s_load_b64 s[2:3], s[0:1], 0x20
	s_bfe_u32 s4, ttmp6, 0x4000c
	s_and_b32 s5, ttmp6, 15
	s_add_co_i32 s4, s4, 1
	s_getreg_b32 s9, hwreg(HW_REG_IB_STS2, 6, 4)
	s_mul_i32 s4, ttmp9, s4
	v_dual_lshrrev_b32 v1, 2, v0 :: v_dual_mov_b32 v7, 0
	s_add_co_i32 s5, s5, s4
	s_cmp_eq_u32 s9, 0
	s_cselect_b32 s4, ttmp9, s5
	s_delay_alu instid0(VALU_DEP_1) | instid1(SALU_CYCLE_1)
	v_lshl_or_b32 v6, s4, 5, v1
	s_mov_b32 s4, 0
	s_wait_kmcnt 0x0
	s_cmp_lg_u64 s[2:3], 0
	s_cbranch_scc0 .LBB160_11
; %bb.6:
	v_cmp_gt_i64_e32 vcc_lo, s[6:7], v[6:7]
	s_mov_b32 s5, 0
                                        ; implicit-def: $vgpr10_vgpr11
                                        ; implicit-def: $vgpr4_vgpr5
	s_and_saveexec_b32 s6, vcc_lo
	s_delay_alu instid0(SALU_CYCLE_1)
	s_xor_b32 s6, exec_lo, s6
	s_cbranch_execz .LBB160_8
; %bb.7:
	v_lshl_add_u64 v[4:5], v[6:7], 3, s[2:3]
	s_mov_b32 s9, 0
	s_mov_b32 s4, exec_lo
	global_load_b64 v[4:5], v[4:5], off
	s_wait_loadcnt 0x0
	v_sub_nc_u64_e64 v[10:11], v[4:5], s[8:9]
	v_mov_b64_e32 v[4:5], s[8:9]
.LBB160_8:
	s_or_b32 exec_lo, exec_lo, s6
	s_delay_alu instid0(SALU_CYCLE_1)
	s_and_b32 vcc_lo, exec_lo, s5
	s_cbranch_vccnz .LBB160_12
.LBB160_9:
	s_and_b32 exec_lo, exec_lo, s4
	s_cbranch_execnz .LBB160_15
.LBB160_10:
	s_sendmsg sendmsg(MSG_DEALLOC_VGPRS)
	s_endpgm
.LBB160_11:
                                        ; implicit-def: $vgpr10_vgpr11
                                        ; implicit-def: $vgpr4_vgpr5
	s_cbranch_execz .LBB160_9
.LBB160_12:
	s_load_b64 s[2:3], s[0:1], 0x0
	s_wait_kmcnt 0x0
	v_cmp_gt_i64_e32 vcc_lo, s[2:3], v[6:7]
	s_and_saveexec_b32 s2, vcc_lo
; %bb.13:
	s_mov_b32 s9, 0
	s_or_b32 s4, s4, exec_lo
; %bb.14:
	s_or_b32 exec_lo, exec_lo, s2
	v_mov_b64_e32 v[4:5], s[8:9]
	v_mov_b64_e32 v[10:11], v[6:7]
	s_and_b32 exec_lo, exec_lo, s4
	s_cbranch_execz .LBB160_10
.LBB160_15:
	s_load_b256 s[4:11], s[0:1], 0x28
	s_delay_alu instid0(VALU_DEP_1) | instskip(SKIP_3) | instid1(VALU_DEP_2)
	v_lshlrev_b64_e32 v[6:7], 3, v[10:11]
	v_dual_mov_b32 v1, 0 :: v_dual_bitop2_b32 v0, 3, v0 bitop3:0x40
	s_load_b32 s3, s[0:1], 0x8
	s_wait_kmcnt 0x0
	v_add_nc_u64_e32 v[12:13], s[4:5], v[6:7]
	v_add_nc_u64_e32 v[6:7], s[6:7], v[6:7]
	s_cmp_eq_u64 s[6:7], 0
	s_load_b64 s[4:5], s[0:1], 0x48
	s_cselect_b32 vcc_lo, -1, 0
	s_cmp_eq_u32 s3, 1
	global_load_b64 v[24:25], v[12:13], off
	s_wait_xcnt 0x0
	v_add_nc_u64_e32 v[12:13], 8, v[12:13]
	s_delay_alu instid0(VALU_DEP_1) | instskip(SKIP_4) | instid1(VALU_DEP_1)
	v_dual_cndmask_b32 v7, v7, v13 :: v_dual_cndmask_b32 v6, v6, v12
	global_load_b64 v[12:13], v[6:7], off
	s_wait_loadcnt 0x1
	s_wait_xcnt 0x0
	v_sub_nc_u64_e32 v[6:7], v[24:25], v[4:5]
	v_add_nc_u64_e32 v[6:7], v[6:7], v[0:1]
	s_wait_loadcnt 0x0
	v_sub_nc_u64_e32 v[12:13], v[12:13], v[4:5]
	s_delay_alu instid0(VALU_DEP_2) | instskip(NEXT) | instid1(VALU_DEP_2)
	v_lshlrev_b64_e32 v[14:15], 6, v[6:7]
	v_cmp_lt_i64_e64 s2, v[6:7], v[12:13]
	s_delay_alu instid0(VALU_DEP_2)
	v_add_nc_u64_e32 v[14:15], s[10:11], v[14:15]
	s_cbranch_scc1 .LBB160_27
; %bb.16:
	v_mov_b64_e32 v[16:17], 0
	v_mov_b64_e32 v[18:19], 0
	;; [unrolled: 1-line block ×4, first 2 shown]
	s_and_saveexec_b32 s3, s2
	s_cbranch_execz .LBB160_26
; %bb.17:
	v_dual_mov_b32 v17, v1 :: v_dual_bitop2_b32 v16, 4, v0 bitop3:0x54
	v_sub_nc_u64_e32 v[18:19], v[4:5], v[0:1]
	v_not_b32_e32 v21, v25
	v_not_b32_e32 v20, v24
	v_mov_b64_e32 v[22:23], 0
	v_sub_nc_u64_e32 v[16:17], v[16:17], v[4:5]
	v_mov_b64_e32 v[26:27], v[6:7]
	v_mov_b64_e32 v[28:29], v[14:15]
	v_add_nc_u64_e32 v[18:19], v[18:19], v[20:21]
	v_mov_b64_e32 v[20:21], 0
	s_mov_b32 s6, exec_lo
	v_add_nc_u64_e32 v[16:17], v[16:17], v[24:25]
	s_delay_alu instid0(VALU_DEP_1) | instskip(NEXT) | instid1(VALU_DEP_1)
	v_max_i64 v[16:17], v[16:17], v[12:13]
	v_add_nc_u64_e32 v[30:31], v[18:19], v[16:17]
	v_mov_b64_e32 v[18:19], 0
	v_mov_b64_e32 v[16:17], 0
	s_delay_alu instid0(VALU_DEP_3) | instskip(NEXT) | instid1(VALU_DEP_1)
	v_dual_mov_b32 v35, 0 :: v_dual_bitop2_b32 v34, 12, v30 bitop3:0x40
	v_cmpx_ne_u64_e32 12, v[34:35]
	s_cbranch_execz .LBB160_21
; %bb.18:
	v_lshrrev_b32_e32 v16, 2, v30
	v_mov_b64_e32 v[18:19], 0
	v_mov_b64_e32 v[22:23], 0
	v_mov_b64_e32 v[20:21], 0
	v_mov_b64_e32 v[28:29], v[14:15]
	v_add_nc_u32_e32 v16, 1, v16
	v_mov_b64_e32 v[26:27], v[6:7]
	v_lshl_add_u64 v[32:33], v[6:7], 3, s[8:9]
	s_mov_b32 s7, 0
	s_delay_alu instid0(VALU_DEP_3) | instskip(SKIP_1) | instid1(VALU_DEP_2)
	v_and_b32_e32 v34, 3, v16
	v_mov_b64_e32 v[16:17], 0
	v_sub_nc_u64_e32 v[34:35], 0, v[34:35]
.LBB160_19:                             ; =>This Inner Loop Header: Depth=1
	global_load_b64 v[52:53], v[32:33], off
	s_clause 0x3
	global_load_b128 v[36:39], v[28:29], off
	global_load_b128 v[40:43], v[28:29], off offset:16
	global_load_b128 v[44:47], v[28:29], off offset:32
	;; [unrolled: 1-line block ×3, first 2 shown]
	v_add_nc_u64_e32 v[34:35], 1, v[34:35]
	s_wait_xcnt 0x0
	v_add_nc_u64_e32 v[28:29], 0x100, v[28:29]
	v_add_nc_u64_e32 v[26:27], 4, v[26:27]
	v_add_nc_u64_e32 v[32:33], 32, v[32:33]
	s_delay_alu instid0(VALU_DEP_4)
	v_cmp_eq_u64_e32 vcc_lo, 0, v[34:35]
	s_or_b32 s7, vcc_lo, s7
	s_wait_loadcnt 0x4
	v_sub_nc_u64_e32 v[52:53], v[52:53], v[4:5]
	s_wait_loadcnt 0x2
	v_cvt_f64_f32_e32 v[62:63], v40
	s_wait_loadcnt 0x1
	v_cvt_f64_f32_e32 v[64:65], v44
	s_wait_loadcnt 0x0
	v_cvt_f64_f32_e32 v[66:67], v48
	v_cvt_f64_f32_e32 v[40:41], v41
	v_cvt_f64_f32_e32 v[44:45], v45
	v_lshlrev_b64_e32 v[52:53], 5, v[52:53]
	v_cvt_f64_f32_e32 v[48:49], v49
	s_wait_kmcnt 0x0
	s_delay_alu instid0(VALU_DEP_2)
	v_add_nc_u64_e32 v[60:61], s[4:5], v[52:53]
	s_clause 0x1
	global_load_b128 v[52:55], v[60:61], off
	global_load_b128 v[56:59], v[60:61], off offset:16
	s_wait_xcnt 0x0
	v_cvt_f64_f32_e32 v[60:61], v36
	v_cvt_f64_f32_e32 v[36:37], v37
	s_wait_loadcnt 0x1
	s_delay_alu instid0(VALU_DEP_2)
	v_fmac_f64_e32 v[20:21], v[60:61], v[52:53]
	v_fmac_f64_e32 v[22:23], v[62:63], v[52:53]
	;; [unrolled: 1-line block ×4, first 2 shown]
	v_cvt_f64_f32_e32 v[52:53], v38
	v_cvt_f64_f32_e32 v[60:61], v42
	;; [unrolled: 1-line block ×4, first 2 shown]
	v_fmac_f64_e32 v[20:21], v[36:37], v[54:55]
	v_fmac_f64_e32 v[22:23], v[40:41], v[54:55]
	;; [unrolled: 1-line block ×4, first 2 shown]
	v_cvt_f64_f32_e32 v[36:37], v39
	v_cvt_f64_f32_e32 v[38:39], v43
	;; [unrolled: 1-line block ×4, first 2 shown]
	s_wait_loadcnt 0x0
	v_fmac_f64_e32 v[20:21], v[52:53], v[56:57]
	v_fmac_f64_e32 v[22:23], v[60:61], v[56:57]
	;; [unrolled: 1-line block ×4, first 2 shown]
	s_delay_alu instid0(VALU_DEP_4) | instskip(NEXT) | instid1(VALU_DEP_4)
	v_fmac_f64_e32 v[20:21], v[36:37], v[58:59]
	v_fmac_f64_e32 v[22:23], v[38:39], v[58:59]
	s_delay_alu instid0(VALU_DEP_4) | instskip(NEXT) | instid1(VALU_DEP_4)
	v_fmac_f64_e32 v[18:19], v[40:41], v[58:59]
	v_fmac_f64_e32 v[16:17], v[42:43], v[58:59]
	s_and_not1_b32 exec_lo, exec_lo, s7
	s_cbranch_execnz .LBB160_19
; %bb.20:
	s_or_b32 exec_lo, exec_lo, s7
.LBB160_21:
	s_delay_alu instid0(SALU_CYCLE_1) | instskip(NEXT) | instid1(SALU_CYCLE_1)
	s_or_b32 exec_lo, exec_lo, s6
	s_mov_b32 s6, exec_lo
	v_cmpx_lt_u64_e32 11, v[30:31]
	s_cbranch_execz .LBB160_25
; %bb.22:
	v_lshl_add_u64 v[30:31], v[26:27], 3, s[8:9]
	s_mov_b32 s7, 0
	s_delay_alu instid0(VALU_DEP_1)
	v_add_nc_u64_e32 v[30:31], 64, v[30:31]
.LBB160_23:                             ; =>This Inner Loop Header: Depth=1
	s_clause 0x2
	global_load_b64 v[48:49], v[30:31], off offset:-64
	global_load_b64 v[72:73], v[30:31], off offset:-32
	global_load_b64 v[96:97], v[30:31], off
	s_clause 0x3
	global_load_b128 v[32:35], v[28:29], off
	global_load_b128 v[36:39], v[28:29], off offset:16
	global_load_b128 v[40:43], v[28:29], off offset:32
	;; [unrolled: 1-line block ×3, first 2 shown]
	global_load_b64 v[116:117], v[30:31], off offset:32
	v_add_nc_u64_e32 v[26:27], 16, v[26:27]
	s_wait_xcnt 0x0
	v_add_nc_u64_e32 v[30:31], 0x80, v[30:31]
	s_delay_alu instid0(VALU_DEP_2)
	v_cmp_ge_i64_e32 vcc_lo, v[26:27], v[12:13]
	s_or_b32 s7, vcc_lo, s7
	s_wait_loadcnt 0x7
	v_sub_nc_u64_e32 v[48:49], v[48:49], v[4:5]
	s_wait_loadcnt 0x6
	v_sub_nc_u64_e32 v[72:73], v[72:73], v[4:5]
	;; [unrolled: 2-line block ×3, first 2 shown]
	s_wait_loadcnt 0x4
	v_cvt_f64_f32_e32 v[104:105], v32
	s_wait_loadcnt 0x3
	v_cvt_f64_f32_e32 v[106:107], v36
	s_wait_loadcnt 0x2
	v_cvt_f64_f32_e32 v[108:109], v40
	s_wait_loadcnt 0x1
	v_cvt_f64_f32_e32 v[110:111], v44
	v_lshlrev_b64_e32 v[48:49], 5, v[48:49]
	v_lshlrev_b64_e32 v[72:73], 5, v[72:73]
	v_lshlrev_b64_e32 v[96:97], 5, v[96:97]
	v_cvt_f64_f32_e32 v[32:33], v33
	v_cvt_f64_f32_e32 v[36:37], v37
	;; [unrolled: 1-line block ×4, first 2 shown]
	s_wait_kmcnt 0x0
	v_add_nc_u64_e32 v[74:75], s[4:5], v[48:49]
	v_add_nc_u64_e32 v[98:99], s[4:5], v[72:73]
	;; [unrolled: 1-line block ×3, first 2 shown]
	v_cvt_f64_f32_e32 v[118:119], v42
	v_cvt_f64_f32_e32 v[120:121], v46
	;; [unrolled: 1-line block ×4, first 2 shown]
	s_clause 0x1
	global_load_b128 v[48:51], v[74:75], off
	global_load_b128 v[52:55], v[74:75], off offset:16
	s_clause 0x3
	global_load_b128 v[56:59], v[28:29], off offset:256
	global_load_b128 v[60:63], v[28:29], off offset:272
	;; [unrolled: 1-line block ×4, first 2 shown]
	s_clause 0x1
	global_load_b128 v[72:75], v[98:99], off
	global_load_b128 v[76:79], v[98:99], off offset:16
	s_clause 0x3
	global_load_b128 v[80:83], v[28:29], off offset:512
	global_load_b128 v[84:87], v[28:29], off offset:528
	;; [unrolled: 1-line block ×4, first 2 shown]
	s_clause 0x1
	global_load_b128 v[96:99], v[100:101], off
	global_load_b128 v[100:103], v[100:101], off offset:16
	s_wait_loadcnt 0xd
	v_fmac_f64_e32 v[20:21], v[104:105], v[48:49]
	v_fmac_f64_e32 v[22:23], v[106:107], v[48:49]
	;; [unrolled: 1-line block ×4, first 2 shown]
	s_clause 0x2
	global_load_b128 v[104:107], v[28:29], off offset:800
	global_load_b128 v[108:111], v[28:29], off offset:784
	;; [unrolled: 1-line block ×3, first 2 shown]
	v_fmac_f64_e32 v[20:21], v[32:33], v[50:51]
	v_fmac_f64_e32 v[22:23], v[36:37], v[50:51]
	;; [unrolled: 1-line block ×4, first 2 shown]
	global_load_b128 v[48:51], v[28:29], off offset:816
	v_cvt_f64_f32_e32 v[36:37], v34
	v_cvt_f64_f32_e32 v[44:45], v38
	v_sub_nc_u64_e32 v[32:33], v[116:117], v[4:5]
	v_cvt_f64_f32_e32 v[40:41], v35
	v_cvt_f64_f32_e32 v[38:39], v39
	s_wait_xcnt 0x0
	v_add_nc_u64_e32 v[28:29], 0x400, v[28:29]
	s_delay_alu instid0(VALU_DEP_4) | instskip(NEXT) | instid1(VALU_DEP_1)
	v_lshlrev_b64_e32 v[32:33], 5, v[32:33]
	v_add_nc_u64_e32 v[116:117], s[4:5], v[32:33]
	global_load_b128 v[32:35], v[116:117], off
	s_wait_loadcnt 0x11
	v_fmac_f64_e32 v[18:19], v[118:119], v[52:53]
	v_fmac_f64_e32 v[16:17], v[120:121], v[52:53]
	s_wait_loadcnt 0xe
	v_cvt_f64_f32_e32 v[118:119], v64
	v_fmac_f64_e32 v[20:21], v[36:37], v[52:53]
	v_fmac_f64_e32 v[22:23], v[44:45], v[52:53]
	v_cvt_f64_f32_e32 v[44:45], v56
	v_cvt_f64_f32_e32 v[52:53], v60
	s_wait_loadcnt 0xd
	v_cvt_f64_f32_e32 v[120:121], v68
	v_fmac_f64_e32 v[18:19], v[42:43], v[54:55]
	v_fmac_f64_e32 v[16:17], v[46:47], v[54:55]
	v_cvt_f64_f32_e32 v[42:43], v61
	v_fmac_f64_e32 v[20:21], v[40:41], v[54:55]
	v_fmac_f64_e32 v[22:23], v[38:39], v[54:55]
	v_cvt_f64_f32_e32 v[40:41], v57
	v_cvt_f64_f32_e32 v[46:47], v65
	;; [unrolled: 1-line block ×3, first 2 shown]
	global_load_b128 v[36:39], v[116:117], off offset:16
	v_cvt_f64_f32_e32 v[56:57], v66
	v_cvt_f64_f32_e32 v[60:61], v70
	s_wait_loadcnt 0xd
	v_fmac_f64_e32 v[18:19], v[118:119], v[72:73]
	v_fmac_f64_e32 v[16:17], v[120:121], v[72:73]
	v_fmac_f64_e32 v[20:21], v[44:45], v[72:73]
	v_fmac_f64_e32 v[22:23], v[52:53], v[72:73]
	v_cvt_f64_f32_e32 v[44:45], v58
	v_cvt_f64_f32_e32 v[52:53], v62
	v_fmac_f64_e32 v[18:19], v[46:47], v[74:75]
	v_fmac_f64_e32 v[16:17], v[54:55], v[74:75]
	v_cvt_f64_f32_e32 v[46:47], v67
	v_fmac_f64_e32 v[20:21], v[40:41], v[74:75]
	v_fmac_f64_e32 v[22:23], v[42:43], v[74:75]
	v_cvt_f64_f32_e32 v[40:41], v59
	v_cvt_f64_f32_e32 v[42:43], v63
	;; [unrolled: 1-line block ×3, first 2 shown]
	s_wait_loadcnt 0x8
	v_cvt_f64_f32_e32 v[58:59], v92
	v_fmac_f64_e32 v[18:19], v[56:57], v[76:77]
	v_fmac_f64_e32 v[16:17], v[60:61], v[76:77]
	v_cvt_f64_f32_e32 v[56:57], v88
	v_fmac_f64_e32 v[20:21], v[44:45], v[76:77]
	v_fmac_f64_e32 v[22:23], v[52:53], v[76:77]
	v_cvt_f64_f32_e32 v[44:45], v80
	v_cvt_f64_f32_e32 v[52:53], v84
	v_fmac_f64_e32 v[18:19], v[46:47], v[78:79]
	v_fmac_f64_e32 v[16:17], v[54:55], v[78:79]
	v_cvt_f64_f32_e32 v[46:47], v89
	v_fmac_f64_e32 v[20:21], v[40:41], v[78:79]
	v_fmac_f64_e32 v[22:23], v[42:43], v[78:79]
	v_cvt_f64_f32_e32 v[40:41], v81
	v_cvt_f64_f32_e32 v[42:43], v85
	;; [unrolled: 1-line block ×3, first 2 shown]
	s_wait_loadcnt 0x7
	v_fmac_f64_e32 v[18:19], v[56:57], v[96:97]
	v_fmac_f64_e32 v[16:17], v[58:59], v[96:97]
	v_cvt_f64_f32_e32 v[56:57], v90
	v_fmac_f64_e32 v[20:21], v[44:45], v[96:97]
	v_fmac_f64_e32 v[22:23], v[52:53], v[96:97]
	v_cvt_f64_f32_e32 v[44:45], v82
	v_cvt_f64_f32_e32 v[52:53], v86
	;; [unrolled: 1-line block ×3, first 2 shown]
	v_fmac_f64_e32 v[18:19], v[46:47], v[98:99]
	v_fmac_f64_e32 v[16:17], v[54:55], v[98:99]
	v_cvt_f64_f32_e32 v[46:47], v91
	v_fmac_f64_e32 v[20:21], v[40:41], v[98:99]
	v_fmac_f64_e32 v[22:23], v[42:43], v[98:99]
	v_cvt_f64_f32_e32 v[40:41], v83
	v_cvt_f64_f32_e32 v[42:43], v87
	;; [unrolled: 1-line block ×3, first 2 shown]
	s_wait_loadcnt 0x6
	v_fmac_f64_e32 v[18:19], v[56:57], v[100:101]
	v_fmac_f64_e32 v[16:17], v[58:59], v[100:101]
	s_wait_loadcnt 0x5
	v_cvt_f64_f32_e32 v[56:57], v104
	v_fmac_f64_e32 v[20:21], v[44:45], v[100:101]
	v_fmac_f64_e32 v[22:23], v[52:53], v[100:101]
	s_wait_loadcnt 0x3
	v_cvt_f64_f32_e32 v[44:45], v112
	v_cvt_f64_f32_e32 v[52:53], v108
	v_fmac_f64_e32 v[18:19], v[46:47], v[102:103]
	v_fmac_f64_e32 v[16:17], v[54:55], v[102:103]
	s_wait_loadcnt 0x2
	v_cvt_f64_f32_e32 v[58:59], v48
	v_fmac_f64_e32 v[20:21], v[40:41], v[102:103]
	v_fmac_f64_e32 v[22:23], v[42:43], v[102:103]
	v_cvt_f64_f32_e32 v[40:41], v113
	v_cvt_f64_f32_e32 v[42:43], v109
	;; [unrolled: 1-line block ×5, first 2 shown]
	s_wait_loadcnt 0x1
	v_fmac_f64_e32 v[18:19], v[56:57], v[32:33]
	v_fmac_f64_e32 v[16:17], v[58:59], v[32:33]
	;; [unrolled: 1-line block ×4, first 2 shown]
	v_cvt_f64_f32_e32 v[32:33], v114
	v_cvt_f64_f32_e32 v[44:45], v110
	;; [unrolled: 1-line block ×3, first 2 shown]
	v_fmac_f64_e32 v[18:19], v[46:47], v[34:35]
	v_cvt_f64_f32_e32 v[46:47], v51
	v_fmac_f64_e32 v[16:17], v[48:49], v[34:35]
	v_fmac_f64_e32 v[20:21], v[40:41], v[34:35]
	;; [unrolled: 1-line block ×3, first 2 shown]
	v_cvt_f64_f32_e32 v[34:35], v115
	v_cvt_f64_f32_e32 v[40:41], v111
	;; [unrolled: 1-line block ×3, first 2 shown]
	s_wait_loadcnt 0x0
	v_fmac_f64_e32 v[18:19], v[52:53], v[36:37]
	v_fmac_f64_e32 v[16:17], v[54:55], v[36:37]
	;; [unrolled: 1-line block ×4, first 2 shown]
	s_delay_alu instid0(VALU_DEP_4) | instskip(NEXT) | instid1(VALU_DEP_4)
	v_fmac_f64_e32 v[18:19], v[42:43], v[38:39]
	v_fmac_f64_e32 v[16:17], v[46:47], v[38:39]
	s_delay_alu instid0(VALU_DEP_4) | instskip(NEXT) | instid1(VALU_DEP_4)
	v_fmac_f64_e32 v[20:21], v[34:35], v[38:39]
	v_fmac_f64_e32 v[22:23], v[40:41], v[38:39]
	s_and_not1_b32 exec_lo, exec_lo, s7
	s_cbranch_execnz .LBB160_23
; %bb.24:
	s_or_b32 exec_lo, exec_lo, s7
.LBB160_25:
	s_delay_alu instid0(SALU_CYCLE_1)
	s_or_b32 exec_lo, exec_lo, s6
.LBB160_26:
	s_delay_alu instid0(SALU_CYCLE_1)
	s_or_b32 exec_lo, exec_lo, s3
	s_cbranch_execz .LBB160_28
	s_branch .LBB160_39
.LBB160_27:
                                        ; implicit-def: $vgpr16_vgpr17
                                        ; implicit-def: $vgpr18_vgpr19
                                        ; implicit-def: $vgpr22_vgpr23
                                        ; implicit-def: $vgpr20_vgpr21
.LBB160_28:
	v_mov_b64_e32 v[16:17], 0
	v_mov_b64_e32 v[18:19], 0
	;; [unrolled: 1-line block ×4, first 2 shown]
	s_and_saveexec_b32 s3, s2
	s_cbranch_execz .LBB160_38
; %bb.29:
	v_dual_mov_b32 v17, v1 :: v_dual_bitop2_b32 v16, 4, v0 bitop3:0x54
	v_sub_nc_u64_e32 v[18:19], v[4:5], v[0:1]
	v_not_b32_e32 v21, v25
	v_not_b32_e32 v20, v24
	v_mov_b64_e32 v[22:23], 0
	v_sub_nc_u64_e32 v[16:17], v[16:17], v[4:5]
	s_mov_b32 s2, exec_lo
	s_delay_alu instid0(VALU_DEP_3) | instskip(SKIP_1) | instid1(VALU_DEP_3)
	v_add_nc_u64_e32 v[18:19], v[18:19], v[20:21]
	v_mov_b64_e32 v[20:21], 0
	v_add_nc_u64_e32 v[16:17], v[16:17], v[24:25]
	s_delay_alu instid0(VALU_DEP_1) | instskip(NEXT) | instid1(VALU_DEP_1)
	v_max_i64 v[16:17], v[16:17], v[12:13]
	v_add_nc_u64_e32 v[24:25], v[18:19], v[16:17]
	v_mov_b64_e32 v[18:19], 0
	v_mov_b64_e32 v[16:17], 0
	s_delay_alu instid0(VALU_DEP_3) | instskip(NEXT) | instid1(VALU_DEP_1)
	v_dual_mov_b32 v27, 0 :: v_dual_bitop2_b32 v26, 12, v24 bitop3:0x40
	v_cmpx_ne_u64_e32 12, v[26:27]
	s_cbranch_execz .LBB160_33
; %bb.30:
	v_lshrrev_b32_e32 v1, 2, v24
	v_mov_b64_e32 v[16:17], 0
	v_mov_b64_e32 v[18:19], 0
	;; [unrolled: 1-line block ×4, first 2 shown]
	v_add_nc_u32_e32 v1, 1, v1
	v_lshl_add_u64 v[28:29], v[6:7], 3, s[8:9]
	s_mov_b32 s6, 0
	s_delay_alu instid0(VALU_DEP_2) | instskip(NEXT) | instid1(VALU_DEP_1)
	v_and_b32_e32 v26, 3, v1
	v_sub_nc_u64_e32 v[26:27], 0, v[26:27]
.LBB160_31:                             ; =>This Inner Loop Header: Depth=1
	global_load_b64 v[38:39], v[28:29], off
	s_clause 0x1
	global_load_b128 v[30:33], v[14:15], off
	global_load_b128 v[34:37], v[14:15], off offset:16
	v_add_nc_u64_e32 v[26:27], 1, v[26:27]
	v_add_nc_u64_e32 v[6:7], 4, v[6:7]
	s_wait_xcnt 0x2
	v_add_nc_u64_e32 v[28:29], 32, v[28:29]
	s_delay_alu instid0(VALU_DEP_3)
	v_cmp_eq_u64_e32 vcc_lo, 0, v[26:27]
	s_or_b32 s6, vcc_lo, s6
	s_wait_loadcnt 0x2
	v_sub_nc_u64_e32 v[38:39], v[38:39], v[4:5]
	s_wait_loadcnt 0x1
	v_cvt_f64_f32_e32 v[56:57], v32
	v_cvt_f64_f32_e32 v[32:33], v33
	s_wait_loadcnt 0x0
	v_cvt_f64_f32_e32 v[58:59], v34
	v_cvt_f64_f32_e32 v[34:35], v35
	;; [unrolled: 1-line block ×4, first 2 shown]
	v_lshlrev_b64_e32 v[38:39], 5, v[38:39]
	s_wait_kmcnt 0x0
	s_delay_alu instid0(VALU_DEP_1)
	v_add_nc_u64_e32 v[54:55], s[4:5], v[38:39]
	s_clause 0x1
	global_load_b128 v[38:41], v[54:55], off
	global_load_b128 v[42:45], v[54:55], off offset:16
	s_clause 0x1
	global_load_b128 v[46:49], v[14:15], off offset:32
	global_load_b128 v[50:53], v[14:15], off offset:48
	s_wait_xcnt 0x2
	v_cvt_f64_f32_e32 v[54:55], v30
	v_cvt_f64_f32_e32 v[30:31], v31
	s_wait_xcnt 0x0
	v_add_nc_u64_e32 v[14:15], 0x100, v[14:15]
	s_wait_loadcnt 0x3
	s_delay_alu instid0(VALU_DEP_3) | instskip(NEXT) | instid1(VALU_DEP_3)
	v_fmac_f64_e32 v[20:21], v[54:55], v[38:39]
	v_fmac_f64_e32 v[22:23], v[30:31], v[38:39]
	;; [unrolled: 1-line block ×4, first 2 shown]
	s_wait_loadcnt 0x1
	v_cvt_f64_f32_e32 v[30:31], v46
	v_cvt_f64_f32_e32 v[32:33], v47
	;; [unrolled: 1-line block ×4, first 2 shown]
	s_wait_loadcnt 0x0
	v_cvt_f64_f32_e32 v[48:49], v53
	v_fmac_f64_e32 v[20:21], v[58:59], v[40:41]
	v_fmac_f64_e32 v[22:23], v[34:35], v[40:41]
	;; [unrolled: 1-line block ×4, first 2 shown]
	v_cvt_f64_f32_e32 v[34:35], v50
	v_cvt_f64_f32_e32 v[36:37], v51
	;; [unrolled: 1-line block ×3, first 2 shown]
	v_fmac_f64_e32 v[20:21], v[30:31], v[42:43]
	v_fmac_f64_e32 v[22:23], v[32:33], v[42:43]
	;; [unrolled: 1-line block ×4, first 2 shown]
	s_delay_alu instid0(VALU_DEP_4) | instskip(NEXT) | instid1(VALU_DEP_4)
	v_fmac_f64_e32 v[20:21], v[34:35], v[44:45]
	v_fmac_f64_e32 v[22:23], v[36:37], v[44:45]
	s_delay_alu instid0(VALU_DEP_4) | instskip(NEXT) | instid1(VALU_DEP_4)
	v_fmac_f64_e32 v[18:19], v[40:41], v[44:45]
	v_fmac_f64_e32 v[16:17], v[48:49], v[44:45]
	s_and_not1_b32 exec_lo, exec_lo, s6
	s_cbranch_execnz .LBB160_31
; %bb.32:
	s_or_b32 exec_lo, exec_lo, s6
.LBB160_33:
	s_delay_alu instid0(SALU_CYCLE_1) | instskip(NEXT) | instid1(SALU_CYCLE_1)
	s_or_b32 exec_lo, exec_lo, s2
	s_mov_b32 s2, exec_lo
	v_cmpx_lt_u64_e32 11, v[24:25]
	s_cbranch_execz .LBB160_37
; %bb.34:
	v_lshl_add_u64 v[24:25], v[6:7], 3, s[8:9]
	s_mov_b32 s6, 0
	s_delay_alu instid0(VALU_DEP_1)
	v_add_nc_u64_e32 v[24:25], 64, v[24:25]
.LBB160_35:                             ; =>This Inner Loop Header: Depth=1
	s_clause 0x2
	global_load_b64 v[30:31], v[24:25], off offset:-64
	global_load_b64 v[54:55], v[24:25], off offset:-32
	global_load_b64 v[78:79], v[24:25], off
	global_load_b128 v[26:29], v[14:15], off
	global_load_b64 v[94:95], v[24:25], off offset:32
	v_add_nc_u64_e32 v[6:7], 16, v[6:7]
	s_wait_xcnt 0x0
	v_add_nc_u64_e32 v[24:25], 0x80, v[24:25]
	s_delay_alu instid0(VALU_DEP_2)
	v_cmp_ge_i64_e32 vcc_lo, v[6:7], v[12:13]
	s_or_b32 s6, vcc_lo, s6
	s_wait_loadcnt 0x4
	v_sub_nc_u64_e32 v[30:31], v[30:31], v[4:5]
	s_wait_loadcnt 0x3
	v_sub_nc_u64_e32 v[54:55], v[54:55], v[4:5]
	;; [unrolled: 2-line block ×3, first 2 shown]
	s_wait_loadcnt 0x1
	v_cvt_f64_f32_e32 v[96:97], v27
	v_cvt_f64_f32_e32 v[92:93], v26
	;; [unrolled: 1-line block ×4, first 2 shown]
	v_lshlrev_b64_e32 v[30:31], 5, v[30:31]
	v_lshlrev_b64_e32 v[54:55], 5, v[54:55]
	;; [unrolled: 1-line block ×3, first 2 shown]
	s_wait_kmcnt 0x0
	s_delay_alu instid0(VALU_DEP_3) | instskip(NEXT) | instid1(VALU_DEP_3)
	v_add_nc_u64_e32 v[56:57], s[4:5], v[30:31]
	v_add_nc_u64_e32 v[80:81], s[4:5], v[54:55]
	s_delay_alu instid0(VALU_DEP_3)
	v_add_nc_u64_e32 v[90:91], s[4:5], v[78:79]
	global_load_b128 v[30:33], v[14:15], off offset:16
	global_load_b128 v[34:37], v[56:57], off
	s_clause 0x1
	global_load_b128 v[38:41], v[14:15], off offset:32
	global_load_b128 v[42:45], v[14:15], off offset:48
	;; [unrolled: 1-line block ×3, first 2 shown]
	s_clause 0x1
	global_load_b128 v[50:53], v[14:15], off offset:256
	global_load_b128 v[54:57], v[14:15], off offset:272
	global_load_b128 v[58:61], v[80:81], off
	s_clause 0x1
	global_load_b128 v[62:65], v[14:15], off offset:288
	global_load_b128 v[66:69], v[14:15], off offset:304
	;; [unrolled: 1-line block ×3, first 2 shown]
	s_clause 0x1
	global_load_b128 v[74:77], v[14:15], off offset:512
	global_load_b128 v[78:81], v[14:15], off offset:528
	global_load_b128 v[82:85], v[90:91], off
	s_clause 0x1
	global_load_b128 v[86:89], v[14:15], off offset:544
	global_load_b128 v[26:29], v[14:15], off offset:560
	s_wait_loadcnt 0xf
	v_cvt_f64_f32_e32 v[104:105], v31
	s_wait_loadcnt 0xe
	v_fmac_f64_e32 v[22:23], v[96:97], v[34:35]
	v_cvt_f64_f32_e32 v[102:103], v30
	v_cvt_f64_f32_e32 v[106:107], v32
	;; [unrolled: 1-line block ×3, first 2 shown]
	global_load_b128 v[30:33], v[90:91], off offset:16
	v_fmac_f64_e32 v[20:21], v[92:93], v[34:35]
	v_fmac_f64_e32 v[18:19], v[98:99], v[34:35]
	;; [unrolled: 1-line block ×3, first 2 shown]
	s_wait_loadcnt 0xe
	v_cvt_f64_f32_e32 v[96:97], v38
	v_cvt_f64_f32_e32 v[98:99], v39
	v_sub_nc_u64_e32 v[38:39], v[94:95], v[4:5]
	v_cvt_f64_f32_e32 v[100:101], v40
	v_cvt_f64_f32_e32 v[110:111], v41
	s_wait_loadcnt 0xd
	v_cvt_f64_f32_e32 v[94:95], v42
	s_delay_alu instid0(VALU_DEP_4) | instskip(SKIP_1) | instid1(VALU_DEP_2)
	v_lshlrev_b64_e32 v[38:39], 5, v[38:39]
	v_fmac_f64_e32 v[22:23], v[104:105], v[36:37]
	v_add_nc_u64_e32 v[104:105], s[4:5], v[38:39]
	v_fmac_f64_e32 v[20:21], v[102:103], v[36:37]
	v_fmac_f64_e32 v[18:19], v[106:107], v[36:37]
	;; [unrolled: 1-line block ×3, first 2 shown]
	global_load_b128 v[38:41], v[104:105], off
	s_clause 0x1
	global_load_b128 v[90:93], v[14:15], off offset:768
	global_load_b128 v[34:37], v[14:15], off offset:784
	v_cvt_f64_f32_e32 v[102:103], v43
	v_cvt_f64_f32_e32 v[106:107], v44
	;; [unrolled: 1-line block ×3, first 2 shown]
	global_load_b128 v[42:45], v[14:15], off offset:800
	s_wait_loadcnt 0x10
	v_fmac_f64_e32 v[22:23], v[98:99], v[46:47]
	s_wait_loadcnt 0xf
	v_cvt_f64_f32_e32 v[98:99], v51
	v_fmac_f64_e32 v[20:21], v[96:97], v[46:47]
	v_fmac_f64_e32 v[18:19], v[100:101], v[46:47]
	;; [unrolled: 1-line block ×3, first 2 shown]
	v_cvt_f64_f32_e32 v[96:97], v50
	v_cvt_f64_f32_e32 v[100:101], v52
	;; [unrolled: 1-line block ×3, first 2 shown]
	global_load_b128 v[50:53], v[104:105], off offset:16
	v_fmac_f64_e32 v[22:23], v[102:103], v[48:49]
	s_wait_loadcnt 0xf
	v_cvt_f64_f32_e32 v[102:103], v56
	v_cvt_f64_f32_e32 v[56:57], v57
	v_fmac_f64_e32 v[20:21], v[94:95], v[48:49]
	v_fmac_f64_e32 v[18:19], v[106:107], v[48:49]
	;; [unrolled: 1-line block ×3, first 2 shown]
	global_load_b128 v[46:49], v[14:15], off offset:816
	v_cvt_f64_f32_e32 v[94:95], v54
	v_cvt_f64_f32_e32 v[54:55], v55
	s_wait_xcnt 0x0
	v_add_nc_u64_e32 v[14:15], 0x400, v[14:15]
	s_wait_loadcnt 0xf
	v_fmac_f64_e32 v[22:23], v[98:99], v[58:59]
	v_fmac_f64_e32 v[20:21], v[96:97], v[58:59]
	;; [unrolled: 1-line block ×4, first 2 shown]
	s_wait_loadcnt 0xe
	v_cvt_f64_f32_e32 v[58:59], v62
	v_cvt_f64_f32_e32 v[62:63], v63
	;; [unrolled: 1-line block ×4, first 2 shown]
	v_fmac_f64_e32 v[22:23], v[54:55], v[60:61]
	s_wait_loadcnt 0xd
	v_cvt_f64_f32_e32 v[54:55], v66
	v_fmac_f64_e32 v[20:21], v[94:95], v[60:61]
	v_fmac_f64_e32 v[18:19], v[102:103], v[60:61]
	;; [unrolled: 1-line block ×3, first 2 shown]
	v_cvt_f64_f32_e32 v[56:57], v67
	v_cvt_f64_f32_e32 v[60:61], v68
	;; [unrolled: 1-line block ×3, first 2 shown]
	s_wait_loadcnt 0xb
	v_cvt_f64_f32_e32 v[68:69], v77
	v_fmac_f64_e32 v[22:23], v[62:63], v[70:71]
	v_cvt_f64_f32_e32 v[62:63], v75
	v_fmac_f64_e32 v[20:21], v[58:59], v[70:71]
	v_fmac_f64_e32 v[18:19], v[96:97], v[70:71]
	;; [unrolled: 1-line block ×3, first 2 shown]
	v_cvt_f64_f32_e32 v[58:59], v74
	v_cvt_f64_f32_e32 v[64:65], v76
	v_fmac_f64_e32 v[22:23], v[56:57], v[72:73]
	s_wait_loadcnt 0xa
	v_cvt_f64_f32_e32 v[56:57], v79
	v_fmac_f64_e32 v[20:21], v[54:55], v[72:73]
	v_fmac_f64_e32 v[18:19], v[60:61], v[72:73]
	;; [unrolled: 1-line block ×3, first 2 shown]
	v_cvt_f64_f32_e32 v[54:55], v78
	v_cvt_f64_f32_e32 v[60:61], v80
	;; [unrolled: 1-line block ×3, first 2 shown]
	s_wait_loadcnt 0x9
	v_fmac_f64_e32 v[22:23], v[62:63], v[82:83]
	s_wait_loadcnt 0x8
	v_cvt_f64_f32_e32 v[62:63], v87
	v_fmac_f64_e32 v[20:21], v[58:59], v[82:83]
	v_fmac_f64_e32 v[18:19], v[64:65], v[82:83]
	;; [unrolled: 1-line block ×3, first 2 shown]
	v_cvt_f64_f32_e32 v[58:59], v86
	v_cvt_f64_f32_e32 v[64:65], v88
	v_cvt_f64_f32_e32 v[68:69], v89
	v_fmac_f64_e32 v[22:23], v[56:57], v[84:85]
	s_wait_loadcnt 0x7
	v_cvt_f64_f32_e32 v[56:57], v28
	v_cvt_f64_f32_e32 v[28:29], v29
	v_fmac_f64_e32 v[20:21], v[54:55], v[84:85]
	v_fmac_f64_e32 v[18:19], v[60:61], v[84:85]
	;; [unrolled: 1-line block ×3, first 2 shown]
	v_cvt_f64_f32_e32 v[54:55], v26
	v_cvt_f64_f32_e32 v[26:27], v27
	s_wait_loadcnt 0x6
	v_fmac_f64_e32 v[22:23], v[62:63], v[30:31]
	v_fmac_f64_e32 v[20:21], v[58:59], v[30:31]
	;; [unrolled: 1-line block ×4, first 2 shown]
	s_delay_alu instid0(VALU_DEP_4) | instskip(NEXT) | instid1(VALU_DEP_4)
	v_fmac_f64_e32 v[22:23], v[26:27], v[32:33]
	v_fmac_f64_e32 v[20:21], v[54:55], v[32:33]
	s_delay_alu instid0(VALU_DEP_4) | instskip(NEXT) | instid1(VALU_DEP_4)
	v_fmac_f64_e32 v[18:19], v[56:57], v[32:33]
	v_fmac_f64_e32 v[16:17], v[28:29], v[32:33]
	s_wait_loadcnt 0x4
	v_cvt_f64_f32_e32 v[30:31], v90
	v_cvt_f64_f32_e32 v[58:59], v91
	;; [unrolled: 1-line block ×4, first 2 shown]
	s_wait_loadcnt 0x3
	v_cvt_f64_f32_e32 v[26:27], v34
	v_cvt_f64_f32_e32 v[28:29], v35
	;; [unrolled: 1-line block ×4, first 2 shown]
	s_wait_loadcnt 0x2
	v_cvt_f64_f32_e32 v[36:37], v43
	v_fmac_f64_e32 v[20:21], v[30:31], v[38:39]
	v_fmac_f64_e32 v[22:23], v[58:59], v[38:39]
	;; [unrolled: 1-line block ×4, first 2 shown]
	v_cvt_f64_f32_e32 v[30:31], v42
	v_cvt_f64_f32_e32 v[38:39], v44
	;; [unrolled: 1-line block ×3, first 2 shown]
	v_fmac_f64_e32 v[20:21], v[26:27], v[40:41]
	v_fmac_f64_e32 v[22:23], v[28:29], v[40:41]
	;; [unrolled: 1-line block ×4, first 2 shown]
	s_wait_loadcnt 0x0
	v_cvt_f64_f32_e32 v[26:27], v46
	v_cvt_f64_f32_e32 v[28:29], v47
	;; [unrolled: 1-line block ×4, first 2 shown]
	v_fmac_f64_e32 v[20:21], v[30:31], v[50:51]
	v_fmac_f64_e32 v[22:23], v[36:37], v[50:51]
	;; [unrolled: 1-line block ×4, first 2 shown]
	s_delay_alu instid0(VALU_DEP_4) | instskip(NEXT) | instid1(VALU_DEP_4)
	v_fmac_f64_e32 v[20:21], v[26:27], v[52:53]
	v_fmac_f64_e32 v[22:23], v[28:29], v[52:53]
	s_delay_alu instid0(VALU_DEP_4) | instskip(NEXT) | instid1(VALU_DEP_4)
	v_fmac_f64_e32 v[18:19], v[32:33], v[52:53]
	v_fmac_f64_e32 v[16:17], v[34:35], v[52:53]
	s_and_not1_b32 exec_lo, exec_lo, s6
	s_cbranch_execnz .LBB160_35
; %bb.36:
	s_or_b32 exec_lo, exec_lo, s6
.LBB160_37:
	s_delay_alu instid0(SALU_CYCLE_1)
	s_or_b32 exec_lo, exec_lo, s2
.LBB160_38:
	s_delay_alu instid0(SALU_CYCLE_1)
	s_or_b32 exec_lo, exec_lo, s3
.LBB160_39:
	v_mbcnt_lo_u32_b32 v1, -1, 0
	s_delay_alu instid0(VALU_DEP_1) | instskip(NEXT) | instid1(VALU_DEP_1)
	v_xor_b32_e32 v4, 2, v1
	v_cmp_gt_i32_e32 vcc_lo, 32, v4
	v_cndmask_b32_e32 v4, v1, v4, vcc_lo
	s_delay_alu instid0(VALU_DEP_1)
	v_lshlrev_b32_e32 v12, 2, v4
	ds_bpermute_b32 v4, v12, v20
	ds_bpermute_b32 v5, v12, v21
	;; [unrolled: 1-line block ×8, first 2 shown]
	s_wait_dscnt 0x6
	v_add_f64_e32 v[14:15], v[20:21], v[4:5]
	s_wait_dscnt 0x4
	v_add_f64_e32 v[12:13], v[22:23], v[6:7]
	;; [unrolled: 2-line block ×3, first 2 shown]
	s_wait_dscnt 0x0
	v_dual_add_f64 v[6:7], v[16:17], v[26:27] :: v_dual_bitop2_b32 v16, 1, v1 bitop3:0x14
	s_delay_alu instid0(VALU_DEP_1) | instskip(SKIP_2) | instid1(VALU_DEP_2)
	v_cmp_gt_i32_e32 vcc_lo, 32, v16
	v_cndmask_b32_e32 v1, v1, v16, vcc_lo
	v_cmp_eq_u32_e32 vcc_lo, 3, v0
	v_lshlrev_b32_e32 v1, 2, v1
	ds_bpermute_b32 v22, v1, v14
	ds_bpermute_b32 v23, v1, v15
	;; [unrolled: 1-line block ×8, first 2 shown]
	s_and_b32 exec_lo, exec_lo, vcc_lo
	s_cbranch_execz .LBB160_10
; %bb.40:
	s_wait_dscnt 0x6
	v_add_f64_e32 v[0:1], v[14:15], v[22:23]
	s_wait_dscnt 0x4
	v_add_f64_e32 v[12:13], v[12:13], v[20:21]
	;; [unrolled: 2-line block ×4, first 2 shown]
	s_load_b64 s[0:1], s[0:1], 0x58
	v_lshlrev_b64_e32 v[10:11], 5, v[10:11]
	s_mov_b32 s2, exec_lo
	v_mul_f64_e32 v[4:5], v[2:3], v[0:1]
	v_mul_f64_e32 v[6:7], v[2:3], v[12:13]
	;; [unrolled: 1-line block ×4, first 2 shown]
	v_cmpx_eq_f64_e32 0, v[8:9]
	s_xor_b32 s2, exec_lo, s2
	s_cbranch_execz .LBB160_42
; %bb.41:
	s_wait_kmcnt 0x0
	v_add_nc_u64_e32 v[8:9], s[0:1], v[10:11]
                                        ; implicit-def: $vgpr10_vgpr11
	s_clause 0x1
	global_store_b128 v[8:9], v[4:7], off
	global_store_b128 v[8:9], v[0:3], off offset:16
                                        ; implicit-def: $vgpr8_vgpr9
                                        ; implicit-def: $vgpr4_vgpr5
                                        ; implicit-def: $vgpr0_vgpr1
.LBB160_42:
	s_wait_xcnt 0x0
	s_and_not1_saveexec_b32 s2, s2
	s_cbranch_execz .LBB160_10
; %bb.43:
	s_wait_kmcnt 0x0
	v_add_nc_u64_e32 v[18:19], s[0:1], v[10:11]
	s_clause 0x1
	global_load_b128 v[10:13], v[18:19], off
	global_load_b128 v[14:17], v[18:19], off offset:16
	s_wait_loadcnt 0x1
	v_fmac_f64_e32 v[4:5], v[8:9], v[10:11]
	v_fmac_f64_e32 v[6:7], v[8:9], v[12:13]
	s_wait_loadcnt 0x0
	v_fmac_f64_e32 v[0:1], v[8:9], v[14:15]
	v_fmac_f64_e32 v[2:3], v[8:9], v[16:17]
	s_clause 0x1
	global_store_b128 v[18:19], v[4:7], off
	global_store_b128 v[18:19], v[0:3], off offset:16
	s_sendmsg sendmsg(MSG_DEALLOC_VGPRS)
	s_endpgm
	.section	.rodata,"a",@progbits
	.p2align	6, 0x0
	.amdhsa_kernel _ZN9rocsparseL18bsrxmvn_4x4_kernelILj128ELj4EdllfddEEvT3_20rocsparse_direction_NS_24const_host_device_scalarIT1_EES1_PKS1_PKT2_SA_S7_PKT4_PKT5_S5_PT6_21rocsparse_index_base_b
		.amdhsa_group_segment_fixed_size 0
		.amdhsa_private_segment_fixed_size 0
		.amdhsa_kernarg_size 104
		.amdhsa_user_sgpr_count 2
		.amdhsa_user_sgpr_dispatch_ptr 0
		.amdhsa_user_sgpr_queue_ptr 0
		.amdhsa_user_sgpr_kernarg_segment_ptr 1
		.amdhsa_user_sgpr_dispatch_id 0
		.amdhsa_user_sgpr_kernarg_preload_length 0
		.amdhsa_user_sgpr_kernarg_preload_offset 0
		.amdhsa_user_sgpr_private_segment_size 0
		.amdhsa_wavefront_size32 1
		.amdhsa_uses_dynamic_stack 0
		.amdhsa_enable_private_segment 0
		.amdhsa_system_sgpr_workgroup_id_x 1
		.amdhsa_system_sgpr_workgroup_id_y 0
		.amdhsa_system_sgpr_workgroup_id_z 0
		.amdhsa_system_sgpr_workgroup_info 0
		.amdhsa_system_vgpr_workitem_id 0
		.amdhsa_next_free_vgpr 122
		.amdhsa_next_free_sgpr 12
		.amdhsa_named_barrier_count 0
		.amdhsa_reserve_vcc 1
		.amdhsa_float_round_mode_32 0
		.amdhsa_float_round_mode_16_64 0
		.amdhsa_float_denorm_mode_32 3
		.amdhsa_float_denorm_mode_16_64 3
		.amdhsa_fp16_overflow 0
		.amdhsa_memory_ordered 1
		.amdhsa_forward_progress 1
		.amdhsa_inst_pref_size 34
		.amdhsa_round_robin_scheduling 0
		.amdhsa_exception_fp_ieee_invalid_op 0
		.amdhsa_exception_fp_denorm_src 0
		.amdhsa_exception_fp_ieee_div_zero 0
		.amdhsa_exception_fp_ieee_overflow 0
		.amdhsa_exception_fp_ieee_underflow 0
		.amdhsa_exception_fp_ieee_inexact 0
		.amdhsa_exception_int_div_zero 0
	.end_amdhsa_kernel
	.section	.text._ZN9rocsparseL18bsrxmvn_4x4_kernelILj128ELj4EdllfddEEvT3_20rocsparse_direction_NS_24const_host_device_scalarIT1_EES1_PKS1_PKT2_SA_S7_PKT4_PKT5_S5_PT6_21rocsparse_index_base_b,"axG",@progbits,_ZN9rocsparseL18bsrxmvn_4x4_kernelILj128ELj4EdllfddEEvT3_20rocsparse_direction_NS_24const_host_device_scalarIT1_EES1_PKS1_PKT2_SA_S7_PKT4_PKT5_S5_PT6_21rocsparse_index_base_b,comdat
.Lfunc_end160:
	.size	_ZN9rocsparseL18bsrxmvn_4x4_kernelILj128ELj4EdllfddEEvT3_20rocsparse_direction_NS_24const_host_device_scalarIT1_EES1_PKS1_PKT2_SA_S7_PKT4_PKT5_S5_PT6_21rocsparse_index_base_b, .Lfunc_end160-_ZN9rocsparseL18bsrxmvn_4x4_kernelILj128ELj4EdllfddEEvT3_20rocsparse_direction_NS_24const_host_device_scalarIT1_EES1_PKS1_PKT2_SA_S7_PKT4_PKT5_S5_PT6_21rocsparse_index_base_b
                                        ; -- End function
	.set _ZN9rocsparseL18bsrxmvn_4x4_kernelILj128ELj4EdllfddEEvT3_20rocsparse_direction_NS_24const_host_device_scalarIT1_EES1_PKS1_PKT2_SA_S7_PKT4_PKT5_S5_PT6_21rocsparse_index_base_b.num_vgpr, 122
	.set _ZN9rocsparseL18bsrxmvn_4x4_kernelILj128ELj4EdllfddEEvT3_20rocsparse_direction_NS_24const_host_device_scalarIT1_EES1_PKS1_PKT2_SA_S7_PKT4_PKT5_S5_PT6_21rocsparse_index_base_b.num_agpr, 0
	.set _ZN9rocsparseL18bsrxmvn_4x4_kernelILj128ELj4EdllfddEEvT3_20rocsparse_direction_NS_24const_host_device_scalarIT1_EES1_PKS1_PKT2_SA_S7_PKT4_PKT5_S5_PT6_21rocsparse_index_base_b.numbered_sgpr, 12
	.set _ZN9rocsparseL18bsrxmvn_4x4_kernelILj128ELj4EdllfddEEvT3_20rocsparse_direction_NS_24const_host_device_scalarIT1_EES1_PKS1_PKT2_SA_S7_PKT4_PKT5_S5_PT6_21rocsparse_index_base_b.num_named_barrier, 0
	.set _ZN9rocsparseL18bsrxmvn_4x4_kernelILj128ELj4EdllfddEEvT3_20rocsparse_direction_NS_24const_host_device_scalarIT1_EES1_PKS1_PKT2_SA_S7_PKT4_PKT5_S5_PT6_21rocsparse_index_base_b.private_seg_size, 0
	.set _ZN9rocsparseL18bsrxmvn_4x4_kernelILj128ELj4EdllfddEEvT3_20rocsparse_direction_NS_24const_host_device_scalarIT1_EES1_PKS1_PKT2_SA_S7_PKT4_PKT5_S5_PT6_21rocsparse_index_base_b.uses_vcc, 1
	.set _ZN9rocsparseL18bsrxmvn_4x4_kernelILj128ELj4EdllfddEEvT3_20rocsparse_direction_NS_24const_host_device_scalarIT1_EES1_PKS1_PKT2_SA_S7_PKT4_PKT5_S5_PT6_21rocsparse_index_base_b.uses_flat_scratch, 0
	.set _ZN9rocsparseL18bsrxmvn_4x4_kernelILj128ELj4EdllfddEEvT3_20rocsparse_direction_NS_24const_host_device_scalarIT1_EES1_PKS1_PKT2_SA_S7_PKT4_PKT5_S5_PT6_21rocsparse_index_base_b.has_dyn_sized_stack, 0
	.set _ZN9rocsparseL18bsrxmvn_4x4_kernelILj128ELj4EdllfddEEvT3_20rocsparse_direction_NS_24const_host_device_scalarIT1_EES1_PKS1_PKT2_SA_S7_PKT4_PKT5_S5_PT6_21rocsparse_index_base_b.has_recursion, 0
	.set _ZN9rocsparseL18bsrxmvn_4x4_kernelILj128ELj4EdllfddEEvT3_20rocsparse_direction_NS_24const_host_device_scalarIT1_EES1_PKS1_PKT2_SA_S7_PKT4_PKT5_S5_PT6_21rocsparse_index_base_b.has_indirect_call, 0
	.section	.AMDGPU.csdata,"",@progbits
; Kernel info:
; codeLenInByte = 4308
; TotalNumSgprs: 14
; NumVgprs: 122
; ScratchSize: 0
; MemoryBound: 0
; FloatMode: 240
; IeeeMode: 1
; LDSByteSize: 0 bytes/workgroup (compile time only)
; SGPRBlocks: 0
; VGPRBlocks: 7
; NumSGPRsForWavesPerEU: 14
; NumVGPRsForWavesPerEU: 122
; NamedBarCnt: 0
; Occupancy: 8
; WaveLimiterHint : 1
; COMPUTE_PGM_RSRC2:SCRATCH_EN: 0
; COMPUTE_PGM_RSRC2:USER_SGPR: 2
; COMPUTE_PGM_RSRC2:TRAP_HANDLER: 0
; COMPUTE_PGM_RSRC2:TGID_X_EN: 1
; COMPUTE_PGM_RSRC2:TGID_Y_EN: 0
; COMPUTE_PGM_RSRC2:TGID_Z_EN: 0
; COMPUTE_PGM_RSRC2:TIDIG_COMP_CNT: 0
	.section	.text._ZN9rocsparseL18bsrxmvn_4x4_kernelILj128ELj8EdllfddEEvT3_20rocsparse_direction_NS_24const_host_device_scalarIT1_EES1_PKS1_PKT2_SA_S7_PKT4_PKT5_S5_PT6_21rocsparse_index_base_b,"axG",@progbits,_ZN9rocsparseL18bsrxmvn_4x4_kernelILj128ELj8EdllfddEEvT3_20rocsparse_direction_NS_24const_host_device_scalarIT1_EES1_PKS1_PKT2_SA_S7_PKT4_PKT5_S5_PT6_21rocsparse_index_base_b,comdat
	.globl	_ZN9rocsparseL18bsrxmvn_4x4_kernelILj128ELj8EdllfddEEvT3_20rocsparse_direction_NS_24const_host_device_scalarIT1_EES1_PKS1_PKT2_SA_S7_PKT4_PKT5_S5_PT6_21rocsparse_index_base_b ; -- Begin function _ZN9rocsparseL18bsrxmvn_4x4_kernelILj128ELj8EdllfddEEvT3_20rocsparse_direction_NS_24const_host_device_scalarIT1_EES1_PKS1_PKT2_SA_S7_PKT4_PKT5_S5_PT6_21rocsparse_index_base_b
	.p2align	8
	.type	_ZN9rocsparseL18bsrxmvn_4x4_kernelILj128ELj8EdllfddEEvT3_20rocsparse_direction_NS_24const_host_device_scalarIT1_EES1_PKS1_PKT2_SA_S7_PKT4_PKT5_S5_PT6_21rocsparse_index_base_b,@function
_ZN9rocsparseL18bsrxmvn_4x4_kernelILj128ELj8EdllfddEEvT3_20rocsparse_direction_NS_24const_host_device_scalarIT1_EES1_PKS1_PKT2_SA_S7_PKT4_PKT5_S5_PT6_21rocsparse_index_base_b: ; @_ZN9rocsparseL18bsrxmvn_4x4_kernelILj128ELj8EdllfddEEvT3_20rocsparse_direction_NS_24const_host_device_scalarIT1_EES1_PKS1_PKT2_SA_S7_PKT4_PKT5_S5_PT6_21rocsparse_index_base_b
; %bb.0:
	s_clause 0x2
	s_load_b64 s[8:9], s[0:1], 0x60
	s_load_b128 s[4:7], s[0:1], 0x10
	s_load_b64 s[2:3], s[0:1], 0x50
	s_wait_kmcnt 0x0
	s_bitcmp1_b32 s9, 0
	v_mov_b64_e32 v[2:3], s[4:5]
	s_cselect_b32 s9, -1, 0
	s_delay_alu instid0(SALU_CYCLE_1)
	s_and_b32 vcc_lo, exec_lo, s9
	s_xor_b32 s9, s9, -1
	s_cbranch_vccnz .LBB161_2
; %bb.1:
	v_mov_b32_e32 v1, 0
	flat_load_b64 v[2:3], v1, s[4:5]
.LBB161_2:
	v_mov_b64_e32 v[8:9], s[2:3]
	s_and_not1_b32 vcc_lo, exec_lo, s9
	s_cbranch_vccnz .LBB161_4
; %bb.3:
	s_wait_xcnt 0x0
	v_mov_b32_e32 v1, 0
	flat_load_b64 v[8:9], v1, s[2:3]
.LBB161_4:
	s_wait_loadcnt_dscnt 0x0
	v_cmp_neq_f64_e32 vcc_lo, 0, v[2:3]
	s_delay_alu instid0(VALU_DEP_2) | instskip(SKIP_1) | instid1(SALU_CYCLE_1)
	v_cmp_neq_f64_e64 s2, 1.0, v[8:9]
	s_or_b32 s2, vcc_lo, s2
	s_and_saveexec_b32 s3, s2
	s_cbranch_execz .LBB161_10
; %bb.5:
	s_load_b64 s[2:3], s[0:1], 0x20
	s_bfe_u32 s4, ttmp6, 0x4000c
	s_and_b32 s5, ttmp6, 15
	s_add_co_i32 s4, s4, 1
	s_getreg_b32 s9, hwreg(HW_REG_IB_STS2, 6, 4)
	s_mul_i32 s4, ttmp9, s4
	v_dual_lshrrev_b32 v1, 3, v0 :: v_dual_mov_b32 v7, 0
	s_add_co_i32 s5, s5, s4
	s_cmp_eq_u32 s9, 0
	s_cselect_b32 s4, ttmp9, s5
	s_delay_alu instid0(VALU_DEP_1) | instid1(SALU_CYCLE_1)
	v_lshl_or_b32 v6, s4, 4, v1
	s_mov_b32 s4, 0
	s_wait_kmcnt 0x0
	s_cmp_lg_u64 s[2:3], 0
	s_cbranch_scc0 .LBB161_11
; %bb.6:
	v_cmp_gt_i64_e32 vcc_lo, s[6:7], v[6:7]
	s_mov_b32 s5, 0
                                        ; implicit-def: $vgpr10_vgpr11
                                        ; implicit-def: $vgpr4_vgpr5
	s_and_saveexec_b32 s6, vcc_lo
	s_delay_alu instid0(SALU_CYCLE_1)
	s_xor_b32 s6, exec_lo, s6
	s_cbranch_execz .LBB161_8
; %bb.7:
	v_lshl_add_u64 v[4:5], v[6:7], 3, s[2:3]
	s_mov_b32 s9, 0
	s_mov_b32 s4, exec_lo
	global_load_b64 v[4:5], v[4:5], off
	s_wait_loadcnt 0x0
	v_sub_nc_u64_e64 v[10:11], v[4:5], s[8:9]
	v_mov_b64_e32 v[4:5], s[8:9]
.LBB161_8:
	s_or_b32 exec_lo, exec_lo, s6
	s_delay_alu instid0(SALU_CYCLE_1)
	s_and_b32 vcc_lo, exec_lo, s5
	s_cbranch_vccnz .LBB161_12
.LBB161_9:
	s_and_b32 exec_lo, exec_lo, s4
	s_cbranch_execnz .LBB161_15
.LBB161_10:
	s_sendmsg sendmsg(MSG_DEALLOC_VGPRS)
	s_endpgm
.LBB161_11:
                                        ; implicit-def: $vgpr10_vgpr11
                                        ; implicit-def: $vgpr4_vgpr5
	s_cbranch_execz .LBB161_9
.LBB161_12:
	s_load_b64 s[2:3], s[0:1], 0x0
	s_wait_kmcnt 0x0
	v_cmp_gt_i64_e32 vcc_lo, s[2:3], v[6:7]
	s_and_saveexec_b32 s2, vcc_lo
; %bb.13:
	s_mov_b32 s9, 0
	s_or_b32 s4, s4, exec_lo
; %bb.14:
	s_or_b32 exec_lo, exec_lo, s2
	v_mov_b64_e32 v[4:5], s[8:9]
	v_mov_b64_e32 v[10:11], v[6:7]
	s_and_b32 exec_lo, exec_lo, s4
	s_cbranch_execz .LBB161_10
.LBB161_15:
	s_load_b256 s[4:11], s[0:1], 0x28
	s_delay_alu instid0(VALU_DEP_1) | instskip(SKIP_3) | instid1(VALU_DEP_2)
	v_lshlrev_b64_e32 v[6:7], 3, v[10:11]
	v_dual_mov_b32 v1, 0 :: v_dual_bitop2_b32 v0, 7, v0 bitop3:0x40
	s_load_b32 s3, s[0:1], 0x8
	s_wait_kmcnt 0x0
	v_add_nc_u64_e32 v[12:13], s[4:5], v[6:7]
	v_add_nc_u64_e32 v[6:7], s[6:7], v[6:7]
	s_cmp_eq_u64 s[6:7], 0
	s_load_b64 s[4:5], s[0:1], 0x48
	s_cselect_b32 vcc_lo, -1, 0
	s_cmp_eq_u32 s3, 1
	global_load_b64 v[24:25], v[12:13], off
	s_wait_xcnt 0x0
	v_add_nc_u64_e32 v[12:13], 8, v[12:13]
	s_delay_alu instid0(VALU_DEP_1) | instskip(SKIP_4) | instid1(VALU_DEP_1)
	v_dual_cndmask_b32 v7, v7, v13 :: v_dual_cndmask_b32 v6, v6, v12
	global_load_b64 v[12:13], v[6:7], off
	s_wait_loadcnt 0x1
	s_wait_xcnt 0x0
	v_sub_nc_u64_e32 v[6:7], v[24:25], v[4:5]
	v_add_nc_u64_e32 v[6:7], v[6:7], v[0:1]
	s_wait_loadcnt 0x0
	v_sub_nc_u64_e32 v[14:15], v[12:13], v[4:5]
	s_delay_alu instid0(VALU_DEP_2) | instskip(NEXT) | instid1(VALU_DEP_2)
	v_lshlrev_b64_e32 v[16:17], 6, v[6:7]
	v_cmp_lt_i64_e64 s2, v[6:7], v[14:15]
	s_delay_alu instid0(VALU_DEP_2)
	v_add_nc_u64_e32 v[16:17], s[10:11], v[16:17]
	s_cbranch_scc1 .LBB161_27
; %bb.16:
	v_mov_b64_e32 v[12:13], 0
	v_mov_b64_e32 v[18:19], 0
	;; [unrolled: 1-line block ×4, first 2 shown]
	s_and_saveexec_b32 s3, s2
	s_cbranch_execz .LBB161_26
; %bb.17:
	v_dual_mov_b32 v13, v1 :: v_dual_bitop2_b32 v12, 8, v0 bitop3:0x54
	v_sub_nc_u64_e32 v[18:19], v[4:5], v[0:1]
	v_not_b32_e32 v21, v25
	v_not_b32_e32 v20, v24
	v_mov_b64_e32 v[22:23], 0
	v_sub_nc_u64_e32 v[12:13], v[12:13], v[4:5]
	v_mov_b64_e32 v[26:27], v[6:7]
	v_mov_b64_e32 v[28:29], v[16:17]
	v_add_nc_u64_e32 v[18:19], v[18:19], v[20:21]
	v_mov_b64_e32 v[20:21], 0
	s_mov_b32 s6, exec_lo
	v_add_nc_u64_e32 v[12:13], v[12:13], v[24:25]
	s_delay_alu instid0(VALU_DEP_1) | instskip(NEXT) | instid1(VALU_DEP_1)
	v_max_i64 v[12:13], v[12:13], v[14:15]
	v_add_nc_u64_e32 v[30:31], v[18:19], v[12:13]
	v_mov_b64_e32 v[18:19], 0
	v_mov_b64_e32 v[12:13], 0
	s_delay_alu instid0(VALU_DEP_3) | instskip(NEXT) | instid1(VALU_DEP_1)
	v_dual_mov_b32 v35, 0 :: v_dual_bitop2_b32 v34, 24, v30 bitop3:0x40
	v_cmpx_ne_u64_e32 24, v[34:35]
	s_cbranch_execz .LBB161_21
; %bb.18:
	v_lshrrev_b32_e32 v12, 3, v30
	v_mov_b64_e32 v[18:19], 0
	v_mov_b64_e32 v[22:23], 0
	;; [unrolled: 1-line block ×4, first 2 shown]
	v_add_nc_u32_e32 v12, 1, v12
	v_mov_b64_e32 v[26:27], v[6:7]
	v_lshl_add_u64 v[32:33], v[6:7], 3, s[8:9]
	s_mov_b32 s7, 0
	s_delay_alu instid0(VALU_DEP_3) | instskip(SKIP_1) | instid1(VALU_DEP_2)
	v_and_b32_e32 v34, 3, v12
	v_mov_b64_e32 v[12:13], 0
	v_sub_nc_u64_e32 v[34:35], 0, v[34:35]
.LBB161_19:                             ; =>This Inner Loop Header: Depth=1
	global_load_b64 v[52:53], v[32:33], off
	s_clause 0x3
	global_load_b128 v[36:39], v[28:29], off
	global_load_b128 v[40:43], v[28:29], off offset:16
	global_load_b128 v[44:47], v[28:29], off offset:32
	;; [unrolled: 1-line block ×3, first 2 shown]
	v_add_nc_u64_e32 v[34:35], 1, v[34:35]
	s_wait_xcnt 0x0
	v_add_nc_u64_e32 v[28:29], 0x200, v[28:29]
	v_add_nc_u64_e32 v[26:27], 8, v[26:27]
	;; [unrolled: 1-line block ×3, first 2 shown]
	s_delay_alu instid0(VALU_DEP_4)
	v_cmp_eq_u64_e32 vcc_lo, 0, v[34:35]
	s_or_b32 s7, vcc_lo, s7
	s_wait_loadcnt 0x4
	v_sub_nc_u64_e32 v[52:53], v[52:53], v[4:5]
	s_wait_loadcnt 0x2
	v_cvt_f64_f32_e32 v[62:63], v40
	s_wait_loadcnt 0x1
	v_cvt_f64_f32_e32 v[64:65], v44
	;; [unrolled: 2-line block ×3, first 2 shown]
	v_cvt_f64_f32_e32 v[40:41], v41
	v_cvt_f64_f32_e32 v[44:45], v45
	v_lshlrev_b64_e32 v[52:53], 5, v[52:53]
	v_cvt_f64_f32_e32 v[48:49], v49
	s_wait_kmcnt 0x0
	s_delay_alu instid0(VALU_DEP_2)
	v_add_nc_u64_e32 v[60:61], s[4:5], v[52:53]
	s_clause 0x1
	global_load_b128 v[52:55], v[60:61], off
	global_load_b128 v[56:59], v[60:61], off offset:16
	s_wait_xcnt 0x0
	v_cvt_f64_f32_e32 v[60:61], v36
	v_cvt_f64_f32_e32 v[36:37], v37
	s_wait_loadcnt 0x1
	s_delay_alu instid0(VALU_DEP_2)
	v_fmac_f64_e32 v[20:21], v[60:61], v[52:53]
	v_fmac_f64_e32 v[22:23], v[62:63], v[52:53]
	;; [unrolled: 1-line block ×4, first 2 shown]
	v_cvt_f64_f32_e32 v[52:53], v38
	v_cvt_f64_f32_e32 v[60:61], v42
	;; [unrolled: 1-line block ×4, first 2 shown]
	v_fmac_f64_e32 v[20:21], v[36:37], v[54:55]
	v_fmac_f64_e32 v[22:23], v[40:41], v[54:55]
	;; [unrolled: 1-line block ×4, first 2 shown]
	v_cvt_f64_f32_e32 v[36:37], v39
	v_cvt_f64_f32_e32 v[38:39], v43
	;; [unrolled: 1-line block ×4, first 2 shown]
	s_wait_loadcnt 0x0
	v_fmac_f64_e32 v[20:21], v[52:53], v[56:57]
	v_fmac_f64_e32 v[22:23], v[60:61], v[56:57]
	;; [unrolled: 1-line block ×4, first 2 shown]
	s_delay_alu instid0(VALU_DEP_4) | instskip(NEXT) | instid1(VALU_DEP_4)
	v_fmac_f64_e32 v[20:21], v[36:37], v[58:59]
	v_fmac_f64_e32 v[22:23], v[38:39], v[58:59]
	s_delay_alu instid0(VALU_DEP_4) | instskip(NEXT) | instid1(VALU_DEP_4)
	v_fmac_f64_e32 v[18:19], v[40:41], v[58:59]
	v_fmac_f64_e32 v[12:13], v[42:43], v[58:59]
	s_and_not1_b32 exec_lo, exec_lo, s7
	s_cbranch_execnz .LBB161_19
; %bb.20:
	s_or_b32 exec_lo, exec_lo, s7
.LBB161_21:
	s_delay_alu instid0(SALU_CYCLE_1) | instskip(NEXT) | instid1(SALU_CYCLE_1)
	s_or_b32 exec_lo, exec_lo, s6
	s_mov_b32 s6, exec_lo
	v_cmpx_lt_u64_e32 23, v[30:31]
	s_cbranch_execz .LBB161_25
; %bb.22:
	v_lshl_add_u64 v[30:31], v[26:27], 3, s[8:9]
	s_mov_b32 s7, 0
	s_delay_alu instid0(VALU_DEP_1)
	v_add_nc_u64_e32 v[30:31], 0x80, v[30:31]
.LBB161_23:                             ; =>This Inner Loop Header: Depth=1
	s_clause 0x2
	global_load_b64 v[48:49], v[30:31], off offset:-128
	global_load_b64 v[72:73], v[30:31], off offset:-64
	global_load_b64 v[96:97], v[30:31], off
	s_clause 0x3
	global_load_b128 v[32:35], v[28:29], off
	global_load_b128 v[36:39], v[28:29], off offset:16
	global_load_b128 v[40:43], v[28:29], off offset:32
	;; [unrolled: 1-line block ×3, first 2 shown]
	global_load_b64 v[116:117], v[30:31], off offset:64
	v_add_nc_u64_e32 v[26:27], 32, v[26:27]
	s_wait_xcnt 0x0
	v_add_nc_u64_e32 v[30:31], 0x100, v[30:31]
	s_delay_alu instid0(VALU_DEP_2)
	v_cmp_ge_i64_e32 vcc_lo, v[26:27], v[14:15]
	s_or_b32 s7, vcc_lo, s7
	s_wait_loadcnt 0x7
	v_sub_nc_u64_e32 v[48:49], v[48:49], v[4:5]
	s_wait_loadcnt 0x6
	v_sub_nc_u64_e32 v[72:73], v[72:73], v[4:5]
	;; [unrolled: 2-line block ×3, first 2 shown]
	s_wait_loadcnt 0x4
	v_cvt_f64_f32_e32 v[104:105], v32
	s_wait_loadcnt 0x3
	v_cvt_f64_f32_e32 v[106:107], v36
	;; [unrolled: 2-line block ×4, first 2 shown]
	v_lshlrev_b64_e32 v[48:49], 5, v[48:49]
	v_lshlrev_b64_e32 v[72:73], 5, v[72:73]
	;; [unrolled: 1-line block ×3, first 2 shown]
	v_cvt_f64_f32_e32 v[32:33], v33
	v_cvt_f64_f32_e32 v[36:37], v37
	;; [unrolled: 1-line block ×4, first 2 shown]
	s_wait_kmcnt 0x0
	v_add_nc_u64_e32 v[74:75], s[4:5], v[48:49]
	v_add_nc_u64_e32 v[98:99], s[4:5], v[72:73]
	;; [unrolled: 1-line block ×3, first 2 shown]
	v_cvt_f64_f32_e32 v[118:119], v42
	v_cvt_f64_f32_e32 v[120:121], v46
	v_cvt_f64_f32_e32 v[42:43], v43
	v_cvt_f64_f32_e32 v[46:47], v47
	s_clause 0x1
	global_load_b128 v[48:51], v[74:75], off
	global_load_b128 v[52:55], v[74:75], off offset:16
	s_clause 0x3
	global_load_b128 v[56:59], v[28:29], off offset:512
	global_load_b128 v[60:63], v[28:29], off offset:528
	;; [unrolled: 1-line block ×4, first 2 shown]
	s_clause 0x1
	global_load_b128 v[72:75], v[98:99], off
	global_load_b128 v[76:79], v[98:99], off offset:16
	s_clause 0x3
	global_load_b128 v[80:83], v[28:29], off offset:1024
	global_load_b128 v[84:87], v[28:29], off offset:1040
	global_load_b128 v[88:91], v[28:29], off offset:1056
	global_load_b128 v[92:95], v[28:29], off offset:1072
	s_clause 0x1
	global_load_b128 v[96:99], v[100:101], off
	global_load_b128 v[100:103], v[100:101], off offset:16
	s_wait_loadcnt 0xd
	v_fmac_f64_e32 v[20:21], v[104:105], v[48:49]
	v_fmac_f64_e32 v[22:23], v[106:107], v[48:49]
	;; [unrolled: 1-line block ×4, first 2 shown]
	s_clause 0x2
	global_load_b128 v[104:107], v[28:29], off offset:1568
	global_load_b128 v[108:111], v[28:29], off offset:1552
	;; [unrolled: 1-line block ×3, first 2 shown]
	v_fmac_f64_e32 v[20:21], v[32:33], v[50:51]
	v_fmac_f64_e32 v[22:23], v[36:37], v[50:51]
	;; [unrolled: 1-line block ×4, first 2 shown]
	global_load_b128 v[48:51], v[28:29], off offset:1584
	v_cvt_f64_f32_e32 v[36:37], v34
	v_cvt_f64_f32_e32 v[44:45], v38
	v_sub_nc_u64_e32 v[32:33], v[116:117], v[4:5]
	v_cvt_f64_f32_e32 v[40:41], v35
	v_cvt_f64_f32_e32 v[38:39], v39
	s_wait_xcnt 0x0
	v_add_nc_u64_e32 v[28:29], 0x800, v[28:29]
	s_delay_alu instid0(VALU_DEP_4) | instskip(NEXT) | instid1(VALU_DEP_1)
	v_lshlrev_b64_e32 v[32:33], 5, v[32:33]
	v_add_nc_u64_e32 v[116:117], s[4:5], v[32:33]
	global_load_b128 v[32:35], v[116:117], off
	s_wait_loadcnt 0x11
	v_fmac_f64_e32 v[18:19], v[118:119], v[52:53]
	v_fmac_f64_e32 v[12:13], v[120:121], v[52:53]
	s_wait_loadcnt 0xe
	v_cvt_f64_f32_e32 v[118:119], v64
	v_fmac_f64_e32 v[20:21], v[36:37], v[52:53]
	v_fmac_f64_e32 v[22:23], v[44:45], v[52:53]
	v_cvt_f64_f32_e32 v[44:45], v56
	v_cvt_f64_f32_e32 v[52:53], v60
	s_wait_loadcnt 0xd
	v_cvt_f64_f32_e32 v[120:121], v68
	v_fmac_f64_e32 v[18:19], v[42:43], v[54:55]
	v_fmac_f64_e32 v[12:13], v[46:47], v[54:55]
	v_cvt_f64_f32_e32 v[42:43], v61
	v_fmac_f64_e32 v[20:21], v[40:41], v[54:55]
	v_fmac_f64_e32 v[22:23], v[38:39], v[54:55]
	v_cvt_f64_f32_e32 v[40:41], v57
	v_cvt_f64_f32_e32 v[46:47], v65
	v_cvt_f64_f32_e32 v[54:55], v69
	global_load_b128 v[36:39], v[116:117], off offset:16
	v_cvt_f64_f32_e32 v[56:57], v66
	v_cvt_f64_f32_e32 v[60:61], v70
	s_wait_loadcnt 0xd
	v_fmac_f64_e32 v[18:19], v[118:119], v[72:73]
	v_fmac_f64_e32 v[12:13], v[120:121], v[72:73]
	;; [unrolled: 1-line block ×4, first 2 shown]
	v_cvt_f64_f32_e32 v[44:45], v58
	v_cvt_f64_f32_e32 v[52:53], v62
	v_fmac_f64_e32 v[18:19], v[46:47], v[74:75]
	v_fmac_f64_e32 v[12:13], v[54:55], v[74:75]
	v_cvt_f64_f32_e32 v[46:47], v67
	v_fmac_f64_e32 v[20:21], v[40:41], v[74:75]
	v_fmac_f64_e32 v[22:23], v[42:43], v[74:75]
	v_cvt_f64_f32_e32 v[40:41], v59
	v_cvt_f64_f32_e32 v[42:43], v63
	;; [unrolled: 1-line block ×3, first 2 shown]
	s_wait_loadcnt 0x8
	v_cvt_f64_f32_e32 v[58:59], v92
	v_fmac_f64_e32 v[18:19], v[56:57], v[76:77]
	v_fmac_f64_e32 v[12:13], v[60:61], v[76:77]
	v_cvt_f64_f32_e32 v[56:57], v88
	v_fmac_f64_e32 v[20:21], v[44:45], v[76:77]
	v_fmac_f64_e32 v[22:23], v[52:53], v[76:77]
	v_cvt_f64_f32_e32 v[44:45], v80
	v_cvt_f64_f32_e32 v[52:53], v84
	v_fmac_f64_e32 v[18:19], v[46:47], v[78:79]
	v_fmac_f64_e32 v[12:13], v[54:55], v[78:79]
	v_cvt_f64_f32_e32 v[46:47], v89
	v_fmac_f64_e32 v[20:21], v[40:41], v[78:79]
	v_fmac_f64_e32 v[22:23], v[42:43], v[78:79]
	v_cvt_f64_f32_e32 v[40:41], v81
	v_cvt_f64_f32_e32 v[42:43], v85
	;; [unrolled: 1-line block ×3, first 2 shown]
	s_wait_loadcnt 0x7
	v_fmac_f64_e32 v[18:19], v[56:57], v[96:97]
	v_fmac_f64_e32 v[12:13], v[58:59], v[96:97]
	v_cvt_f64_f32_e32 v[56:57], v90
	v_fmac_f64_e32 v[20:21], v[44:45], v[96:97]
	v_fmac_f64_e32 v[22:23], v[52:53], v[96:97]
	v_cvt_f64_f32_e32 v[44:45], v82
	v_cvt_f64_f32_e32 v[52:53], v86
	;; [unrolled: 1-line block ×3, first 2 shown]
	v_fmac_f64_e32 v[18:19], v[46:47], v[98:99]
	v_fmac_f64_e32 v[12:13], v[54:55], v[98:99]
	v_cvt_f64_f32_e32 v[46:47], v91
	v_fmac_f64_e32 v[20:21], v[40:41], v[98:99]
	v_fmac_f64_e32 v[22:23], v[42:43], v[98:99]
	v_cvt_f64_f32_e32 v[40:41], v83
	v_cvt_f64_f32_e32 v[42:43], v87
	;; [unrolled: 1-line block ×3, first 2 shown]
	s_wait_loadcnt 0x6
	v_fmac_f64_e32 v[18:19], v[56:57], v[100:101]
	v_fmac_f64_e32 v[12:13], v[58:59], v[100:101]
	s_wait_loadcnt 0x5
	v_cvt_f64_f32_e32 v[56:57], v104
	v_fmac_f64_e32 v[20:21], v[44:45], v[100:101]
	v_fmac_f64_e32 v[22:23], v[52:53], v[100:101]
	s_wait_loadcnt 0x3
	v_cvt_f64_f32_e32 v[44:45], v112
	v_cvt_f64_f32_e32 v[52:53], v108
	v_fmac_f64_e32 v[18:19], v[46:47], v[102:103]
	v_fmac_f64_e32 v[12:13], v[54:55], v[102:103]
	s_wait_loadcnt 0x2
	v_cvt_f64_f32_e32 v[58:59], v48
	v_fmac_f64_e32 v[20:21], v[40:41], v[102:103]
	v_fmac_f64_e32 v[22:23], v[42:43], v[102:103]
	v_cvt_f64_f32_e32 v[40:41], v113
	v_cvt_f64_f32_e32 v[42:43], v109
	;; [unrolled: 1-line block ×5, first 2 shown]
	s_wait_loadcnt 0x1
	v_fmac_f64_e32 v[18:19], v[56:57], v[32:33]
	v_fmac_f64_e32 v[12:13], v[58:59], v[32:33]
	;; [unrolled: 1-line block ×4, first 2 shown]
	v_cvt_f64_f32_e32 v[32:33], v114
	v_cvt_f64_f32_e32 v[44:45], v110
	;; [unrolled: 1-line block ×3, first 2 shown]
	v_fmac_f64_e32 v[18:19], v[46:47], v[34:35]
	v_cvt_f64_f32_e32 v[46:47], v51
	v_fmac_f64_e32 v[12:13], v[48:49], v[34:35]
	v_fmac_f64_e32 v[20:21], v[40:41], v[34:35]
	;; [unrolled: 1-line block ×3, first 2 shown]
	v_cvt_f64_f32_e32 v[34:35], v115
	v_cvt_f64_f32_e32 v[40:41], v111
	;; [unrolled: 1-line block ×3, first 2 shown]
	s_wait_loadcnt 0x0
	v_fmac_f64_e32 v[18:19], v[52:53], v[36:37]
	v_fmac_f64_e32 v[12:13], v[54:55], v[36:37]
	v_fmac_f64_e32 v[20:21], v[32:33], v[36:37]
	v_fmac_f64_e32 v[22:23], v[44:45], v[36:37]
	s_delay_alu instid0(VALU_DEP_4) | instskip(NEXT) | instid1(VALU_DEP_4)
	v_fmac_f64_e32 v[18:19], v[42:43], v[38:39]
	v_fmac_f64_e32 v[12:13], v[46:47], v[38:39]
	s_delay_alu instid0(VALU_DEP_4) | instskip(NEXT) | instid1(VALU_DEP_4)
	v_fmac_f64_e32 v[20:21], v[34:35], v[38:39]
	v_fmac_f64_e32 v[22:23], v[40:41], v[38:39]
	s_and_not1_b32 exec_lo, exec_lo, s7
	s_cbranch_execnz .LBB161_23
; %bb.24:
	s_or_b32 exec_lo, exec_lo, s7
.LBB161_25:
	s_delay_alu instid0(SALU_CYCLE_1)
	s_or_b32 exec_lo, exec_lo, s6
.LBB161_26:
	s_delay_alu instid0(SALU_CYCLE_1)
	s_or_b32 exec_lo, exec_lo, s3
	s_cbranch_execz .LBB161_28
	s_branch .LBB161_39
.LBB161_27:
                                        ; implicit-def: $vgpr12_vgpr13
                                        ; implicit-def: $vgpr18_vgpr19
                                        ; implicit-def: $vgpr22_vgpr23
                                        ; implicit-def: $vgpr20_vgpr21
.LBB161_28:
	v_mov_b64_e32 v[12:13], 0
	v_mov_b64_e32 v[18:19], 0
	;; [unrolled: 1-line block ×4, first 2 shown]
	s_and_saveexec_b32 s3, s2
	s_cbranch_execz .LBB161_38
; %bb.29:
	v_dual_mov_b32 v13, v1 :: v_dual_bitop2_b32 v12, 8, v0 bitop3:0x54
	v_sub_nc_u64_e32 v[18:19], v[4:5], v[0:1]
	v_not_b32_e32 v21, v25
	v_not_b32_e32 v20, v24
	v_mov_b64_e32 v[22:23], 0
	v_sub_nc_u64_e32 v[12:13], v[12:13], v[4:5]
	s_mov_b32 s2, exec_lo
	s_delay_alu instid0(VALU_DEP_3) | instskip(SKIP_1) | instid1(VALU_DEP_3)
	v_add_nc_u64_e32 v[18:19], v[18:19], v[20:21]
	v_mov_b64_e32 v[20:21], 0
	v_add_nc_u64_e32 v[12:13], v[12:13], v[24:25]
	s_delay_alu instid0(VALU_DEP_1) | instskip(NEXT) | instid1(VALU_DEP_1)
	v_max_i64 v[12:13], v[12:13], v[14:15]
	v_add_nc_u64_e32 v[24:25], v[18:19], v[12:13]
	v_mov_b64_e32 v[18:19], 0
	v_mov_b64_e32 v[12:13], 0
	s_delay_alu instid0(VALU_DEP_3) | instskip(NEXT) | instid1(VALU_DEP_1)
	v_dual_mov_b32 v27, 0 :: v_dual_bitop2_b32 v26, 24, v24 bitop3:0x40
	v_cmpx_ne_u64_e32 24, v[26:27]
	s_cbranch_execz .LBB161_33
; %bb.30:
	v_lshrrev_b32_e32 v1, 3, v24
	v_mov_b64_e32 v[12:13], 0
	v_mov_b64_e32 v[18:19], 0
	;; [unrolled: 1-line block ×4, first 2 shown]
	v_add_nc_u32_e32 v1, 1, v1
	v_lshl_add_u64 v[28:29], v[6:7], 3, s[8:9]
	s_mov_b32 s6, 0
	s_delay_alu instid0(VALU_DEP_2) | instskip(NEXT) | instid1(VALU_DEP_1)
	v_and_b32_e32 v26, 3, v1
	v_sub_nc_u64_e32 v[26:27], 0, v[26:27]
.LBB161_31:                             ; =>This Inner Loop Header: Depth=1
	global_load_b64 v[38:39], v[28:29], off
	s_clause 0x1
	global_load_b128 v[30:33], v[16:17], off
	global_load_b128 v[34:37], v[16:17], off offset:16
	v_add_nc_u64_e32 v[26:27], 1, v[26:27]
	v_add_nc_u64_e32 v[6:7], 8, v[6:7]
	s_wait_xcnt 0x2
	v_add_nc_u64_e32 v[28:29], 64, v[28:29]
	s_delay_alu instid0(VALU_DEP_3)
	v_cmp_eq_u64_e32 vcc_lo, 0, v[26:27]
	s_or_b32 s6, vcc_lo, s6
	s_wait_loadcnt 0x2
	v_sub_nc_u64_e32 v[38:39], v[38:39], v[4:5]
	s_wait_loadcnt 0x1
	v_cvt_f64_f32_e32 v[56:57], v32
	v_cvt_f64_f32_e32 v[32:33], v33
	s_wait_loadcnt 0x0
	v_cvt_f64_f32_e32 v[58:59], v34
	v_cvt_f64_f32_e32 v[34:35], v35
	;; [unrolled: 1-line block ×4, first 2 shown]
	v_lshlrev_b64_e32 v[38:39], 5, v[38:39]
	s_wait_kmcnt 0x0
	s_delay_alu instid0(VALU_DEP_1)
	v_add_nc_u64_e32 v[54:55], s[4:5], v[38:39]
	s_clause 0x1
	global_load_b128 v[38:41], v[54:55], off
	global_load_b128 v[42:45], v[54:55], off offset:16
	s_clause 0x1
	global_load_b128 v[46:49], v[16:17], off offset:32
	global_load_b128 v[50:53], v[16:17], off offset:48
	s_wait_xcnt 0x2
	v_cvt_f64_f32_e32 v[54:55], v30
	v_cvt_f64_f32_e32 v[30:31], v31
	s_wait_xcnt 0x0
	v_add_nc_u64_e32 v[16:17], 0x200, v[16:17]
	s_wait_loadcnt 0x3
	s_delay_alu instid0(VALU_DEP_3) | instskip(NEXT) | instid1(VALU_DEP_3)
	v_fmac_f64_e32 v[20:21], v[54:55], v[38:39]
	v_fmac_f64_e32 v[22:23], v[30:31], v[38:39]
	;; [unrolled: 1-line block ×4, first 2 shown]
	s_wait_loadcnt 0x1
	v_cvt_f64_f32_e32 v[30:31], v46
	v_cvt_f64_f32_e32 v[32:33], v47
	v_cvt_f64_f32_e32 v[38:39], v48
	v_cvt_f64_f32_e32 v[46:47], v49
	s_wait_loadcnt 0x0
	v_cvt_f64_f32_e32 v[48:49], v53
	v_fmac_f64_e32 v[20:21], v[58:59], v[40:41]
	v_fmac_f64_e32 v[22:23], v[34:35], v[40:41]
	;; [unrolled: 1-line block ×4, first 2 shown]
	v_cvt_f64_f32_e32 v[34:35], v50
	v_cvt_f64_f32_e32 v[36:37], v51
	;; [unrolled: 1-line block ×3, first 2 shown]
	v_fmac_f64_e32 v[20:21], v[30:31], v[42:43]
	v_fmac_f64_e32 v[22:23], v[32:33], v[42:43]
	;; [unrolled: 1-line block ×4, first 2 shown]
	s_delay_alu instid0(VALU_DEP_4) | instskip(NEXT) | instid1(VALU_DEP_4)
	v_fmac_f64_e32 v[20:21], v[34:35], v[44:45]
	v_fmac_f64_e32 v[22:23], v[36:37], v[44:45]
	s_delay_alu instid0(VALU_DEP_4) | instskip(NEXT) | instid1(VALU_DEP_4)
	v_fmac_f64_e32 v[18:19], v[40:41], v[44:45]
	v_fmac_f64_e32 v[12:13], v[48:49], v[44:45]
	s_and_not1_b32 exec_lo, exec_lo, s6
	s_cbranch_execnz .LBB161_31
; %bb.32:
	s_or_b32 exec_lo, exec_lo, s6
.LBB161_33:
	s_delay_alu instid0(SALU_CYCLE_1) | instskip(NEXT) | instid1(SALU_CYCLE_1)
	s_or_b32 exec_lo, exec_lo, s2
	s_mov_b32 s2, exec_lo
	v_cmpx_lt_u64_e32 23, v[24:25]
	s_cbranch_execz .LBB161_37
; %bb.34:
	v_lshl_add_u64 v[24:25], v[6:7], 3, s[8:9]
	s_mov_b32 s6, 0
	s_delay_alu instid0(VALU_DEP_1)
	v_add_nc_u64_e32 v[24:25], 0x80, v[24:25]
.LBB161_35:                             ; =>This Inner Loop Header: Depth=1
	s_clause 0x2
	global_load_b64 v[30:31], v[24:25], off offset:-128
	global_load_b64 v[54:55], v[24:25], off offset:-64
	global_load_b64 v[78:79], v[24:25], off
	global_load_b128 v[26:29], v[16:17], off
	global_load_b64 v[94:95], v[24:25], off offset:64
	v_add_nc_u64_e32 v[6:7], 32, v[6:7]
	s_wait_xcnt 0x0
	v_add_nc_u64_e32 v[24:25], 0x100, v[24:25]
	s_delay_alu instid0(VALU_DEP_2)
	v_cmp_ge_i64_e32 vcc_lo, v[6:7], v[14:15]
	s_or_b32 s6, vcc_lo, s6
	s_wait_loadcnt 0x4
	v_sub_nc_u64_e32 v[30:31], v[30:31], v[4:5]
	s_wait_loadcnt 0x3
	v_sub_nc_u64_e32 v[54:55], v[54:55], v[4:5]
	;; [unrolled: 2-line block ×3, first 2 shown]
	s_wait_loadcnt 0x1
	v_cvt_f64_f32_e32 v[96:97], v27
	v_cvt_f64_f32_e32 v[92:93], v26
	;; [unrolled: 1-line block ×4, first 2 shown]
	v_lshlrev_b64_e32 v[30:31], 5, v[30:31]
	v_lshlrev_b64_e32 v[54:55], 5, v[54:55]
	;; [unrolled: 1-line block ×3, first 2 shown]
	s_wait_kmcnt 0x0
	s_delay_alu instid0(VALU_DEP_3) | instskip(NEXT) | instid1(VALU_DEP_3)
	v_add_nc_u64_e32 v[56:57], s[4:5], v[30:31]
	v_add_nc_u64_e32 v[80:81], s[4:5], v[54:55]
	s_delay_alu instid0(VALU_DEP_3)
	v_add_nc_u64_e32 v[90:91], s[4:5], v[78:79]
	global_load_b128 v[30:33], v[16:17], off offset:16
	global_load_b128 v[34:37], v[56:57], off
	s_clause 0x1
	global_load_b128 v[38:41], v[16:17], off offset:32
	global_load_b128 v[42:45], v[16:17], off offset:48
	;; [unrolled: 1-line block ×3, first 2 shown]
	s_clause 0x1
	global_load_b128 v[50:53], v[16:17], off offset:512
	global_load_b128 v[54:57], v[16:17], off offset:528
	global_load_b128 v[58:61], v[80:81], off
	s_clause 0x1
	global_load_b128 v[62:65], v[16:17], off offset:544
	global_load_b128 v[66:69], v[16:17], off offset:560
	;; [unrolled: 1-line block ×3, first 2 shown]
	s_clause 0x1
	global_load_b128 v[74:77], v[16:17], off offset:1024
	global_load_b128 v[78:81], v[16:17], off offset:1040
	global_load_b128 v[82:85], v[90:91], off
	s_clause 0x1
	global_load_b128 v[86:89], v[16:17], off offset:1056
	global_load_b128 v[26:29], v[16:17], off offset:1072
	s_wait_loadcnt 0xf
	v_cvt_f64_f32_e32 v[104:105], v31
	s_wait_loadcnt 0xe
	v_fmac_f64_e32 v[22:23], v[96:97], v[34:35]
	v_cvt_f64_f32_e32 v[102:103], v30
	v_cvt_f64_f32_e32 v[106:107], v32
	;; [unrolled: 1-line block ×3, first 2 shown]
	global_load_b128 v[30:33], v[90:91], off offset:16
	v_fmac_f64_e32 v[20:21], v[92:93], v[34:35]
	v_fmac_f64_e32 v[18:19], v[98:99], v[34:35]
	;; [unrolled: 1-line block ×3, first 2 shown]
	s_wait_loadcnt 0xe
	v_cvt_f64_f32_e32 v[96:97], v38
	v_cvt_f64_f32_e32 v[98:99], v39
	v_sub_nc_u64_e32 v[38:39], v[94:95], v[4:5]
	v_cvt_f64_f32_e32 v[100:101], v40
	v_cvt_f64_f32_e32 v[110:111], v41
	s_wait_loadcnt 0xd
	v_cvt_f64_f32_e32 v[94:95], v42
	s_delay_alu instid0(VALU_DEP_4) | instskip(SKIP_1) | instid1(VALU_DEP_2)
	v_lshlrev_b64_e32 v[38:39], 5, v[38:39]
	v_fmac_f64_e32 v[22:23], v[104:105], v[36:37]
	v_add_nc_u64_e32 v[104:105], s[4:5], v[38:39]
	v_fmac_f64_e32 v[20:21], v[102:103], v[36:37]
	v_fmac_f64_e32 v[18:19], v[106:107], v[36:37]
	v_fmac_f64_e32 v[12:13], v[108:109], v[36:37]
	global_load_b128 v[38:41], v[104:105], off
	s_clause 0x1
	global_load_b128 v[90:93], v[16:17], off offset:1536
	global_load_b128 v[34:37], v[16:17], off offset:1552
	v_cvt_f64_f32_e32 v[102:103], v43
	v_cvt_f64_f32_e32 v[106:107], v44
	;; [unrolled: 1-line block ×3, first 2 shown]
	global_load_b128 v[42:45], v[16:17], off offset:1568
	s_wait_loadcnt 0x10
	v_fmac_f64_e32 v[22:23], v[98:99], v[46:47]
	s_wait_loadcnt 0xf
	v_cvt_f64_f32_e32 v[98:99], v51
	v_fmac_f64_e32 v[20:21], v[96:97], v[46:47]
	v_fmac_f64_e32 v[18:19], v[100:101], v[46:47]
	;; [unrolled: 1-line block ×3, first 2 shown]
	v_cvt_f64_f32_e32 v[96:97], v50
	v_cvt_f64_f32_e32 v[100:101], v52
	;; [unrolled: 1-line block ×3, first 2 shown]
	global_load_b128 v[50:53], v[104:105], off offset:16
	v_fmac_f64_e32 v[22:23], v[102:103], v[48:49]
	s_wait_loadcnt 0xf
	v_cvt_f64_f32_e32 v[102:103], v56
	v_cvt_f64_f32_e32 v[56:57], v57
	v_fmac_f64_e32 v[20:21], v[94:95], v[48:49]
	v_fmac_f64_e32 v[18:19], v[106:107], v[48:49]
	;; [unrolled: 1-line block ×3, first 2 shown]
	global_load_b128 v[46:49], v[16:17], off offset:1584
	v_cvt_f64_f32_e32 v[94:95], v54
	v_cvt_f64_f32_e32 v[54:55], v55
	s_wait_xcnt 0x0
	v_add_nc_u64_e32 v[16:17], 0x800, v[16:17]
	s_wait_loadcnt 0xf
	v_fmac_f64_e32 v[22:23], v[98:99], v[58:59]
	v_fmac_f64_e32 v[20:21], v[96:97], v[58:59]
	;; [unrolled: 1-line block ×4, first 2 shown]
	s_wait_loadcnt 0xe
	v_cvt_f64_f32_e32 v[58:59], v62
	v_cvt_f64_f32_e32 v[62:63], v63
	;; [unrolled: 1-line block ×4, first 2 shown]
	v_fmac_f64_e32 v[22:23], v[54:55], v[60:61]
	s_wait_loadcnt 0xd
	v_cvt_f64_f32_e32 v[54:55], v66
	v_fmac_f64_e32 v[20:21], v[94:95], v[60:61]
	v_fmac_f64_e32 v[18:19], v[102:103], v[60:61]
	;; [unrolled: 1-line block ×3, first 2 shown]
	v_cvt_f64_f32_e32 v[56:57], v67
	v_cvt_f64_f32_e32 v[60:61], v68
	;; [unrolled: 1-line block ×3, first 2 shown]
	s_wait_loadcnt 0xb
	v_cvt_f64_f32_e32 v[68:69], v77
	v_fmac_f64_e32 v[22:23], v[62:63], v[70:71]
	v_cvt_f64_f32_e32 v[62:63], v75
	v_fmac_f64_e32 v[20:21], v[58:59], v[70:71]
	v_fmac_f64_e32 v[18:19], v[96:97], v[70:71]
	;; [unrolled: 1-line block ×3, first 2 shown]
	v_cvt_f64_f32_e32 v[58:59], v74
	v_cvt_f64_f32_e32 v[64:65], v76
	v_fmac_f64_e32 v[22:23], v[56:57], v[72:73]
	s_wait_loadcnt 0xa
	v_cvt_f64_f32_e32 v[56:57], v79
	v_fmac_f64_e32 v[20:21], v[54:55], v[72:73]
	v_fmac_f64_e32 v[18:19], v[60:61], v[72:73]
	;; [unrolled: 1-line block ×3, first 2 shown]
	v_cvt_f64_f32_e32 v[54:55], v78
	v_cvt_f64_f32_e32 v[60:61], v80
	;; [unrolled: 1-line block ×3, first 2 shown]
	s_wait_loadcnt 0x9
	v_fmac_f64_e32 v[22:23], v[62:63], v[82:83]
	s_wait_loadcnt 0x8
	v_cvt_f64_f32_e32 v[62:63], v87
	v_fmac_f64_e32 v[20:21], v[58:59], v[82:83]
	v_fmac_f64_e32 v[18:19], v[64:65], v[82:83]
	;; [unrolled: 1-line block ×3, first 2 shown]
	v_cvt_f64_f32_e32 v[58:59], v86
	v_cvt_f64_f32_e32 v[64:65], v88
	;; [unrolled: 1-line block ×3, first 2 shown]
	v_fmac_f64_e32 v[22:23], v[56:57], v[84:85]
	s_wait_loadcnt 0x7
	v_cvt_f64_f32_e32 v[56:57], v28
	v_cvt_f64_f32_e32 v[28:29], v29
	v_fmac_f64_e32 v[20:21], v[54:55], v[84:85]
	v_fmac_f64_e32 v[18:19], v[60:61], v[84:85]
	;; [unrolled: 1-line block ×3, first 2 shown]
	v_cvt_f64_f32_e32 v[54:55], v26
	v_cvt_f64_f32_e32 v[26:27], v27
	s_wait_loadcnt 0x6
	v_fmac_f64_e32 v[22:23], v[62:63], v[30:31]
	v_fmac_f64_e32 v[20:21], v[58:59], v[30:31]
	;; [unrolled: 1-line block ×4, first 2 shown]
	s_delay_alu instid0(VALU_DEP_4) | instskip(NEXT) | instid1(VALU_DEP_4)
	v_fmac_f64_e32 v[22:23], v[26:27], v[32:33]
	v_fmac_f64_e32 v[20:21], v[54:55], v[32:33]
	s_delay_alu instid0(VALU_DEP_4) | instskip(NEXT) | instid1(VALU_DEP_4)
	v_fmac_f64_e32 v[18:19], v[56:57], v[32:33]
	v_fmac_f64_e32 v[12:13], v[28:29], v[32:33]
	s_wait_loadcnt 0x4
	v_cvt_f64_f32_e32 v[30:31], v90
	v_cvt_f64_f32_e32 v[58:59], v91
	;; [unrolled: 1-line block ×4, first 2 shown]
	s_wait_loadcnt 0x3
	v_cvt_f64_f32_e32 v[26:27], v34
	v_cvt_f64_f32_e32 v[28:29], v35
	;; [unrolled: 1-line block ×4, first 2 shown]
	s_wait_loadcnt 0x2
	v_cvt_f64_f32_e32 v[36:37], v43
	v_fmac_f64_e32 v[20:21], v[30:31], v[38:39]
	v_fmac_f64_e32 v[22:23], v[58:59], v[38:39]
	;; [unrolled: 1-line block ×4, first 2 shown]
	v_cvt_f64_f32_e32 v[30:31], v42
	v_cvt_f64_f32_e32 v[38:39], v44
	;; [unrolled: 1-line block ×3, first 2 shown]
	v_fmac_f64_e32 v[20:21], v[26:27], v[40:41]
	v_fmac_f64_e32 v[22:23], v[28:29], v[40:41]
	;; [unrolled: 1-line block ×4, first 2 shown]
	s_wait_loadcnt 0x0
	v_cvt_f64_f32_e32 v[26:27], v46
	v_cvt_f64_f32_e32 v[28:29], v47
	;; [unrolled: 1-line block ×4, first 2 shown]
	v_fmac_f64_e32 v[20:21], v[30:31], v[50:51]
	v_fmac_f64_e32 v[22:23], v[36:37], v[50:51]
	v_fmac_f64_e32 v[18:19], v[38:39], v[50:51]
	v_fmac_f64_e32 v[12:13], v[42:43], v[50:51]
	s_delay_alu instid0(VALU_DEP_4) | instskip(NEXT) | instid1(VALU_DEP_4)
	v_fmac_f64_e32 v[20:21], v[26:27], v[52:53]
	v_fmac_f64_e32 v[22:23], v[28:29], v[52:53]
	s_delay_alu instid0(VALU_DEP_4) | instskip(NEXT) | instid1(VALU_DEP_4)
	v_fmac_f64_e32 v[18:19], v[32:33], v[52:53]
	v_fmac_f64_e32 v[12:13], v[34:35], v[52:53]
	s_and_not1_b32 exec_lo, exec_lo, s6
	s_cbranch_execnz .LBB161_35
; %bb.36:
	s_or_b32 exec_lo, exec_lo, s6
.LBB161_37:
	s_delay_alu instid0(SALU_CYCLE_1)
	s_or_b32 exec_lo, exec_lo, s2
.LBB161_38:
	s_delay_alu instid0(SALU_CYCLE_1)
	s_or_b32 exec_lo, exec_lo, s3
.LBB161_39:
	v_mbcnt_lo_u32_b32 v1, -1, 0
	s_delay_alu instid0(VALU_DEP_1) | instskip(NEXT) | instid1(VALU_DEP_1)
	v_xor_b32_e32 v4, 4, v1
	v_cmp_gt_i32_e32 vcc_lo, 32, v4
	v_cndmask_b32_e32 v4, v1, v4, vcc_lo
	s_delay_alu instid0(VALU_DEP_1)
	v_lshlrev_b32_e32 v17, 2, v4
	ds_bpermute_b32 v4, v17, v20
	ds_bpermute_b32 v5, v17, v21
	;; [unrolled: 1-line block ×8, first 2 shown]
	s_wait_dscnt 0x6
	v_add_f64_e32 v[4:5], v[20:21], v[4:5]
	s_wait_dscnt 0x4
	v_add_f64_e32 v[6:7], v[22:23], v[6:7]
	;; [unrolled: 2-line block ×4, first 2 shown]
	v_xor_b32_e32 v12, 2, v1
	s_delay_alu instid0(VALU_DEP_1) | instskip(SKIP_1) | instid1(VALU_DEP_1)
	v_cmp_gt_i32_e32 vcc_lo, 32, v12
	v_cndmask_b32_e32 v12, v1, v12, vcc_lo
	v_lshlrev_b32_e32 v14, 2, v12
	ds_bpermute_b32 v12, v14, v4
	ds_bpermute_b32 v13, v14, v5
	;; [unrolled: 1-line block ×8, first 2 shown]
	s_wait_dscnt 0x6
	v_add_f64_e32 v[14:15], v[4:5], v[12:13]
	s_wait_dscnt 0x4
	v_add_f64_e32 v[12:13], v[6:7], v[20:21]
	;; [unrolled: 2-line block ×4, first 2 shown]
	v_xor_b32_e32 v16, 1, v1
	s_delay_alu instid0(VALU_DEP_1) | instskip(SKIP_2) | instid1(VALU_DEP_2)
	v_cmp_gt_i32_e32 vcc_lo, 32, v16
	v_cndmask_b32_e32 v1, v1, v16, vcc_lo
	v_cmp_eq_u32_e32 vcc_lo, 7, v0
	v_lshlrev_b32_e32 v1, 2, v1
	ds_bpermute_b32 v22, v1, v14
	ds_bpermute_b32 v23, v1, v15
	;; [unrolled: 1-line block ×8, first 2 shown]
	s_and_b32 exec_lo, exec_lo, vcc_lo
	s_cbranch_execz .LBB161_10
; %bb.40:
	s_wait_dscnt 0x6
	v_add_f64_e32 v[0:1], v[14:15], v[22:23]
	s_wait_dscnt 0x4
	v_add_f64_e32 v[12:13], v[12:13], v[20:21]
	;; [unrolled: 2-line block ×4, first 2 shown]
	s_load_b64 s[0:1], s[0:1], 0x58
	v_lshlrev_b64_e32 v[10:11], 5, v[10:11]
	s_mov_b32 s2, exec_lo
	v_mul_f64_e32 v[4:5], v[2:3], v[0:1]
	v_mul_f64_e32 v[6:7], v[2:3], v[12:13]
	;; [unrolled: 1-line block ×4, first 2 shown]
	v_cmpx_eq_f64_e32 0, v[8:9]
	s_xor_b32 s2, exec_lo, s2
	s_cbranch_execz .LBB161_42
; %bb.41:
	s_wait_kmcnt 0x0
	v_add_nc_u64_e32 v[8:9], s[0:1], v[10:11]
                                        ; implicit-def: $vgpr10_vgpr11
	s_clause 0x1
	global_store_b128 v[8:9], v[4:7], off
	global_store_b128 v[8:9], v[0:3], off offset:16
                                        ; implicit-def: $vgpr8_vgpr9
                                        ; implicit-def: $vgpr4_vgpr5
                                        ; implicit-def: $vgpr0_vgpr1
.LBB161_42:
	s_wait_xcnt 0x0
	s_and_not1_saveexec_b32 s2, s2
	s_cbranch_execz .LBB161_10
; %bb.43:
	s_wait_kmcnt 0x0
	v_add_nc_u64_e32 v[18:19], s[0:1], v[10:11]
	s_clause 0x1
	global_load_b128 v[10:13], v[18:19], off
	global_load_b128 v[14:17], v[18:19], off offset:16
	s_wait_loadcnt 0x1
	v_fmac_f64_e32 v[4:5], v[8:9], v[10:11]
	v_fmac_f64_e32 v[6:7], v[8:9], v[12:13]
	s_wait_loadcnt 0x0
	v_fmac_f64_e32 v[0:1], v[8:9], v[14:15]
	v_fmac_f64_e32 v[2:3], v[8:9], v[16:17]
	s_clause 0x1
	global_store_b128 v[18:19], v[4:7], off
	global_store_b128 v[18:19], v[0:3], off offset:16
	s_sendmsg sendmsg(MSG_DEALLOC_VGPRS)
	s_endpgm
	.section	.rodata,"a",@progbits
	.p2align	6, 0x0
	.amdhsa_kernel _ZN9rocsparseL18bsrxmvn_4x4_kernelILj128ELj8EdllfddEEvT3_20rocsparse_direction_NS_24const_host_device_scalarIT1_EES1_PKS1_PKT2_SA_S7_PKT4_PKT5_S5_PT6_21rocsparse_index_base_b
		.amdhsa_group_segment_fixed_size 0
		.amdhsa_private_segment_fixed_size 0
		.amdhsa_kernarg_size 104
		.amdhsa_user_sgpr_count 2
		.amdhsa_user_sgpr_dispatch_ptr 0
		.amdhsa_user_sgpr_queue_ptr 0
		.amdhsa_user_sgpr_kernarg_segment_ptr 1
		.amdhsa_user_sgpr_dispatch_id 0
		.amdhsa_user_sgpr_kernarg_preload_length 0
		.amdhsa_user_sgpr_kernarg_preload_offset 0
		.amdhsa_user_sgpr_private_segment_size 0
		.amdhsa_wavefront_size32 1
		.amdhsa_uses_dynamic_stack 0
		.amdhsa_enable_private_segment 0
		.amdhsa_system_sgpr_workgroup_id_x 1
		.amdhsa_system_sgpr_workgroup_id_y 0
		.amdhsa_system_sgpr_workgroup_id_z 0
		.amdhsa_system_sgpr_workgroup_info 0
		.amdhsa_system_vgpr_workitem_id 0
		.amdhsa_next_free_vgpr 122
		.amdhsa_next_free_sgpr 12
		.amdhsa_named_barrier_count 0
		.amdhsa_reserve_vcc 1
		.amdhsa_float_round_mode_32 0
		.amdhsa_float_round_mode_16_64 0
		.amdhsa_float_denorm_mode_32 3
		.amdhsa_float_denorm_mode_16_64 3
		.amdhsa_fp16_overflow 0
		.amdhsa_memory_ordered 1
		.amdhsa_forward_progress 1
		.amdhsa_inst_pref_size 35
		.amdhsa_round_robin_scheduling 0
		.amdhsa_exception_fp_ieee_invalid_op 0
		.amdhsa_exception_fp_denorm_src 0
		.amdhsa_exception_fp_ieee_div_zero 0
		.amdhsa_exception_fp_ieee_overflow 0
		.amdhsa_exception_fp_ieee_underflow 0
		.amdhsa_exception_fp_ieee_inexact 0
		.amdhsa_exception_int_div_zero 0
	.end_amdhsa_kernel
	.section	.text._ZN9rocsparseL18bsrxmvn_4x4_kernelILj128ELj8EdllfddEEvT3_20rocsparse_direction_NS_24const_host_device_scalarIT1_EES1_PKS1_PKT2_SA_S7_PKT4_PKT5_S5_PT6_21rocsparse_index_base_b,"axG",@progbits,_ZN9rocsparseL18bsrxmvn_4x4_kernelILj128ELj8EdllfddEEvT3_20rocsparse_direction_NS_24const_host_device_scalarIT1_EES1_PKS1_PKT2_SA_S7_PKT4_PKT5_S5_PT6_21rocsparse_index_base_b,comdat
.Lfunc_end161:
	.size	_ZN9rocsparseL18bsrxmvn_4x4_kernelILj128ELj8EdllfddEEvT3_20rocsparse_direction_NS_24const_host_device_scalarIT1_EES1_PKS1_PKT2_SA_S7_PKT4_PKT5_S5_PT6_21rocsparse_index_base_b, .Lfunc_end161-_ZN9rocsparseL18bsrxmvn_4x4_kernelILj128ELj8EdllfddEEvT3_20rocsparse_direction_NS_24const_host_device_scalarIT1_EES1_PKS1_PKT2_SA_S7_PKT4_PKT5_S5_PT6_21rocsparse_index_base_b
                                        ; -- End function
	.set _ZN9rocsparseL18bsrxmvn_4x4_kernelILj128ELj8EdllfddEEvT3_20rocsparse_direction_NS_24const_host_device_scalarIT1_EES1_PKS1_PKT2_SA_S7_PKT4_PKT5_S5_PT6_21rocsparse_index_base_b.num_vgpr, 122
	.set _ZN9rocsparseL18bsrxmvn_4x4_kernelILj128ELj8EdllfddEEvT3_20rocsparse_direction_NS_24const_host_device_scalarIT1_EES1_PKS1_PKT2_SA_S7_PKT4_PKT5_S5_PT6_21rocsparse_index_base_b.num_agpr, 0
	.set _ZN9rocsparseL18bsrxmvn_4x4_kernelILj128ELj8EdllfddEEvT3_20rocsparse_direction_NS_24const_host_device_scalarIT1_EES1_PKS1_PKT2_SA_S7_PKT4_PKT5_S5_PT6_21rocsparse_index_base_b.numbered_sgpr, 12
	.set _ZN9rocsparseL18bsrxmvn_4x4_kernelILj128ELj8EdllfddEEvT3_20rocsparse_direction_NS_24const_host_device_scalarIT1_EES1_PKS1_PKT2_SA_S7_PKT4_PKT5_S5_PT6_21rocsparse_index_base_b.num_named_barrier, 0
	.set _ZN9rocsparseL18bsrxmvn_4x4_kernelILj128ELj8EdllfddEEvT3_20rocsparse_direction_NS_24const_host_device_scalarIT1_EES1_PKS1_PKT2_SA_S7_PKT4_PKT5_S5_PT6_21rocsparse_index_base_b.private_seg_size, 0
	.set _ZN9rocsparseL18bsrxmvn_4x4_kernelILj128ELj8EdllfddEEvT3_20rocsparse_direction_NS_24const_host_device_scalarIT1_EES1_PKS1_PKT2_SA_S7_PKT4_PKT5_S5_PT6_21rocsparse_index_base_b.uses_vcc, 1
	.set _ZN9rocsparseL18bsrxmvn_4x4_kernelILj128ELj8EdllfddEEvT3_20rocsparse_direction_NS_24const_host_device_scalarIT1_EES1_PKS1_PKT2_SA_S7_PKT4_PKT5_S5_PT6_21rocsparse_index_base_b.uses_flat_scratch, 0
	.set _ZN9rocsparseL18bsrxmvn_4x4_kernelILj128ELj8EdllfddEEvT3_20rocsparse_direction_NS_24const_host_device_scalarIT1_EES1_PKS1_PKT2_SA_S7_PKT4_PKT5_S5_PT6_21rocsparse_index_base_b.has_dyn_sized_stack, 0
	.set _ZN9rocsparseL18bsrxmvn_4x4_kernelILj128ELj8EdllfddEEvT3_20rocsparse_direction_NS_24const_host_device_scalarIT1_EES1_PKS1_PKT2_SA_S7_PKT4_PKT5_S5_PT6_21rocsparse_index_base_b.has_recursion, 0
	.set _ZN9rocsparseL18bsrxmvn_4x4_kernelILj128ELj8EdllfddEEvT3_20rocsparse_direction_NS_24const_host_device_scalarIT1_EES1_PKS1_PKT2_SA_S7_PKT4_PKT5_S5_PT6_21rocsparse_index_base_b.has_indirect_call, 0
	.section	.AMDGPU.csdata,"",@progbits
; Kernel info:
; codeLenInByte = 4428
; TotalNumSgprs: 14
; NumVgprs: 122
; ScratchSize: 0
; MemoryBound: 0
; FloatMode: 240
; IeeeMode: 1
; LDSByteSize: 0 bytes/workgroup (compile time only)
; SGPRBlocks: 0
; VGPRBlocks: 7
; NumSGPRsForWavesPerEU: 14
; NumVGPRsForWavesPerEU: 122
; NamedBarCnt: 0
; Occupancy: 8
; WaveLimiterHint : 1
; COMPUTE_PGM_RSRC2:SCRATCH_EN: 0
; COMPUTE_PGM_RSRC2:USER_SGPR: 2
; COMPUTE_PGM_RSRC2:TRAP_HANDLER: 0
; COMPUTE_PGM_RSRC2:TGID_X_EN: 1
; COMPUTE_PGM_RSRC2:TGID_Y_EN: 0
; COMPUTE_PGM_RSRC2:TGID_Z_EN: 0
; COMPUTE_PGM_RSRC2:TIDIG_COMP_CNT: 0
	.section	.text._ZN9rocsparseL18bsrxmvn_4x4_kernelILj128ELj16EdllfddEEvT3_20rocsparse_direction_NS_24const_host_device_scalarIT1_EES1_PKS1_PKT2_SA_S7_PKT4_PKT5_S5_PT6_21rocsparse_index_base_b,"axG",@progbits,_ZN9rocsparseL18bsrxmvn_4x4_kernelILj128ELj16EdllfddEEvT3_20rocsparse_direction_NS_24const_host_device_scalarIT1_EES1_PKS1_PKT2_SA_S7_PKT4_PKT5_S5_PT6_21rocsparse_index_base_b,comdat
	.globl	_ZN9rocsparseL18bsrxmvn_4x4_kernelILj128ELj16EdllfddEEvT3_20rocsparse_direction_NS_24const_host_device_scalarIT1_EES1_PKS1_PKT2_SA_S7_PKT4_PKT5_S5_PT6_21rocsparse_index_base_b ; -- Begin function _ZN9rocsparseL18bsrxmvn_4x4_kernelILj128ELj16EdllfddEEvT3_20rocsparse_direction_NS_24const_host_device_scalarIT1_EES1_PKS1_PKT2_SA_S7_PKT4_PKT5_S5_PT6_21rocsparse_index_base_b
	.p2align	8
	.type	_ZN9rocsparseL18bsrxmvn_4x4_kernelILj128ELj16EdllfddEEvT3_20rocsparse_direction_NS_24const_host_device_scalarIT1_EES1_PKS1_PKT2_SA_S7_PKT4_PKT5_S5_PT6_21rocsparse_index_base_b,@function
_ZN9rocsparseL18bsrxmvn_4x4_kernelILj128ELj16EdllfddEEvT3_20rocsparse_direction_NS_24const_host_device_scalarIT1_EES1_PKS1_PKT2_SA_S7_PKT4_PKT5_S5_PT6_21rocsparse_index_base_b: ; @_ZN9rocsparseL18bsrxmvn_4x4_kernelILj128ELj16EdllfddEEvT3_20rocsparse_direction_NS_24const_host_device_scalarIT1_EES1_PKS1_PKT2_SA_S7_PKT4_PKT5_S5_PT6_21rocsparse_index_base_b
; %bb.0:
	s_clause 0x2
	s_load_b64 s[8:9], s[0:1], 0x60
	s_load_b128 s[4:7], s[0:1], 0x10
	s_load_b64 s[2:3], s[0:1], 0x50
	s_wait_kmcnt 0x0
	s_bitcmp1_b32 s9, 0
	v_mov_b64_e32 v[2:3], s[4:5]
	s_cselect_b32 s9, -1, 0
	s_delay_alu instid0(SALU_CYCLE_1)
	s_and_b32 vcc_lo, exec_lo, s9
	s_xor_b32 s9, s9, -1
	s_cbranch_vccnz .LBB162_2
; %bb.1:
	v_mov_b32_e32 v1, 0
	flat_load_b64 v[2:3], v1, s[4:5]
.LBB162_2:
	v_mov_b64_e32 v[8:9], s[2:3]
	s_and_not1_b32 vcc_lo, exec_lo, s9
	s_cbranch_vccnz .LBB162_4
; %bb.3:
	s_wait_xcnt 0x0
	v_mov_b32_e32 v1, 0
	flat_load_b64 v[8:9], v1, s[2:3]
.LBB162_4:
	s_wait_loadcnt_dscnt 0x0
	v_cmp_neq_f64_e32 vcc_lo, 0, v[2:3]
	s_delay_alu instid0(VALU_DEP_2) | instskip(SKIP_1) | instid1(SALU_CYCLE_1)
	v_cmp_neq_f64_e64 s2, 1.0, v[8:9]
	s_or_b32 s2, vcc_lo, s2
	s_and_saveexec_b32 s3, s2
	s_cbranch_execz .LBB162_10
; %bb.5:
	s_load_b64 s[2:3], s[0:1], 0x20
	s_bfe_u32 s4, ttmp6, 0x4000c
	s_and_b32 s5, ttmp6, 15
	s_add_co_i32 s4, s4, 1
	s_getreg_b32 s9, hwreg(HW_REG_IB_STS2, 6, 4)
	s_mul_i32 s4, ttmp9, s4
	v_dual_lshrrev_b32 v1, 4, v0 :: v_dual_mov_b32 v7, 0
	s_add_co_i32 s5, s5, s4
	s_cmp_eq_u32 s9, 0
	s_cselect_b32 s4, ttmp9, s5
	s_delay_alu instid0(VALU_DEP_1) | instid1(SALU_CYCLE_1)
	v_lshl_or_b32 v6, s4, 3, v1
	s_mov_b32 s4, 0
	s_wait_kmcnt 0x0
	s_cmp_lg_u64 s[2:3], 0
	s_cbranch_scc0 .LBB162_11
; %bb.6:
	v_cmp_gt_i64_e32 vcc_lo, s[6:7], v[6:7]
	s_mov_b32 s5, 0
                                        ; implicit-def: $vgpr10_vgpr11
                                        ; implicit-def: $vgpr4_vgpr5
	s_and_saveexec_b32 s6, vcc_lo
	s_delay_alu instid0(SALU_CYCLE_1)
	s_xor_b32 s6, exec_lo, s6
	s_cbranch_execz .LBB162_8
; %bb.7:
	v_lshl_add_u64 v[4:5], v[6:7], 3, s[2:3]
	s_mov_b32 s9, 0
	s_mov_b32 s4, exec_lo
	global_load_b64 v[4:5], v[4:5], off
	s_wait_loadcnt 0x0
	v_sub_nc_u64_e64 v[10:11], v[4:5], s[8:9]
	v_mov_b64_e32 v[4:5], s[8:9]
.LBB162_8:
	s_or_b32 exec_lo, exec_lo, s6
	s_delay_alu instid0(SALU_CYCLE_1)
	s_and_b32 vcc_lo, exec_lo, s5
	s_cbranch_vccnz .LBB162_12
.LBB162_9:
	s_and_b32 exec_lo, exec_lo, s4
	s_cbranch_execnz .LBB162_15
.LBB162_10:
	s_sendmsg sendmsg(MSG_DEALLOC_VGPRS)
	s_endpgm
.LBB162_11:
                                        ; implicit-def: $vgpr10_vgpr11
                                        ; implicit-def: $vgpr4_vgpr5
	s_cbranch_execz .LBB162_9
.LBB162_12:
	s_load_b64 s[2:3], s[0:1], 0x0
	s_wait_kmcnt 0x0
	v_cmp_gt_i64_e32 vcc_lo, s[2:3], v[6:7]
	s_and_saveexec_b32 s2, vcc_lo
; %bb.13:
	s_mov_b32 s9, 0
	s_or_b32 s4, s4, exec_lo
; %bb.14:
	s_or_b32 exec_lo, exec_lo, s2
	v_mov_b64_e32 v[4:5], s[8:9]
	v_mov_b64_e32 v[10:11], v[6:7]
	s_and_b32 exec_lo, exec_lo, s4
	s_cbranch_execz .LBB162_10
.LBB162_15:
	s_load_b256 s[4:11], s[0:1], 0x28
	s_delay_alu instid0(VALU_DEP_1) | instskip(SKIP_3) | instid1(VALU_DEP_2)
	v_lshlrev_b64_e32 v[6:7], 3, v[10:11]
	v_dual_mov_b32 v1, 0 :: v_dual_bitop2_b32 v0, 15, v0 bitop3:0x40
	s_load_b32 s3, s[0:1], 0x8
	s_wait_kmcnt 0x0
	v_add_nc_u64_e32 v[12:13], s[4:5], v[6:7]
	v_add_nc_u64_e32 v[6:7], s[6:7], v[6:7]
	s_cmp_eq_u64 s[6:7], 0
	s_load_b64 s[4:5], s[0:1], 0x48
	s_cselect_b32 vcc_lo, -1, 0
	s_cmp_eq_u32 s3, 1
	global_load_b64 v[24:25], v[12:13], off
	s_wait_xcnt 0x0
	v_add_nc_u64_e32 v[12:13], 8, v[12:13]
	s_delay_alu instid0(VALU_DEP_1) | instskip(SKIP_3) | instid1(VALU_DEP_1)
	v_dual_cndmask_b32 v7, v7, v13 :: v_dual_cndmask_b32 v6, v6, v12
	global_load_b64 v[6:7], v[6:7], off
	s_wait_loadcnt 0x1
	v_sub_nc_u64_e32 v[12:13], v[24:25], v[4:5]
	v_add_nc_u64_e32 v[12:13], v[12:13], v[0:1]
	s_wait_loadcnt 0x0
	v_sub_nc_u64_e32 v[18:19], v[6:7], v[4:5]
	s_delay_alu instid0(VALU_DEP_2) | instskip(NEXT) | instid1(VALU_DEP_2)
	v_lshlrev_b64_e32 v[14:15], 6, v[12:13]
	v_cmp_lt_i64_e64 s2, v[12:13], v[18:19]
	s_delay_alu instid0(VALU_DEP_2)
	v_add_nc_u64_e32 v[20:21], s[10:11], v[14:15]
	s_cbranch_scc1 .LBB162_27
; %bb.16:
	v_mov_b64_e32 v[6:7], 0
	v_mov_b64_e32 v[14:15], 0
	;; [unrolled: 1-line block ×4, first 2 shown]
	s_and_saveexec_b32 s3, s2
	s_cbranch_execz .LBB162_26
; %bb.17:
	v_dual_mov_b32 v7, v1 :: v_dual_bitop2_b32 v6, 16, v0 bitop3:0x54
	v_sub_nc_u64_e32 v[14:15], v[4:5], v[0:1]
	v_not_b32_e32 v17, v25
	v_not_b32_e32 v16, v24
	v_mov_b64_e32 v[22:23], 0
	v_sub_nc_u64_e32 v[6:7], v[6:7], v[4:5]
	v_mov_b64_e32 v[26:27], v[12:13]
	v_mov_b64_e32 v[28:29], v[20:21]
	v_add_nc_u64_e32 v[14:15], v[14:15], v[16:17]
	v_mov_b64_e32 v[16:17], 0
	s_mov_b32 s6, exec_lo
	v_add_nc_u64_e32 v[6:7], v[6:7], v[24:25]
	s_delay_alu instid0(VALU_DEP_1) | instskip(NEXT) | instid1(VALU_DEP_1)
	v_max_i64 v[6:7], v[6:7], v[18:19]
	v_add_nc_u64_e32 v[30:31], v[14:15], v[6:7]
	v_mov_b64_e32 v[14:15], 0
	v_mov_b64_e32 v[6:7], 0
	s_delay_alu instid0(VALU_DEP_3) | instskip(NEXT) | instid1(VALU_DEP_1)
	v_dual_mov_b32 v35, 0 :: v_dual_bitop2_b32 v34, 48, v30 bitop3:0x40
	v_cmpx_ne_u64_e32 48, v[34:35]
	s_cbranch_execz .LBB162_21
; %bb.18:
	v_lshrrev_b32_e32 v6, 4, v30
	v_mov_b64_e32 v[14:15], 0
	v_mov_b64_e32 v[22:23], 0
	;; [unrolled: 1-line block ×4, first 2 shown]
	v_add_nc_u32_e32 v6, 1, v6
	v_mov_b64_e32 v[26:27], v[12:13]
	v_lshl_add_u64 v[32:33], v[12:13], 3, s[8:9]
	s_mov_b32 s7, 0
	s_delay_alu instid0(VALU_DEP_3) | instskip(SKIP_1) | instid1(VALU_DEP_2)
	v_and_b32_e32 v34, 3, v6
	v_mov_b64_e32 v[6:7], 0
	v_sub_nc_u64_e32 v[34:35], 0, v[34:35]
.LBB162_19:                             ; =>This Inner Loop Header: Depth=1
	global_load_b64 v[52:53], v[32:33], off
	s_clause 0x3
	global_load_b128 v[36:39], v[28:29], off
	global_load_b128 v[40:43], v[28:29], off offset:16
	global_load_b128 v[44:47], v[28:29], off offset:32
	;; [unrolled: 1-line block ×3, first 2 shown]
	v_add_nc_u64_e32 v[34:35], 1, v[34:35]
	s_wait_xcnt 0x0
	v_add_nc_u64_e32 v[28:29], 0x400, v[28:29]
	v_add_nc_u64_e32 v[26:27], 16, v[26:27]
	;; [unrolled: 1-line block ×3, first 2 shown]
	s_delay_alu instid0(VALU_DEP_4)
	v_cmp_eq_u64_e32 vcc_lo, 0, v[34:35]
	s_or_b32 s7, vcc_lo, s7
	s_wait_loadcnt 0x4
	v_sub_nc_u64_e32 v[52:53], v[52:53], v[4:5]
	s_wait_loadcnt 0x2
	v_cvt_f64_f32_e32 v[62:63], v40
	s_wait_loadcnt 0x1
	v_cvt_f64_f32_e32 v[64:65], v44
	s_wait_loadcnt 0x0
	v_cvt_f64_f32_e32 v[66:67], v48
	v_cvt_f64_f32_e32 v[40:41], v41
	v_cvt_f64_f32_e32 v[44:45], v45
	v_lshlrev_b64_e32 v[52:53], 5, v[52:53]
	v_cvt_f64_f32_e32 v[48:49], v49
	s_wait_kmcnt 0x0
	s_delay_alu instid0(VALU_DEP_2)
	v_add_nc_u64_e32 v[60:61], s[4:5], v[52:53]
	s_clause 0x1
	global_load_b128 v[52:55], v[60:61], off
	global_load_b128 v[56:59], v[60:61], off offset:16
	s_wait_xcnt 0x0
	v_cvt_f64_f32_e32 v[60:61], v36
	v_cvt_f64_f32_e32 v[36:37], v37
	s_wait_loadcnt 0x1
	s_delay_alu instid0(VALU_DEP_2)
	v_fmac_f64_e32 v[16:17], v[60:61], v[52:53]
	v_fmac_f64_e32 v[22:23], v[62:63], v[52:53]
	;; [unrolled: 1-line block ×4, first 2 shown]
	v_cvt_f64_f32_e32 v[52:53], v38
	v_cvt_f64_f32_e32 v[60:61], v42
	;; [unrolled: 1-line block ×4, first 2 shown]
	v_fmac_f64_e32 v[16:17], v[36:37], v[54:55]
	v_fmac_f64_e32 v[22:23], v[40:41], v[54:55]
	;; [unrolled: 1-line block ×4, first 2 shown]
	v_cvt_f64_f32_e32 v[36:37], v39
	v_cvt_f64_f32_e32 v[38:39], v43
	;; [unrolled: 1-line block ×4, first 2 shown]
	s_wait_loadcnt 0x0
	v_fmac_f64_e32 v[16:17], v[52:53], v[56:57]
	v_fmac_f64_e32 v[22:23], v[60:61], v[56:57]
	;; [unrolled: 1-line block ×4, first 2 shown]
	s_delay_alu instid0(VALU_DEP_4) | instskip(NEXT) | instid1(VALU_DEP_4)
	v_fmac_f64_e32 v[16:17], v[36:37], v[58:59]
	v_fmac_f64_e32 v[22:23], v[38:39], v[58:59]
	s_delay_alu instid0(VALU_DEP_4) | instskip(NEXT) | instid1(VALU_DEP_4)
	v_fmac_f64_e32 v[14:15], v[40:41], v[58:59]
	v_fmac_f64_e32 v[6:7], v[42:43], v[58:59]
	s_and_not1_b32 exec_lo, exec_lo, s7
	s_cbranch_execnz .LBB162_19
; %bb.20:
	s_or_b32 exec_lo, exec_lo, s7
.LBB162_21:
	s_delay_alu instid0(SALU_CYCLE_1) | instskip(NEXT) | instid1(SALU_CYCLE_1)
	s_or_b32 exec_lo, exec_lo, s6
	s_mov_b32 s6, exec_lo
	v_cmpx_lt_u64_e32 47, v[30:31]
	s_cbranch_execz .LBB162_25
; %bb.22:
	v_lshl_add_u64 v[30:31], v[26:27], 3, s[8:9]
	s_mov_b32 s7, 0
	s_delay_alu instid0(VALU_DEP_1)
	v_add_nc_u64_e32 v[30:31], 0x100, v[30:31]
.LBB162_23:                             ; =>This Inner Loop Header: Depth=1
	s_clause 0x2
	global_load_b64 v[48:49], v[30:31], off offset:-256
	global_load_b64 v[72:73], v[30:31], off offset:-128
	global_load_b64 v[96:97], v[30:31], off
	s_clause 0x3
	global_load_b128 v[32:35], v[28:29], off
	global_load_b128 v[36:39], v[28:29], off offset:16
	global_load_b128 v[40:43], v[28:29], off offset:32
	global_load_b128 v[44:47], v[28:29], off offset:48
	global_load_b64 v[116:117], v[30:31], off offset:128
	v_add_nc_u64_e32 v[26:27], 64, v[26:27]
	s_wait_xcnt 0x0
	v_add_nc_u64_e32 v[30:31], 0x200, v[30:31]
	s_delay_alu instid0(VALU_DEP_2)
	v_cmp_ge_i64_e32 vcc_lo, v[26:27], v[18:19]
	s_or_b32 s7, vcc_lo, s7
	s_wait_loadcnt 0x7
	v_sub_nc_u64_e32 v[48:49], v[48:49], v[4:5]
	s_wait_loadcnt 0x6
	v_sub_nc_u64_e32 v[72:73], v[72:73], v[4:5]
	;; [unrolled: 2-line block ×3, first 2 shown]
	s_wait_loadcnt 0x4
	v_cvt_f64_f32_e32 v[104:105], v32
	s_wait_loadcnt 0x3
	v_cvt_f64_f32_e32 v[106:107], v36
	s_wait_loadcnt 0x2
	v_cvt_f64_f32_e32 v[108:109], v40
	s_wait_loadcnt 0x1
	v_cvt_f64_f32_e32 v[110:111], v44
	v_lshlrev_b64_e32 v[48:49], 5, v[48:49]
	v_lshlrev_b64_e32 v[72:73], 5, v[72:73]
	;; [unrolled: 1-line block ×3, first 2 shown]
	v_cvt_f64_f32_e32 v[32:33], v33
	v_cvt_f64_f32_e32 v[36:37], v37
	;; [unrolled: 1-line block ×4, first 2 shown]
	s_wait_kmcnt 0x0
	v_add_nc_u64_e32 v[74:75], s[4:5], v[48:49]
	v_add_nc_u64_e32 v[98:99], s[4:5], v[72:73]
	;; [unrolled: 1-line block ×3, first 2 shown]
	v_cvt_f64_f32_e32 v[118:119], v42
	v_cvt_f64_f32_e32 v[120:121], v46
	;; [unrolled: 1-line block ×4, first 2 shown]
	s_clause 0x1
	global_load_b128 v[48:51], v[74:75], off
	global_load_b128 v[52:55], v[74:75], off offset:16
	s_clause 0x3
	global_load_b128 v[56:59], v[28:29], off offset:1024
	global_load_b128 v[60:63], v[28:29], off offset:1040
	;; [unrolled: 1-line block ×4, first 2 shown]
	s_clause 0x1
	global_load_b128 v[72:75], v[98:99], off
	global_load_b128 v[76:79], v[98:99], off offset:16
	s_clause 0x3
	global_load_b128 v[80:83], v[28:29], off offset:2048
	global_load_b128 v[84:87], v[28:29], off offset:2064
	;; [unrolled: 1-line block ×4, first 2 shown]
	s_clause 0x1
	global_load_b128 v[96:99], v[100:101], off
	global_load_b128 v[100:103], v[100:101], off offset:16
	s_wait_loadcnt 0xd
	v_fmac_f64_e32 v[16:17], v[104:105], v[48:49]
	v_fmac_f64_e32 v[22:23], v[106:107], v[48:49]
	;; [unrolled: 1-line block ×4, first 2 shown]
	s_clause 0x2
	global_load_b128 v[104:107], v[28:29], off offset:3104
	global_load_b128 v[108:111], v[28:29], off offset:3088
	;; [unrolled: 1-line block ×3, first 2 shown]
	v_fmac_f64_e32 v[16:17], v[32:33], v[50:51]
	v_fmac_f64_e32 v[22:23], v[36:37], v[50:51]
	;; [unrolled: 1-line block ×4, first 2 shown]
	global_load_b128 v[48:51], v[28:29], off offset:3120
	v_cvt_f64_f32_e32 v[36:37], v34
	v_cvt_f64_f32_e32 v[44:45], v38
	v_sub_nc_u64_e32 v[32:33], v[116:117], v[4:5]
	v_cvt_f64_f32_e32 v[40:41], v35
	v_cvt_f64_f32_e32 v[38:39], v39
	s_wait_xcnt 0x0
	v_add_nc_u64_e32 v[28:29], 0x1000, v[28:29]
	s_delay_alu instid0(VALU_DEP_4) | instskip(NEXT) | instid1(VALU_DEP_1)
	v_lshlrev_b64_e32 v[32:33], 5, v[32:33]
	v_add_nc_u64_e32 v[116:117], s[4:5], v[32:33]
	global_load_b128 v[32:35], v[116:117], off
	s_wait_loadcnt 0x11
	v_fmac_f64_e32 v[14:15], v[118:119], v[52:53]
	v_fmac_f64_e32 v[6:7], v[120:121], v[52:53]
	s_wait_loadcnt 0xe
	v_cvt_f64_f32_e32 v[118:119], v64
	v_fmac_f64_e32 v[16:17], v[36:37], v[52:53]
	v_fmac_f64_e32 v[22:23], v[44:45], v[52:53]
	v_cvt_f64_f32_e32 v[44:45], v56
	v_cvt_f64_f32_e32 v[52:53], v60
	s_wait_loadcnt 0xd
	v_cvt_f64_f32_e32 v[120:121], v68
	v_fmac_f64_e32 v[14:15], v[42:43], v[54:55]
	v_fmac_f64_e32 v[6:7], v[46:47], v[54:55]
	v_cvt_f64_f32_e32 v[42:43], v61
	v_fmac_f64_e32 v[16:17], v[40:41], v[54:55]
	v_fmac_f64_e32 v[22:23], v[38:39], v[54:55]
	v_cvt_f64_f32_e32 v[40:41], v57
	v_cvt_f64_f32_e32 v[46:47], v65
	;; [unrolled: 1-line block ×3, first 2 shown]
	global_load_b128 v[36:39], v[116:117], off offset:16
	v_cvt_f64_f32_e32 v[56:57], v66
	v_cvt_f64_f32_e32 v[60:61], v70
	s_wait_loadcnt 0xd
	v_fmac_f64_e32 v[14:15], v[118:119], v[72:73]
	v_fmac_f64_e32 v[6:7], v[120:121], v[72:73]
	;; [unrolled: 1-line block ×4, first 2 shown]
	v_cvt_f64_f32_e32 v[44:45], v58
	v_cvt_f64_f32_e32 v[52:53], v62
	v_fmac_f64_e32 v[14:15], v[46:47], v[74:75]
	v_fmac_f64_e32 v[6:7], v[54:55], v[74:75]
	v_cvt_f64_f32_e32 v[46:47], v67
	v_fmac_f64_e32 v[16:17], v[40:41], v[74:75]
	v_fmac_f64_e32 v[22:23], v[42:43], v[74:75]
	v_cvt_f64_f32_e32 v[40:41], v59
	v_cvt_f64_f32_e32 v[42:43], v63
	;; [unrolled: 1-line block ×3, first 2 shown]
	s_wait_loadcnt 0x8
	v_cvt_f64_f32_e32 v[58:59], v92
	v_fmac_f64_e32 v[14:15], v[56:57], v[76:77]
	v_fmac_f64_e32 v[6:7], v[60:61], v[76:77]
	v_cvt_f64_f32_e32 v[56:57], v88
	v_fmac_f64_e32 v[16:17], v[44:45], v[76:77]
	v_fmac_f64_e32 v[22:23], v[52:53], v[76:77]
	v_cvt_f64_f32_e32 v[44:45], v80
	v_cvt_f64_f32_e32 v[52:53], v84
	v_fmac_f64_e32 v[14:15], v[46:47], v[78:79]
	v_fmac_f64_e32 v[6:7], v[54:55], v[78:79]
	v_cvt_f64_f32_e32 v[46:47], v89
	v_fmac_f64_e32 v[16:17], v[40:41], v[78:79]
	v_fmac_f64_e32 v[22:23], v[42:43], v[78:79]
	v_cvt_f64_f32_e32 v[40:41], v81
	v_cvt_f64_f32_e32 v[42:43], v85
	v_cvt_f64_f32_e32 v[54:55], v93
	s_wait_loadcnt 0x7
	v_fmac_f64_e32 v[14:15], v[56:57], v[96:97]
	v_fmac_f64_e32 v[6:7], v[58:59], v[96:97]
	v_cvt_f64_f32_e32 v[56:57], v90
	v_fmac_f64_e32 v[16:17], v[44:45], v[96:97]
	v_fmac_f64_e32 v[22:23], v[52:53], v[96:97]
	v_cvt_f64_f32_e32 v[44:45], v82
	v_cvt_f64_f32_e32 v[52:53], v86
	;; [unrolled: 1-line block ×3, first 2 shown]
	v_fmac_f64_e32 v[14:15], v[46:47], v[98:99]
	v_fmac_f64_e32 v[6:7], v[54:55], v[98:99]
	v_cvt_f64_f32_e32 v[46:47], v91
	v_fmac_f64_e32 v[16:17], v[40:41], v[98:99]
	v_fmac_f64_e32 v[22:23], v[42:43], v[98:99]
	v_cvt_f64_f32_e32 v[40:41], v83
	v_cvt_f64_f32_e32 v[42:43], v87
	;; [unrolled: 1-line block ×3, first 2 shown]
	s_wait_loadcnt 0x6
	v_fmac_f64_e32 v[14:15], v[56:57], v[100:101]
	v_fmac_f64_e32 v[6:7], v[58:59], v[100:101]
	s_wait_loadcnt 0x5
	v_cvt_f64_f32_e32 v[56:57], v104
	v_fmac_f64_e32 v[16:17], v[44:45], v[100:101]
	v_fmac_f64_e32 v[22:23], v[52:53], v[100:101]
	s_wait_loadcnt 0x3
	v_cvt_f64_f32_e32 v[44:45], v112
	v_cvt_f64_f32_e32 v[52:53], v108
	v_fmac_f64_e32 v[14:15], v[46:47], v[102:103]
	v_fmac_f64_e32 v[6:7], v[54:55], v[102:103]
	s_wait_loadcnt 0x2
	v_cvt_f64_f32_e32 v[58:59], v48
	v_fmac_f64_e32 v[16:17], v[40:41], v[102:103]
	v_fmac_f64_e32 v[22:23], v[42:43], v[102:103]
	v_cvt_f64_f32_e32 v[40:41], v113
	v_cvt_f64_f32_e32 v[42:43], v109
	;; [unrolled: 1-line block ×5, first 2 shown]
	s_wait_loadcnt 0x1
	v_fmac_f64_e32 v[14:15], v[56:57], v[32:33]
	v_fmac_f64_e32 v[6:7], v[58:59], v[32:33]
	;; [unrolled: 1-line block ×4, first 2 shown]
	v_cvt_f64_f32_e32 v[32:33], v114
	v_cvt_f64_f32_e32 v[44:45], v110
	;; [unrolled: 1-line block ×3, first 2 shown]
	v_fmac_f64_e32 v[14:15], v[46:47], v[34:35]
	v_cvt_f64_f32_e32 v[46:47], v51
	v_fmac_f64_e32 v[6:7], v[48:49], v[34:35]
	v_fmac_f64_e32 v[16:17], v[40:41], v[34:35]
	;; [unrolled: 1-line block ×3, first 2 shown]
	v_cvt_f64_f32_e32 v[34:35], v115
	v_cvt_f64_f32_e32 v[40:41], v111
	;; [unrolled: 1-line block ×3, first 2 shown]
	s_wait_loadcnt 0x0
	v_fmac_f64_e32 v[14:15], v[52:53], v[36:37]
	v_fmac_f64_e32 v[6:7], v[54:55], v[36:37]
	v_fmac_f64_e32 v[16:17], v[32:33], v[36:37]
	v_fmac_f64_e32 v[22:23], v[44:45], v[36:37]
	s_delay_alu instid0(VALU_DEP_4) | instskip(NEXT) | instid1(VALU_DEP_4)
	v_fmac_f64_e32 v[14:15], v[42:43], v[38:39]
	v_fmac_f64_e32 v[6:7], v[46:47], v[38:39]
	s_delay_alu instid0(VALU_DEP_4) | instskip(NEXT) | instid1(VALU_DEP_4)
	v_fmac_f64_e32 v[16:17], v[34:35], v[38:39]
	v_fmac_f64_e32 v[22:23], v[40:41], v[38:39]
	s_and_not1_b32 exec_lo, exec_lo, s7
	s_cbranch_execnz .LBB162_23
; %bb.24:
	s_or_b32 exec_lo, exec_lo, s7
.LBB162_25:
	s_delay_alu instid0(SALU_CYCLE_1)
	s_or_b32 exec_lo, exec_lo, s6
.LBB162_26:
	s_delay_alu instid0(SALU_CYCLE_1)
	s_or_b32 exec_lo, exec_lo, s3
	s_cbranch_execz .LBB162_28
	s_branch .LBB162_39
.LBB162_27:
                                        ; implicit-def: $vgpr6_vgpr7
                                        ; implicit-def: $vgpr14_vgpr15
                                        ; implicit-def: $vgpr22_vgpr23
                                        ; implicit-def: $vgpr16_vgpr17
.LBB162_28:
	v_mov_b64_e32 v[6:7], 0
	v_mov_b64_e32 v[14:15], 0
	v_mov_b64_e32 v[22:23], 0
	v_mov_b64_e32 v[16:17], 0
	s_and_saveexec_b32 s3, s2
	s_cbranch_execz .LBB162_38
; %bb.29:
	v_dual_mov_b32 v7, v1 :: v_dual_bitop2_b32 v6, 16, v0 bitop3:0x54
	v_sub_nc_u64_e32 v[14:15], v[4:5], v[0:1]
	v_not_b32_e32 v17, v25
	v_not_b32_e32 v16, v24
	v_mov_b64_e32 v[22:23], 0
	v_sub_nc_u64_e32 v[6:7], v[6:7], v[4:5]
	s_mov_b32 s2, exec_lo
	s_delay_alu instid0(VALU_DEP_3) | instskip(SKIP_1) | instid1(VALU_DEP_3)
	v_add_nc_u64_e32 v[14:15], v[14:15], v[16:17]
	v_mov_b64_e32 v[16:17], 0
	v_add_nc_u64_e32 v[6:7], v[6:7], v[24:25]
	s_delay_alu instid0(VALU_DEP_1) | instskip(NEXT) | instid1(VALU_DEP_1)
	v_max_i64 v[6:7], v[6:7], v[18:19]
	v_add_nc_u64_e32 v[24:25], v[14:15], v[6:7]
	v_mov_b64_e32 v[14:15], 0
	v_mov_b64_e32 v[6:7], 0
	s_delay_alu instid0(VALU_DEP_3) | instskip(NEXT) | instid1(VALU_DEP_1)
	v_dual_mov_b32 v27, 0 :: v_dual_bitop2_b32 v26, 48, v24 bitop3:0x40
	v_cmpx_ne_u64_e32 48, v[26:27]
	s_cbranch_execz .LBB162_33
; %bb.30:
	v_lshrrev_b32_e32 v1, 4, v24
	v_mov_b64_e32 v[6:7], 0
	v_mov_b64_e32 v[14:15], 0
	;; [unrolled: 1-line block ×4, first 2 shown]
	v_add_nc_u32_e32 v1, 1, v1
	v_lshl_add_u64 v[28:29], v[12:13], 3, s[8:9]
	s_mov_b32 s6, 0
	s_delay_alu instid0(VALU_DEP_2) | instskip(NEXT) | instid1(VALU_DEP_1)
	v_and_b32_e32 v26, 3, v1
	v_sub_nc_u64_e32 v[26:27], 0, v[26:27]
.LBB162_31:                             ; =>This Inner Loop Header: Depth=1
	global_load_b64 v[38:39], v[28:29], off
	s_clause 0x1
	global_load_b128 v[30:33], v[20:21], off
	global_load_b128 v[34:37], v[20:21], off offset:16
	v_add_nc_u64_e32 v[26:27], 1, v[26:27]
	v_add_nc_u64_e32 v[12:13], 16, v[12:13]
	s_wait_xcnt 0x2
	v_add_nc_u64_e32 v[28:29], 0x80, v[28:29]
	s_delay_alu instid0(VALU_DEP_3)
	v_cmp_eq_u64_e32 vcc_lo, 0, v[26:27]
	s_or_b32 s6, vcc_lo, s6
	s_wait_loadcnt 0x2
	v_sub_nc_u64_e32 v[38:39], v[38:39], v[4:5]
	s_wait_loadcnt 0x1
	v_cvt_f64_f32_e32 v[56:57], v32
	v_cvt_f64_f32_e32 v[32:33], v33
	s_wait_loadcnt 0x0
	v_cvt_f64_f32_e32 v[58:59], v34
	v_cvt_f64_f32_e32 v[34:35], v35
	;; [unrolled: 1-line block ×4, first 2 shown]
	v_lshlrev_b64_e32 v[38:39], 5, v[38:39]
	s_wait_kmcnt 0x0
	s_delay_alu instid0(VALU_DEP_1)
	v_add_nc_u64_e32 v[54:55], s[4:5], v[38:39]
	s_clause 0x1
	global_load_b128 v[38:41], v[54:55], off
	global_load_b128 v[42:45], v[54:55], off offset:16
	s_clause 0x1
	global_load_b128 v[46:49], v[20:21], off offset:32
	global_load_b128 v[50:53], v[20:21], off offset:48
	s_wait_xcnt 0x2
	v_cvt_f64_f32_e32 v[54:55], v30
	v_cvt_f64_f32_e32 v[30:31], v31
	s_wait_xcnt 0x0
	v_add_nc_u64_e32 v[20:21], 0x400, v[20:21]
	s_wait_loadcnt 0x3
	s_delay_alu instid0(VALU_DEP_3) | instskip(NEXT) | instid1(VALU_DEP_3)
	v_fmac_f64_e32 v[16:17], v[54:55], v[38:39]
	v_fmac_f64_e32 v[22:23], v[30:31], v[38:39]
	;; [unrolled: 1-line block ×4, first 2 shown]
	s_wait_loadcnt 0x1
	v_cvt_f64_f32_e32 v[30:31], v46
	v_cvt_f64_f32_e32 v[32:33], v47
	;; [unrolled: 1-line block ×4, first 2 shown]
	s_wait_loadcnt 0x0
	v_cvt_f64_f32_e32 v[48:49], v53
	v_fmac_f64_e32 v[16:17], v[58:59], v[40:41]
	v_fmac_f64_e32 v[22:23], v[34:35], v[40:41]
	;; [unrolled: 1-line block ×4, first 2 shown]
	v_cvt_f64_f32_e32 v[34:35], v50
	v_cvt_f64_f32_e32 v[36:37], v51
	;; [unrolled: 1-line block ×3, first 2 shown]
	v_fmac_f64_e32 v[16:17], v[30:31], v[42:43]
	v_fmac_f64_e32 v[22:23], v[32:33], v[42:43]
	;; [unrolled: 1-line block ×4, first 2 shown]
	s_delay_alu instid0(VALU_DEP_4) | instskip(NEXT) | instid1(VALU_DEP_4)
	v_fmac_f64_e32 v[16:17], v[34:35], v[44:45]
	v_fmac_f64_e32 v[22:23], v[36:37], v[44:45]
	s_delay_alu instid0(VALU_DEP_4) | instskip(NEXT) | instid1(VALU_DEP_4)
	v_fmac_f64_e32 v[14:15], v[40:41], v[44:45]
	v_fmac_f64_e32 v[6:7], v[48:49], v[44:45]
	s_and_not1_b32 exec_lo, exec_lo, s6
	s_cbranch_execnz .LBB162_31
; %bb.32:
	s_or_b32 exec_lo, exec_lo, s6
.LBB162_33:
	s_delay_alu instid0(SALU_CYCLE_1) | instskip(NEXT) | instid1(SALU_CYCLE_1)
	s_or_b32 exec_lo, exec_lo, s2
	s_mov_b32 s2, exec_lo
	v_cmpx_lt_u64_e32 47, v[24:25]
	s_cbranch_execz .LBB162_37
; %bb.34:
	v_lshl_add_u64 v[24:25], v[12:13], 3, s[8:9]
	s_mov_b32 s6, 0
	s_delay_alu instid0(VALU_DEP_1)
	v_add_nc_u64_e32 v[24:25], 0x100, v[24:25]
.LBB162_35:                             ; =>This Inner Loop Header: Depth=1
	s_clause 0x2
	global_load_b64 v[30:31], v[24:25], off offset:-256
	global_load_b64 v[54:55], v[24:25], off offset:-128
	global_load_b64 v[78:79], v[24:25], off
	global_load_b128 v[26:29], v[20:21], off
	global_load_b64 v[94:95], v[24:25], off offset:128
	v_add_nc_u64_e32 v[12:13], 64, v[12:13]
	s_wait_xcnt 0x0
	v_add_nc_u64_e32 v[24:25], 0x200, v[24:25]
	s_delay_alu instid0(VALU_DEP_2)
	v_cmp_ge_i64_e32 vcc_lo, v[12:13], v[18:19]
	s_or_b32 s6, vcc_lo, s6
	s_wait_loadcnt 0x4
	v_sub_nc_u64_e32 v[30:31], v[30:31], v[4:5]
	s_wait_loadcnt 0x3
	v_sub_nc_u64_e32 v[54:55], v[54:55], v[4:5]
	;; [unrolled: 2-line block ×3, first 2 shown]
	s_wait_loadcnt 0x1
	v_cvt_f64_f32_e32 v[96:97], v27
	v_cvt_f64_f32_e32 v[92:93], v26
	;; [unrolled: 1-line block ×4, first 2 shown]
	v_lshlrev_b64_e32 v[30:31], 5, v[30:31]
	v_lshlrev_b64_e32 v[54:55], 5, v[54:55]
	;; [unrolled: 1-line block ×3, first 2 shown]
	s_wait_kmcnt 0x0
	s_delay_alu instid0(VALU_DEP_3) | instskip(NEXT) | instid1(VALU_DEP_3)
	v_add_nc_u64_e32 v[56:57], s[4:5], v[30:31]
	v_add_nc_u64_e32 v[80:81], s[4:5], v[54:55]
	s_delay_alu instid0(VALU_DEP_3)
	v_add_nc_u64_e32 v[90:91], s[4:5], v[78:79]
	global_load_b128 v[30:33], v[20:21], off offset:16
	global_load_b128 v[34:37], v[56:57], off
	s_clause 0x1
	global_load_b128 v[38:41], v[20:21], off offset:32
	global_load_b128 v[42:45], v[20:21], off offset:48
	;; [unrolled: 1-line block ×3, first 2 shown]
	s_clause 0x1
	global_load_b128 v[50:53], v[20:21], off offset:1024
	global_load_b128 v[54:57], v[20:21], off offset:1040
	global_load_b128 v[58:61], v[80:81], off
	s_clause 0x1
	global_load_b128 v[62:65], v[20:21], off offset:1056
	global_load_b128 v[66:69], v[20:21], off offset:1072
	;; [unrolled: 1-line block ×3, first 2 shown]
	s_clause 0x1
	global_load_b128 v[74:77], v[20:21], off offset:2048
	global_load_b128 v[78:81], v[20:21], off offset:2064
	global_load_b128 v[82:85], v[90:91], off
	s_clause 0x1
	global_load_b128 v[86:89], v[20:21], off offset:2080
	global_load_b128 v[26:29], v[20:21], off offset:2096
	s_wait_loadcnt 0xf
	v_cvt_f64_f32_e32 v[104:105], v31
	s_wait_loadcnt 0xe
	v_fmac_f64_e32 v[22:23], v[96:97], v[34:35]
	v_cvt_f64_f32_e32 v[102:103], v30
	v_cvt_f64_f32_e32 v[106:107], v32
	;; [unrolled: 1-line block ×3, first 2 shown]
	global_load_b128 v[30:33], v[90:91], off offset:16
	v_fmac_f64_e32 v[16:17], v[92:93], v[34:35]
	v_fmac_f64_e32 v[14:15], v[98:99], v[34:35]
	;; [unrolled: 1-line block ×3, first 2 shown]
	s_wait_loadcnt 0xe
	v_cvt_f64_f32_e32 v[96:97], v38
	v_cvt_f64_f32_e32 v[98:99], v39
	v_sub_nc_u64_e32 v[38:39], v[94:95], v[4:5]
	v_cvt_f64_f32_e32 v[100:101], v40
	v_cvt_f64_f32_e32 v[110:111], v41
	s_wait_loadcnt 0xd
	v_cvt_f64_f32_e32 v[94:95], v42
	s_delay_alu instid0(VALU_DEP_4) | instskip(SKIP_1) | instid1(VALU_DEP_2)
	v_lshlrev_b64_e32 v[38:39], 5, v[38:39]
	v_fmac_f64_e32 v[22:23], v[104:105], v[36:37]
	v_add_nc_u64_e32 v[104:105], s[4:5], v[38:39]
	v_fmac_f64_e32 v[16:17], v[102:103], v[36:37]
	v_fmac_f64_e32 v[14:15], v[106:107], v[36:37]
	;; [unrolled: 1-line block ×3, first 2 shown]
	global_load_b128 v[38:41], v[104:105], off
	s_clause 0x1
	global_load_b128 v[90:93], v[20:21], off offset:3072
	global_load_b128 v[34:37], v[20:21], off offset:3088
	v_cvt_f64_f32_e32 v[102:103], v43
	v_cvt_f64_f32_e32 v[106:107], v44
	v_cvt_f64_f32_e32 v[108:109], v45
	global_load_b128 v[42:45], v[20:21], off offset:3104
	s_wait_loadcnt 0x10
	v_fmac_f64_e32 v[22:23], v[98:99], v[46:47]
	s_wait_loadcnt 0xf
	v_cvt_f64_f32_e32 v[98:99], v51
	v_fmac_f64_e32 v[16:17], v[96:97], v[46:47]
	v_fmac_f64_e32 v[14:15], v[100:101], v[46:47]
	;; [unrolled: 1-line block ×3, first 2 shown]
	v_cvt_f64_f32_e32 v[96:97], v50
	v_cvt_f64_f32_e32 v[100:101], v52
	;; [unrolled: 1-line block ×3, first 2 shown]
	global_load_b128 v[50:53], v[104:105], off offset:16
	v_fmac_f64_e32 v[22:23], v[102:103], v[48:49]
	s_wait_loadcnt 0xf
	v_cvt_f64_f32_e32 v[102:103], v56
	v_cvt_f64_f32_e32 v[56:57], v57
	v_fmac_f64_e32 v[16:17], v[94:95], v[48:49]
	v_fmac_f64_e32 v[14:15], v[106:107], v[48:49]
	;; [unrolled: 1-line block ×3, first 2 shown]
	global_load_b128 v[46:49], v[20:21], off offset:3120
	v_cvt_f64_f32_e32 v[94:95], v54
	v_cvt_f64_f32_e32 v[54:55], v55
	s_wait_xcnt 0x0
	v_add_nc_u64_e32 v[20:21], 0x1000, v[20:21]
	s_wait_loadcnt 0xf
	v_fmac_f64_e32 v[22:23], v[98:99], v[58:59]
	v_fmac_f64_e32 v[16:17], v[96:97], v[58:59]
	;; [unrolled: 1-line block ×4, first 2 shown]
	s_wait_loadcnt 0xe
	v_cvt_f64_f32_e32 v[58:59], v62
	v_cvt_f64_f32_e32 v[62:63], v63
	v_cvt_f64_f32_e32 v[96:97], v64
	v_cvt_f64_f32_e32 v[64:65], v65
	v_fmac_f64_e32 v[22:23], v[54:55], v[60:61]
	s_wait_loadcnt 0xd
	v_cvt_f64_f32_e32 v[54:55], v66
	v_fmac_f64_e32 v[16:17], v[94:95], v[60:61]
	v_fmac_f64_e32 v[14:15], v[102:103], v[60:61]
	;; [unrolled: 1-line block ×3, first 2 shown]
	v_cvt_f64_f32_e32 v[56:57], v67
	v_cvt_f64_f32_e32 v[60:61], v68
	;; [unrolled: 1-line block ×3, first 2 shown]
	s_wait_loadcnt 0xb
	v_cvt_f64_f32_e32 v[68:69], v77
	v_fmac_f64_e32 v[22:23], v[62:63], v[70:71]
	v_cvt_f64_f32_e32 v[62:63], v75
	v_fmac_f64_e32 v[16:17], v[58:59], v[70:71]
	v_fmac_f64_e32 v[14:15], v[96:97], v[70:71]
	;; [unrolled: 1-line block ×3, first 2 shown]
	v_cvt_f64_f32_e32 v[58:59], v74
	v_cvt_f64_f32_e32 v[64:65], v76
	v_fmac_f64_e32 v[22:23], v[56:57], v[72:73]
	s_wait_loadcnt 0xa
	v_cvt_f64_f32_e32 v[56:57], v79
	v_fmac_f64_e32 v[16:17], v[54:55], v[72:73]
	v_fmac_f64_e32 v[14:15], v[60:61], v[72:73]
	;; [unrolled: 1-line block ×3, first 2 shown]
	v_cvt_f64_f32_e32 v[54:55], v78
	v_cvt_f64_f32_e32 v[60:61], v80
	;; [unrolled: 1-line block ×3, first 2 shown]
	s_wait_loadcnt 0x9
	v_fmac_f64_e32 v[22:23], v[62:63], v[82:83]
	s_wait_loadcnt 0x8
	v_cvt_f64_f32_e32 v[62:63], v87
	v_fmac_f64_e32 v[16:17], v[58:59], v[82:83]
	v_fmac_f64_e32 v[14:15], v[64:65], v[82:83]
	;; [unrolled: 1-line block ×3, first 2 shown]
	v_cvt_f64_f32_e32 v[58:59], v86
	v_cvt_f64_f32_e32 v[64:65], v88
	;; [unrolled: 1-line block ×3, first 2 shown]
	v_fmac_f64_e32 v[22:23], v[56:57], v[84:85]
	s_wait_loadcnt 0x7
	v_cvt_f64_f32_e32 v[56:57], v28
	v_cvt_f64_f32_e32 v[28:29], v29
	v_fmac_f64_e32 v[16:17], v[54:55], v[84:85]
	v_fmac_f64_e32 v[14:15], v[60:61], v[84:85]
	;; [unrolled: 1-line block ×3, first 2 shown]
	v_cvt_f64_f32_e32 v[54:55], v26
	v_cvt_f64_f32_e32 v[26:27], v27
	s_wait_loadcnt 0x6
	v_fmac_f64_e32 v[22:23], v[62:63], v[30:31]
	v_fmac_f64_e32 v[16:17], v[58:59], v[30:31]
	;; [unrolled: 1-line block ×4, first 2 shown]
	s_delay_alu instid0(VALU_DEP_4) | instskip(NEXT) | instid1(VALU_DEP_4)
	v_fmac_f64_e32 v[22:23], v[26:27], v[32:33]
	v_fmac_f64_e32 v[16:17], v[54:55], v[32:33]
	s_delay_alu instid0(VALU_DEP_4) | instskip(NEXT) | instid1(VALU_DEP_4)
	v_fmac_f64_e32 v[14:15], v[56:57], v[32:33]
	v_fmac_f64_e32 v[6:7], v[28:29], v[32:33]
	s_wait_loadcnt 0x4
	v_cvt_f64_f32_e32 v[30:31], v90
	v_cvt_f64_f32_e32 v[58:59], v91
	;; [unrolled: 1-line block ×4, first 2 shown]
	s_wait_loadcnt 0x3
	v_cvt_f64_f32_e32 v[26:27], v34
	v_cvt_f64_f32_e32 v[28:29], v35
	;; [unrolled: 1-line block ×4, first 2 shown]
	s_wait_loadcnt 0x2
	v_cvt_f64_f32_e32 v[36:37], v43
	v_fmac_f64_e32 v[16:17], v[30:31], v[38:39]
	v_fmac_f64_e32 v[22:23], v[58:59], v[38:39]
	;; [unrolled: 1-line block ×4, first 2 shown]
	v_cvt_f64_f32_e32 v[30:31], v42
	v_cvt_f64_f32_e32 v[38:39], v44
	;; [unrolled: 1-line block ×3, first 2 shown]
	v_fmac_f64_e32 v[16:17], v[26:27], v[40:41]
	v_fmac_f64_e32 v[22:23], v[28:29], v[40:41]
	;; [unrolled: 1-line block ×4, first 2 shown]
	s_wait_loadcnt 0x0
	v_cvt_f64_f32_e32 v[26:27], v46
	v_cvt_f64_f32_e32 v[28:29], v47
	;; [unrolled: 1-line block ×4, first 2 shown]
	v_fmac_f64_e32 v[16:17], v[30:31], v[50:51]
	v_fmac_f64_e32 v[22:23], v[36:37], v[50:51]
	;; [unrolled: 1-line block ×4, first 2 shown]
	s_delay_alu instid0(VALU_DEP_4) | instskip(NEXT) | instid1(VALU_DEP_4)
	v_fmac_f64_e32 v[16:17], v[26:27], v[52:53]
	v_fmac_f64_e32 v[22:23], v[28:29], v[52:53]
	s_delay_alu instid0(VALU_DEP_4) | instskip(NEXT) | instid1(VALU_DEP_4)
	v_fmac_f64_e32 v[14:15], v[32:33], v[52:53]
	v_fmac_f64_e32 v[6:7], v[34:35], v[52:53]
	s_and_not1_b32 exec_lo, exec_lo, s6
	s_cbranch_execnz .LBB162_35
; %bb.36:
	s_or_b32 exec_lo, exec_lo, s6
.LBB162_37:
	s_delay_alu instid0(SALU_CYCLE_1)
	s_or_b32 exec_lo, exec_lo, s2
.LBB162_38:
	s_delay_alu instid0(SALU_CYCLE_1)
	s_or_b32 exec_lo, exec_lo, s3
.LBB162_39:
	v_mbcnt_lo_u32_b32 v1, -1, 0
	s_delay_alu instid0(VALU_DEP_1) | instskip(NEXT) | instid1(VALU_DEP_1)
	v_xor_b32_e32 v4, 8, v1
	v_cmp_gt_i32_e32 vcc_lo, 32, v4
	v_cndmask_b32_e32 v4, v1, v4, vcc_lo
	s_delay_alu instid0(VALU_DEP_1)
	v_lshlrev_b32_e32 v21, 2, v4
	ds_bpermute_b32 v12, v21, v22
	ds_bpermute_b32 v13, v21, v23
	;; [unrolled: 1-line block ×6, first 2 shown]
	s_wait_dscnt 0x4
	v_add_f64_e32 v[12:13], v[22:23], v[12:13]
	s_wait_dscnt 0x2
	v_add_f64_e32 v[4:5], v[16:17], v[4:5]
	s_wait_dscnt 0x0
	v_dual_add_f64 v[14:15], v[14:15], v[18:19] :: v_dual_bitop2_b32 v16, 4, v1 bitop3:0x14
	s_delay_alu instid0(VALU_DEP_1) | instskip(SKIP_1) | instid1(VALU_DEP_1)
	v_cmp_gt_i32_e32 vcc_lo, 32, v16
	v_cndmask_b32_e32 v16, v1, v16, vcc_lo
	v_lshlrev_b32_e32 v23, 2, v16
	ds_bpermute_b32 v18, v23, v12
	ds_bpermute_b32 v19, v23, v13
	;; [unrolled: 1-line block ×4, first 2 shown]
	s_wait_dscnt 0x2
	v_add_f64_e32 v[12:13], v[12:13], v[18:19]
	ds_bpermute_b32 v20, v21, v6
	ds_bpermute_b32 v21, v21, v7
	s_wait_dscnt 0x2
	v_add_f64_e32 v[4:5], v[4:5], v[16:17]
	s_wait_dscnt 0x0
	v_add_f64_e32 v[6:7], v[6:7], v[20:21]
	ds_bpermute_b32 v20, v23, v14
	ds_bpermute_b32 v21, v23, v15
	s_wait_dscnt 0x0
	v_add_f64_e32 v[16:17], v[14:15], v[20:21]
	v_xor_b32_e32 v14, 2, v1
	s_delay_alu instid0(VALU_DEP_1)
	v_cmp_gt_i32_e32 vcc_lo, 32, v14
	ds_bpermute_b32 v22, v23, v6
	ds_bpermute_b32 v23, v23, v7
	v_cndmask_b32_e32 v14, v1, v14, vcc_lo
	s_wait_dscnt 0x0
	v_add_f64_e32 v[6:7], v[6:7], v[22:23]
	s_delay_alu instid0(VALU_DEP_2)
	v_lshlrev_b32_e32 v23, 2, v14
	ds_bpermute_b32 v14, v23, v4
	ds_bpermute_b32 v15, v23, v5
	;; [unrolled: 1-line block ×6, first 2 shown]
	s_wait_dscnt 0x4
	v_add_f64_e32 v[14:15], v[4:5], v[14:15]
	s_wait_dscnt 0x2
	v_add_f64_e32 v[4:5], v[16:17], v[20:21]
	v_xor_b32_e32 v16, 1, v1
	ds_bpermute_b32 v22, v23, v6
	ds_bpermute_b32 v23, v23, v7
	v_cmp_gt_i32_e32 vcc_lo, 32, v16
	v_cndmask_b32_e32 v1, v1, v16, vcc_lo
	s_wait_dscnt 0x2
	v_add_f64_e32 v[12:13], v[12:13], v[18:19]
	v_cmp_eq_u32_e32 vcc_lo, 15, v0
	s_wait_dscnt 0x0
	v_dual_add_f64 v[6:7], v[6:7], v[22:23] :: v_dual_lshlrev_b32 v1, 2, v1
	ds_bpermute_b32 v22, v1, v14
	ds_bpermute_b32 v23, v1, v15
	;; [unrolled: 1-line block ×8, first 2 shown]
	s_and_b32 exec_lo, exec_lo, vcc_lo
	s_cbranch_execz .LBB162_10
; %bb.40:
	s_wait_dscnt 0x6
	v_add_f64_e32 v[0:1], v[14:15], v[22:23]
	s_wait_dscnt 0x2
	v_add_f64_e32 v[12:13], v[12:13], v[20:21]
	v_add_f64_e32 v[14:15], v[4:5], v[18:19]
	s_wait_dscnt 0x0
	v_add_f64_e32 v[16:17], v[6:7], v[16:17]
	s_load_b64 s[0:1], s[0:1], 0x58
	v_lshlrev_b64_e32 v[10:11], 5, v[10:11]
	s_mov_b32 s2, exec_lo
	v_mul_f64_e32 v[4:5], v[2:3], v[0:1]
	v_mul_f64_e32 v[6:7], v[2:3], v[12:13]
	;; [unrolled: 1-line block ×4, first 2 shown]
	v_cmpx_eq_f64_e32 0, v[8:9]
	s_xor_b32 s2, exec_lo, s2
	s_cbranch_execz .LBB162_42
; %bb.41:
	s_wait_kmcnt 0x0
	v_add_nc_u64_e32 v[8:9], s[0:1], v[10:11]
                                        ; implicit-def: $vgpr10_vgpr11
	s_clause 0x1
	global_store_b128 v[8:9], v[4:7], off
	global_store_b128 v[8:9], v[0:3], off offset:16
                                        ; implicit-def: $vgpr8_vgpr9
                                        ; implicit-def: $vgpr4_vgpr5
                                        ; implicit-def: $vgpr0_vgpr1
.LBB162_42:
	s_wait_xcnt 0x0
	s_and_not1_saveexec_b32 s2, s2
	s_cbranch_execz .LBB162_10
; %bb.43:
	s_wait_kmcnt 0x0
	v_add_nc_u64_e32 v[18:19], s[0:1], v[10:11]
	s_clause 0x1
	global_load_b128 v[10:13], v[18:19], off
	global_load_b128 v[14:17], v[18:19], off offset:16
	s_wait_loadcnt 0x1
	v_fmac_f64_e32 v[4:5], v[8:9], v[10:11]
	v_fmac_f64_e32 v[6:7], v[8:9], v[12:13]
	s_wait_loadcnt 0x0
	v_fmac_f64_e32 v[0:1], v[8:9], v[14:15]
	v_fmac_f64_e32 v[2:3], v[8:9], v[16:17]
	s_clause 0x1
	global_store_b128 v[18:19], v[4:7], off
	global_store_b128 v[18:19], v[0:3], off offset:16
	s_sendmsg sendmsg(MSG_DEALLOC_VGPRS)
	s_endpgm
	.section	.rodata,"a",@progbits
	.p2align	6, 0x0
	.amdhsa_kernel _ZN9rocsparseL18bsrxmvn_4x4_kernelILj128ELj16EdllfddEEvT3_20rocsparse_direction_NS_24const_host_device_scalarIT1_EES1_PKS1_PKT2_SA_S7_PKT4_PKT5_S5_PT6_21rocsparse_index_base_b
		.amdhsa_group_segment_fixed_size 0
		.amdhsa_private_segment_fixed_size 0
		.amdhsa_kernarg_size 104
		.amdhsa_user_sgpr_count 2
		.amdhsa_user_sgpr_dispatch_ptr 0
		.amdhsa_user_sgpr_queue_ptr 0
		.amdhsa_user_sgpr_kernarg_segment_ptr 1
		.amdhsa_user_sgpr_dispatch_id 0
		.amdhsa_user_sgpr_kernarg_preload_length 0
		.amdhsa_user_sgpr_kernarg_preload_offset 0
		.amdhsa_user_sgpr_private_segment_size 0
		.amdhsa_wavefront_size32 1
		.amdhsa_uses_dynamic_stack 0
		.amdhsa_enable_private_segment 0
		.amdhsa_system_sgpr_workgroup_id_x 1
		.amdhsa_system_sgpr_workgroup_id_y 0
		.amdhsa_system_sgpr_workgroup_id_z 0
		.amdhsa_system_sgpr_workgroup_info 0
		.amdhsa_system_vgpr_workitem_id 0
		.amdhsa_next_free_vgpr 122
		.amdhsa_next_free_sgpr 12
		.amdhsa_named_barrier_count 0
		.amdhsa_reserve_vcc 1
		.amdhsa_float_round_mode_32 0
		.amdhsa_float_round_mode_16_64 0
		.amdhsa_float_denorm_mode_32 3
		.amdhsa_float_denorm_mode_16_64 3
		.amdhsa_fp16_overflow 0
		.amdhsa_memory_ordered 1
		.amdhsa_forward_progress 1
		.amdhsa_inst_pref_size 36
		.amdhsa_round_robin_scheduling 0
		.amdhsa_exception_fp_ieee_invalid_op 0
		.amdhsa_exception_fp_denorm_src 0
		.amdhsa_exception_fp_ieee_div_zero 0
		.amdhsa_exception_fp_ieee_overflow 0
		.amdhsa_exception_fp_ieee_underflow 0
		.amdhsa_exception_fp_ieee_inexact 0
		.amdhsa_exception_int_div_zero 0
	.end_amdhsa_kernel
	.section	.text._ZN9rocsparseL18bsrxmvn_4x4_kernelILj128ELj16EdllfddEEvT3_20rocsparse_direction_NS_24const_host_device_scalarIT1_EES1_PKS1_PKT2_SA_S7_PKT4_PKT5_S5_PT6_21rocsparse_index_base_b,"axG",@progbits,_ZN9rocsparseL18bsrxmvn_4x4_kernelILj128ELj16EdllfddEEvT3_20rocsparse_direction_NS_24const_host_device_scalarIT1_EES1_PKS1_PKT2_SA_S7_PKT4_PKT5_S5_PT6_21rocsparse_index_base_b,comdat
.Lfunc_end162:
	.size	_ZN9rocsparseL18bsrxmvn_4x4_kernelILj128ELj16EdllfddEEvT3_20rocsparse_direction_NS_24const_host_device_scalarIT1_EES1_PKS1_PKT2_SA_S7_PKT4_PKT5_S5_PT6_21rocsparse_index_base_b, .Lfunc_end162-_ZN9rocsparseL18bsrxmvn_4x4_kernelILj128ELj16EdllfddEEvT3_20rocsparse_direction_NS_24const_host_device_scalarIT1_EES1_PKS1_PKT2_SA_S7_PKT4_PKT5_S5_PT6_21rocsparse_index_base_b
                                        ; -- End function
	.set _ZN9rocsparseL18bsrxmvn_4x4_kernelILj128ELj16EdllfddEEvT3_20rocsparse_direction_NS_24const_host_device_scalarIT1_EES1_PKS1_PKT2_SA_S7_PKT4_PKT5_S5_PT6_21rocsparse_index_base_b.num_vgpr, 122
	.set _ZN9rocsparseL18bsrxmvn_4x4_kernelILj128ELj16EdllfddEEvT3_20rocsparse_direction_NS_24const_host_device_scalarIT1_EES1_PKS1_PKT2_SA_S7_PKT4_PKT5_S5_PT6_21rocsparse_index_base_b.num_agpr, 0
	.set _ZN9rocsparseL18bsrxmvn_4x4_kernelILj128ELj16EdllfddEEvT3_20rocsparse_direction_NS_24const_host_device_scalarIT1_EES1_PKS1_PKT2_SA_S7_PKT4_PKT5_S5_PT6_21rocsparse_index_base_b.numbered_sgpr, 12
	.set _ZN9rocsparseL18bsrxmvn_4x4_kernelILj128ELj16EdllfddEEvT3_20rocsparse_direction_NS_24const_host_device_scalarIT1_EES1_PKS1_PKT2_SA_S7_PKT4_PKT5_S5_PT6_21rocsparse_index_base_b.num_named_barrier, 0
	.set _ZN9rocsparseL18bsrxmvn_4x4_kernelILj128ELj16EdllfddEEvT3_20rocsparse_direction_NS_24const_host_device_scalarIT1_EES1_PKS1_PKT2_SA_S7_PKT4_PKT5_S5_PT6_21rocsparse_index_base_b.private_seg_size, 0
	.set _ZN9rocsparseL18bsrxmvn_4x4_kernelILj128ELj16EdllfddEEvT3_20rocsparse_direction_NS_24const_host_device_scalarIT1_EES1_PKS1_PKT2_SA_S7_PKT4_PKT5_S5_PT6_21rocsparse_index_base_b.uses_vcc, 1
	.set _ZN9rocsparseL18bsrxmvn_4x4_kernelILj128ELj16EdllfddEEvT3_20rocsparse_direction_NS_24const_host_device_scalarIT1_EES1_PKS1_PKT2_SA_S7_PKT4_PKT5_S5_PT6_21rocsparse_index_base_b.uses_flat_scratch, 0
	.set _ZN9rocsparseL18bsrxmvn_4x4_kernelILj128ELj16EdllfddEEvT3_20rocsparse_direction_NS_24const_host_device_scalarIT1_EES1_PKS1_PKT2_SA_S7_PKT4_PKT5_S5_PT6_21rocsparse_index_base_b.has_dyn_sized_stack, 0
	.set _ZN9rocsparseL18bsrxmvn_4x4_kernelILj128ELj16EdllfddEEvT3_20rocsparse_direction_NS_24const_host_device_scalarIT1_EES1_PKS1_PKT2_SA_S7_PKT4_PKT5_S5_PT6_21rocsparse_index_base_b.has_recursion, 0
	.set _ZN9rocsparseL18bsrxmvn_4x4_kernelILj128ELj16EdllfddEEvT3_20rocsparse_direction_NS_24const_host_device_scalarIT1_EES1_PKS1_PKT2_SA_S7_PKT4_PKT5_S5_PT6_21rocsparse_index_base_b.has_indirect_call, 0
	.section	.AMDGPU.csdata,"",@progbits
; Kernel info:
; codeLenInByte = 4552
; TotalNumSgprs: 14
; NumVgprs: 122
; ScratchSize: 0
; MemoryBound: 0
; FloatMode: 240
; IeeeMode: 1
; LDSByteSize: 0 bytes/workgroup (compile time only)
; SGPRBlocks: 0
; VGPRBlocks: 7
; NumSGPRsForWavesPerEU: 14
; NumVGPRsForWavesPerEU: 122
; NamedBarCnt: 0
; Occupancy: 8
; WaveLimiterHint : 1
; COMPUTE_PGM_RSRC2:SCRATCH_EN: 0
; COMPUTE_PGM_RSRC2:USER_SGPR: 2
; COMPUTE_PGM_RSRC2:TRAP_HANDLER: 0
; COMPUTE_PGM_RSRC2:TGID_X_EN: 1
; COMPUTE_PGM_RSRC2:TGID_Y_EN: 0
; COMPUTE_PGM_RSRC2:TGID_Z_EN: 0
; COMPUTE_PGM_RSRC2:TIDIG_COMP_CNT: 0
	.section	.text._ZN9rocsparseL18bsrxmvn_4x4_kernelILj128ELj32EdllfddEEvT3_20rocsparse_direction_NS_24const_host_device_scalarIT1_EES1_PKS1_PKT2_SA_S7_PKT4_PKT5_S5_PT6_21rocsparse_index_base_b,"axG",@progbits,_ZN9rocsparseL18bsrxmvn_4x4_kernelILj128ELj32EdllfddEEvT3_20rocsparse_direction_NS_24const_host_device_scalarIT1_EES1_PKS1_PKT2_SA_S7_PKT4_PKT5_S5_PT6_21rocsparse_index_base_b,comdat
	.globl	_ZN9rocsparseL18bsrxmvn_4x4_kernelILj128ELj32EdllfddEEvT3_20rocsparse_direction_NS_24const_host_device_scalarIT1_EES1_PKS1_PKT2_SA_S7_PKT4_PKT5_S5_PT6_21rocsparse_index_base_b ; -- Begin function _ZN9rocsparseL18bsrxmvn_4x4_kernelILj128ELj32EdllfddEEvT3_20rocsparse_direction_NS_24const_host_device_scalarIT1_EES1_PKS1_PKT2_SA_S7_PKT4_PKT5_S5_PT6_21rocsparse_index_base_b
	.p2align	8
	.type	_ZN9rocsparseL18bsrxmvn_4x4_kernelILj128ELj32EdllfddEEvT3_20rocsparse_direction_NS_24const_host_device_scalarIT1_EES1_PKS1_PKT2_SA_S7_PKT4_PKT5_S5_PT6_21rocsparse_index_base_b,@function
_ZN9rocsparseL18bsrxmvn_4x4_kernelILj128ELj32EdllfddEEvT3_20rocsparse_direction_NS_24const_host_device_scalarIT1_EES1_PKS1_PKT2_SA_S7_PKT4_PKT5_S5_PT6_21rocsparse_index_base_b: ; @_ZN9rocsparseL18bsrxmvn_4x4_kernelILj128ELj32EdllfddEEvT3_20rocsparse_direction_NS_24const_host_device_scalarIT1_EES1_PKS1_PKT2_SA_S7_PKT4_PKT5_S5_PT6_21rocsparse_index_base_b
; %bb.0:
	s_clause 0x2
	s_load_b64 s[8:9], s[0:1], 0x60
	s_load_b128 s[4:7], s[0:1], 0x10
	s_load_b64 s[2:3], s[0:1], 0x50
	s_wait_kmcnt 0x0
	s_bitcmp1_b32 s9, 0
	v_mov_b64_e32 v[2:3], s[4:5]
	s_cselect_b32 s9, -1, 0
	s_delay_alu instid0(SALU_CYCLE_1)
	s_and_b32 vcc_lo, exec_lo, s9
	s_xor_b32 s9, s9, -1
	s_cbranch_vccnz .LBB163_2
; %bb.1:
	v_mov_b32_e32 v1, 0
	flat_load_b64 v[2:3], v1, s[4:5]
.LBB163_2:
	v_mov_b64_e32 v[8:9], s[2:3]
	s_and_not1_b32 vcc_lo, exec_lo, s9
	s_cbranch_vccnz .LBB163_4
; %bb.3:
	s_wait_xcnt 0x0
	v_mov_b32_e32 v1, 0
	flat_load_b64 v[8:9], v1, s[2:3]
.LBB163_4:
	s_wait_loadcnt_dscnt 0x0
	v_cmp_neq_f64_e32 vcc_lo, 0, v[2:3]
	s_delay_alu instid0(VALU_DEP_2) | instskip(SKIP_1) | instid1(SALU_CYCLE_1)
	v_cmp_neq_f64_e64 s2, 1.0, v[8:9]
	s_or_b32 s2, vcc_lo, s2
	s_and_saveexec_b32 s3, s2
	s_cbranch_execz .LBB163_10
; %bb.5:
	s_load_b64 s[2:3], s[0:1], 0x20
	s_bfe_u32 s4, ttmp6, 0x4000c
	s_and_b32 s5, ttmp6, 15
	s_add_co_i32 s4, s4, 1
	s_getreg_b32 s9, hwreg(HW_REG_IB_STS2, 6, 4)
	s_mul_i32 s4, ttmp9, s4
	v_dual_lshrrev_b32 v1, 5, v0 :: v_dual_mov_b32 v7, 0
	s_add_co_i32 s5, s5, s4
	s_cmp_eq_u32 s9, 0
	s_cselect_b32 s4, ttmp9, s5
	s_delay_alu instid0(VALU_DEP_1) | instid1(SALU_CYCLE_1)
	v_lshl_or_b32 v6, s4, 2, v1
	s_mov_b32 s4, 0
	s_wait_kmcnt 0x0
	s_cmp_lg_u64 s[2:3], 0
	s_cbranch_scc0 .LBB163_11
; %bb.6:
	v_cmp_gt_i64_e32 vcc_lo, s[6:7], v[6:7]
	s_mov_b32 s5, 0
                                        ; implicit-def: $vgpr10_vgpr11
                                        ; implicit-def: $vgpr4_vgpr5
	s_and_saveexec_b32 s6, vcc_lo
	s_delay_alu instid0(SALU_CYCLE_1)
	s_xor_b32 s6, exec_lo, s6
	s_cbranch_execz .LBB163_8
; %bb.7:
	v_lshl_add_u64 v[4:5], v[6:7], 3, s[2:3]
	s_mov_b32 s9, 0
	s_mov_b32 s4, exec_lo
	global_load_b64 v[4:5], v[4:5], off
	s_wait_loadcnt 0x0
	v_sub_nc_u64_e64 v[10:11], v[4:5], s[8:9]
	v_mov_b64_e32 v[4:5], s[8:9]
.LBB163_8:
	s_or_b32 exec_lo, exec_lo, s6
	s_delay_alu instid0(SALU_CYCLE_1)
	s_and_b32 vcc_lo, exec_lo, s5
	s_cbranch_vccnz .LBB163_12
.LBB163_9:
	s_and_b32 exec_lo, exec_lo, s4
	s_cbranch_execnz .LBB163_15
.LBB163_10:
	s_sendmsg sendmsg(MSG_DEALLOC_VGPRS)
	s_endpgm
.LBB163_11:
                                        ; implicit-def: $vgpr10_vgpr11
                                        ; implicit-def: $vgpr4_vgpr5
	s_cbranch_execz .LBB163_9
.LBB163_12:
	s_load_b64 s[2:3], s[0:1], 0x0
	s_wait_kmcnt 0x0
	v_cmp_gt_i64_e32 vcc_lo, s[2:3], v[6:7]
	s_and_saveexec_b32 s2, vcc_lo
; %bb.13:
	s_mov_b32 s9, 0
	s_or_b32 s4, s4, exec_lo
; %bb.14:
	s_or_b32 exec_lo, exec_lo, s2
	v_mov_b64_e32 v[4:5], s[8:9]
	v_mov_b64_e32 v[10:11], v[6:7]
	s_and_b32 exec_lo, exec_lo, s4
	s_cbranch_execz .LBB163_10
.LBB163_15:
	s_load_b256 s[4:11], s[0:1], 0x28
	s_delay_alu instid0(VALU_DEP_1) | instskip(SKIP_3) | instid1(VALU_DEP_2)
	v_lshlrev_b64_e32 v[6:7], 3, v[10:11]
	v_dual_mov_b32 v1, 0 :: v_dual_bitop2_b32 v0, 31, v0 bitop3:0x40
	s_load_b32 s3, s[0:1], 0x8
	s_wait_kmcnt 0x0
	v_add_nc_u64_e32 v[12:13], s[4:5], v[6:7]
	v_add_nc_u64_e32 v[6:7], s[6:7], v[6:7]
	s_cmp_eq_u64 s[6:7], 0
	s_load_b64 s[4:5], s[0:1], 0x48
	s_cselect_b32 vcc_lo, -1, 0
	s_cmp_eq_u32 s3, 1
	global_load_b64 v[24:25], v[12:13], off
	s_wait_xcnt 0x0
	v_add_nc_u64_e32 v[12:13], 8, v[12:13]
	s_delay_alu instid0(VALU_DEP_1) | instskip(SKIP_3) | instid1(VALU_DEP_1)
	v_dual_cndmask_b32 v7, v7, v13 :: v_dual_cndmask_b32 v6, v6, v12
	global_load_b64 v[6:7], v[6:7], off
	s_wait_loadcnt 0x1
	v_sub_nc_u64_e32 v[12:13], v[24:25], v[4:5]
	v_add_nc_u64_e32 v[18:19], v[12:13], v[0:1]
	s_wait_loadcnt 0x0
	v_sub_nc_u64_e32 v[20:21], v[6:7], v[4:5]
	s_delay_alu instid0(VALU_DEP_2) | instskip(NEXT) | instid1(VALU_DEP_2)
	v_lshlrev_b64_e32 v[12:13], 6, v[18:19]
	v_cmp_lt_i64_e64 s2, v[18:19], v[20:21]
	s_delay_alu instid0(VALU_DEP_2)
	v_add_nc_u64_e32 v[22:23], s[10:11], v[12:13]
	s_cbranch_scc1 .LBB163_27
; %bb.16:
	v_mov_b64_e32 v[6:7], 0
	v_mov_b64_e32 v[12:13], 0
	;; [unrolled: 1-line block ×4, first 2 shown]
	s_and_saveexec_b32 s3, s2
	s_cbranch_execz .LBB163_26
; %bb.17:
	v_dual_mov_b32 v7, v1 :: v_dual_bitop2_b32 v6, 32, v0 bitop3:0x54
	v_sub_nc_u64_e32 v[12:13], v[4:5], v[0:1]
	v_not_b32_e32 v15, v25
	v_not_b32_e32 v14, v24
	v_mov_b64_e32 v[16:17], 0
	v_sub_nc_u64_e32 v[6:7], v[6:7], v[4:5]
	v_mov_b64_e32 v[26:27], v[18:19]
	v_mov_b64_e32 v[28:29], v[22:23]
	v_add_nc_u64_e32 v[12:13], v[12:13], v[14:15]
	v_mov_b64_e32 v[14:15], 0
	v_mov_b32_e32 v35, 0
	s_mov_b32 s6, exec_lo
	v_add_nc_u64_e32 v[6:7], v[6:7], v[24:25]
	s_delay_alu instid0(VALU_DEP_1) | instskip(NEXT) | instid1(VALU_DEP_1)
	v_max_i64 v[6:7], v[6:7], v[20:21]
	v_add_nc_u64_e32 v[30:31], v[12:13], v[6:7]
	v_mov_b64_e32 v[12:13], 0
	v_mov_b64_e32 v[6:7], 0
	s_delay_alu instid0(VALU_DEP_3) | instskip(NEXT) | instid1(VALU_DEP_1)
	v_and_b32_e32 v34, 0x60, v30
	v_cmpx_ne_u64_e32 0x60, v[34:35]
	s_cbranch_execz .LBB163_21
; %bb.18:
	v_lshrrev_b32_e32 v6, 5, v30
	v_mov_b64_e32 v[12:13], 0
	v_mov_b64_e32 v[16:17], 0
	;; [unrolled: 1-line block ×4, first 2 shown]
	v_add_nc_u32_e32 v6, 1, v6
	v_mov_b64_e32 v[26:27], v[18:19]
	v_lshl_add_u64 v[32:33], v[18:19], 3, s[8:9]
	s_mov_b32 s7, 0
	s_delay_alu instid0(VALU_DEP_3) | instskip(SKIP_1) | instid1(VALU_DEP_2)
	v_and_b32_e32 v34, 3, v6
	v_mov_b64_e32 v[6:7], 0
	v_sub_nc_u64_e32 v[34:35], 0, v[34:35]
.LBB163_19:                             ; =>This Inner Loop Header: Depth=1
	global_load_b64 v[52:53], v[32:33], off
	s_clause 0x3
	global_load_b128 v[36:39], v[28:29], off
	global_load_b128 v[40:43], v[28:29], off offset:16
	global_load_b128 v[44:47], v[28:29], off offset:32
	;; [unrolled: 1-line block ×3, first 2 shown]
	v_add_nc_u64_e32 v[34:35], 1, v[34:35]
	s_wait_xcnt 0x0
	v_add_nc_u64_e32 v[28:29], 0x800, v[28:29]
	v_add_nc_u64_e32 v[26:27], 32, v[26:27]
	;; [unrolled: 1-line block ×3, first 2 shown]
	s_delay_alu instid0(VALU_DEP_4)
	v_cmp_eq_u64_e32 vcc_lo, 0, v[34:35]
	s_or_b32 s7, vcc_lo, s7
	s_wait_loadcnt 0x4
	v_sub_nc_u64_e32 v[52:53], v[52:53], v[4:5]
	s_wait_loadcnt 0x2
	v_cvt_f64_f32_e32 v[62:63], v40
	s_wait_loadcnt 0x1
	v_cvt_f64_f32_e32 v[64:65], v44
	;; [unrolled: 2-line block ×3, first 2 shown]
	v_cvt_f64_f32_e32 v[40:41], v41
	v_cvt_f64_f32_e32 v[44:45], v45
	v_lshlrev_b64_e32 v[52:53], 5, v[52:53]
	v_cvt_f64_f32_e32 v[48:49], v49
	s_wait_kmcnt 0x0
	s_delay_alu instid0(VALU_DEP_2)
	v_add_nc_u64_e32 v[60:61], s[4:5], v[52:53]
	s_clause 0x1
	global_load_b128 v[52:55], v[60:61], off
	global_load_b128 v[56:59], v[60:61], off offset:16
	s_wait_xcnt 0x0
	v_cvt_f64_f32_e32 v[60:61], v36
	v_cvt_f64_f32_e32 v[36:37], v37
	s_wait_loadcnt 0x1
	s_delay_alu instid0(VALU_DEP_2)
	v_fmac_f64_e32 v[14:15], v[60:61], v[52:53]
	v_fmac_f64_e32 v[16:17], v[62:63], v[52:53]
	;; [unrolled: 1-line block ×4, first 2 shown]
	v_cvt_f64_f32_e32 v[52:53], v38
	v_cvt_f64_f32_e32 v[60:61], v42
	;; [unrolled: 1-line block ×4, first 2 shown]
	v_fmac_f64_e32 v[14:15], v[36:37], v[54:55]
	v_fmac_f64_e32 v[16:17], v[40:41], v[54:55]
	;; [unrolled: 1-line block ×4, first 2 shown]
	v_cvt_f64_f32_e32 v[36:37], v39
	v_cvt_f64_f32_e32 v[38:39], v43
	;; [unrolled: 1-line block ×4, first 2 shown]
	s_wait_loadcnt 0x0
	v_fmac_f64_e32 v[14:15], v[52:53], v[56:57]
	v_fmac_f64_e32 v[16:17], v[60:61], v[56:57]
	;; [unrolled: 1-line block ×4, first 2 shown]
	s_delay_alu instid0(VALU_DEP_4) | instskip(NEXT) | instid1(VALU_DEP_4)
	v_fmac_f64_e32 v[14:15], v[36:37], v[58:59]
	v_fmac_f64_e32 v[16:17], v[38:39], v[58:59]
	s_delay_alu instid0(VALU_DEP_4) | instskip(NEXT) | instid1(VALU_DEP_4)
	v_fmac_f64_e32 v[12:13], v[40:41], v[58:59]
	v_fmac_f64_e32 v[6:7], v[42:43], v[58:59]
	s_and_not1_b32 exec_lo, exec_lo, s7
	s_cbranch_execnz .LBB163_19
; %bb.20:
	s_or_b32 exec_lo, exec_lo, s7
.LBB163_21:
	s_delay_alu instid0(SALU_CYCLE_1) | instskip(NEXT) | instid1(SALU_CYCLE_1)
	s_or_b32 exec_lo, exec_lo, s6
	s_mov_b32 s6, exec_lo
	v_cmpx_lt_u64_e32 0x5f, v[30:31]
	s_cbranch_execz .LBB163_25
; %bb.22:
	v_lshl_add_u64 v[30:31], v[26:27], 3, s[8:9]
	s_mov_b32 s7, 0
	s_delay_alu instid0(VALU_DEP_1)
	v_add_nc_u64_e32 v[30:31], 0x200, v[30:31]
.LBB163_23:                             ; =>This Inner Loop Header: Depth=1
	s_clause 0x2
	global_load_b64 v[48:49], v[30:31], off offset:-512
	global_load_b64 v[72:73], v[30:31], off offset:-256
	global_load_b64 v[96:97], v[30:31], off
	s_clause 0x3
	global_load_b128 v[32:35], v[28:29], off
	global_load_b128 v[36:39], v[28:29], off offset:16
	global_load_b128 v[40:43], v[28:29], off offset:32
	;; [unrolled: 1-line block ×3, first 2 shown]
	global_load_b64 v[116:117], v[30:31], off offset:256
	v_add_nc_u64_e32 v[26:27], 0x80, v[26:27]
	s_wait_xcnt 0x0
	v_add_nc_u64_e32 v[30:31], 0x400, v[30:31]
	s_delay_alu instid0(VALU_DEP_2)
	v_cmp_ge_i64_e32 vcc_lo, v[26:27], v[20:21]
	s_or_b32 s7, vcc_lo, s7
	s_wait_loadcnt 0x7
	v_sub_nc_u64_e32 v[48:49], v[48:49], v[4:5]
	s_wait_loadcnt 0x6
	v_sub_nc_u64_e32 v[72:73], v[72:73], v[4:5]
	;; [unrolled: 2-line block ×3, first 2 shown]
	s_wait_loadcnt 0x4
	v_cvt_f64_f32_e32 v[104:105], v32
	s_wait_loadcnt 0x3
	v_cvt_f64_f32_e32 v[106:107], v36
	;; [unrolled: 2-line block ×4, first 2 shown]
	v_lshlrev_b64_e32 v[48:49], 5, v[48:49]
	v_lshlrev_b64_e32 v[72:73], 5, v[72:73]
	;; [unrolled: 1-line block ×3, first 2 shown]
	v_cvt_f64_f32_e32 v[32:33], v33
	v_cvt_f64_f32_e32 v[36:37], v37
	;; [unrolled: 1-line block ×4, first 2 shown]
	s_wait_kmcnt 0x0
	v_add_nc_u64_e32 v[74:75], s[4:5], v[48:49]
	v_add_nc_u64_e32 v[98:99], s[4:5], v[72:73]
	;; [unrolled: 1-line block ×3, first 2 shown]
	v_cvt_f64_f32_e32 v[118:119], v42
	v_cvt_f64_f32_e32 v[120:121], v46
	;; [unrolled: 1-line block ×4, first 2 shown]
	s_clause 0x1
	global_load_b128 v[48:51], v[74:75], off
	global_load_b128 v[52:55], v[74:75], off offset:16
	s_clause 0x3
	global_load_b128 v[56:59], v[28:29], off offset:2048
	global_load_b128 v[60:63], v[28:29], off offset:2064
	;; [unrolled: 1-line block ×4, first 2 shown]
	s_clause 0x1
	global_load_b128 v[72:75], v[98:99], off
	global_load_b128 v[76:79], v[98:99], off offset:16
	s_clause 0x3
	global_load_b128 v[80:83], v[28:29], off offset:4096
	global_load_b128 v[84:87], v[28:29], off offset:4112
	;; [unrolled: 1-line block ×4, first 2 shown]
	s_clause 0x1
	global_load_b128 v[96:99], v[100:101], off
	global_load_b128 v[100:103], v[100:101], off offset:16
	s_wait_loadcnt 0xd
	v_fmac_f64_e32 v[14:15], v[104:105], v[48:49]
	v_fmac_f64_e32 v[16:17], v[106:107], v[48:49]
	;; [unrolled: 1-line block ×4, first 2 shown]
	s_clause 0x2
	global_load_b128 v[104:107], v[28:29], off offset:6176
	global_load_b128 v[108:111], v[28:29], off offset:6160
	;; [unrolled: 1-line block ×3, first 2 shown]
	v_fmac_f64_e32 v[14:15], v[32:33], v[50:51]
	v_fmac_f64_e32 v[16:17], v[36:37], v[50:51]
	;; [unrolled: 1-line block ×4, first 2 shown]
	global_load_b128 v[48:51], v[28:29], off offset:6192
	v_cvt_f64_f32_e32 v[36:37], v34
	v_cvt_f64_f32_e32 v[44:45], v38
	v_sub_nc_u64_e32 v[32:33], v[116:117], v[4:5]
	v_cvt_f64_f32_e32 v[40:41], v35
	v_cvt_f64_f32_e32 v[38:39], v39
	s_wait_xcnt 0x0
	v_add_nc_u64_e32 v[28:29], 0x2000, v[28:29]
	s_delay_alu instid0(VALU_DEP_4) | instskip(NEXT) | instid1(VALU_DEP_1)
	v_lshlrev_b64_e32 v[32:33], 5, v[32:33]
	v_add_nc_u64_e32 v[116:117], s[4:5], v[32:33]
	global_load_b128 v[32:35], v[116:117], off
	s_wait_loadcnt 0x11
	v_fmac_f64_e32 v[12:13], v[118:119], v[52:53]
	v_fmac_f64_e32 v[6:7], v[120:121], v[52:53]
	s_wait_loadcnt 0xe
	v_cvt_f64_f32_e32 v[118:119], v64
	v_fmac_f64_e32 v[14:15], v[36:37], v[52:53]
	v_fmac_f64_e32 v[16:17], v[44:45], v[52:53]
	v_cvt_f64_f32_e32 v[44:45], v56
	v_cvt_f64_f32_e32 v[52:53], v60
	s_wait_loadcnt 0xd
	v_cvt_f64_f32_e32 v[120:121], v68
	v_fmac_f64_e32 v[12:13], v[42:43], v[54:55]
	v_fmac_f64_e32 v[6:7], v[46:47], v[54:55]
	v_cvt_f64_f32_e32 v[42:43], v61
	v_fmac_f64_e32 v[14:15], v[40:41], v[54:55]
	v_fmac_f64_e32 v[16:17], v[38:39], v[54:55]
	v_cvt_f64_f32_e32 v[40:41], v57
	v_cvt_f64_f32_e32 v[46:47], v65
	;; [unrolled: 1-line block ×3, first 2 shown]
	global_load_b128 v[36:39], v[116:117], off offset:16
	v_cvt_f64_f32_e32 v[56:57], v66
	v_cvt_f64_f32_e32 v[60:61], v70
	s_wait_loadcnt 0xd
	v_fmac_f64_e32 v[12:13], v[118:119], v[72:73]
	v_fmac_f64_e32 v[6:7], v[120:121], v[72:73]
	;; [unrolled: 1-line block ×4, first 2 shown]
	v_cvt_f64_f32_e32 v[44:45], v58
	v_cvt_f64_f32_e32 v[52:53], v62
	v_fmac_f64_e32 v[12:13], v[46:47], v[74:75]
	v_fmac_f64_e32 v[6:7], v[54:55], v[74:75]
	v_cvt_f64_f32_e32 v[46:47], v67
	v_fmac_f64_e32 v[14:15], v[40:41], v[74:75]
	v_fmac_f64_e32 v[16:17], v[42:43], v[74:75]
	v_cvt_f64_f32_e32 v[40:41], v59
	v_cvt_f64_f32_e32 v[42:43], v63
	;; [unrolled: 1-line block ×3, first 2 shown]
	s_wait_loadcnt 0x8
	v_cvt_f64_f32_e32 v[58:59], v92
	v_fmac_f64_e32 v[12:13], v[56:57], v[76:77]
	v_fmac_f64_e32 v[6:7], v[60:61], v[76:77]
	v_cvt_f64_f32_e32 v[56:57], v88
	v_fmac_f64_e32 v[14:15], v[44:45], v[76:77]
	v_fmac_f64_e32 v[16:17], v[52:53], v[76:77]
	v_cvt_f64_f32_e32 v[44:45], v80
	v_cvt_f64_f32_e32 v[52:53], v84
	v_fmac_f64_e32 v[12:13], v[46:47], v[78:79]
	v_fmac_f64_e32 v[6:7], v[54:55], v[78:79]
	v_cvt_f64_f32_e32 v[46:47], v89
	v_fmac_f64_e32 v[14:15], v[40:41], v[78:79]
	v_fmac_f64_e32 v[16:17], v[42:43], v[78:79]
	v_cvt_f64_f32_e32 v[40:41], v81
	v_cvt_f64_f32_e32 v[42:43], v85
	;; [unrolled: 1-line block ×3, first 2 shown]
	s_wait_loadcnt 0x7
	v_fmac_f64_e32 v[12:13], v[56:57], v[96:97]
	v_fmac_f64_e32 v[6:7], v[58:59], v[96:97]
	v_cvt_f64_f32_e32 v[56:57], v90
	v_fmac_f64_e32 v[14:15], v[44:45], v[96:97]
	v_fmac_f64_e32 v[16:17], v[52:53], v[96:97]
	v_cvt_f64_f32_e32 v[44:45], v82
	v_cvt_f64_f32_e32 v[52:53], v86
	;; [unrolled: 1-line block ×3, first 2 shown]
	v_fmac_f64_e32 v[12:13], v[46:47], v[98:99]
	v_fmac_f64_e32 v[6:7], v[54:55], v[98:99]
	v_cvt_f64_f32_e32 v[46:47], v91
	v_fmac_f64_e32 v[14:15], v[40:41], v[98:99]
	v_fmac_f64_e32 v[16:17], v[42:43], v[98:99]
	v_cvt_f64_f32_e32 v[40:41], v83
	v_cvt_f64_f32_e32 v[42:43], v87
	v_cvt_f64_f32_e32 v[54:55], v95
	s_wait_loadcnt 0x6
	v_fmac_f64_e32 v[12:13], v[56:57], v[100:101]
	v_fmac_f64_e32 v[6:7], v[58:59], v[100:101]
	s_wait_loadcnt 0x5
	v_cvt_f64_f32_e32 v[56:57], v104
	v_fmac_f64_e32 v[14:15], v[44:45], v[100:101]
	v_fmac_f64_e32 v[16:17], v[52:53], v[100:101]
	s_wait_loadcnt 0x3
	v_cvt_f64_f32_e32 v[44:45], v112
	v_cvt_f64_f32_e32 v[52:53], v108
	v_fmac_f64_e32 v[12:13], v[46:47], v[102:103]
	v_fmac_f64_e32 v[6:7], v[54:55], v[102:103]
	s_wait_loadcnt 0x2
	v_cvt_f64_f32_e32 v[58:59], v48
	v_fmac_f64_e32 v[14:15], v[40:41], v[102:103]
	v_fmac_f64_e32 v[16:17], v[42:43], v[102:103]
	v_cvt_f64_f32_e32 v[40:41], v113
	v_cvt_f64_f32_e32 v[42:43], v109
	;; [unrolled: 1-line block ×5, first 2 shown]
	s_wait_loadcnt 0x1
	v_fmac_f64_e32 v[12:13], v[56:57], v[32:33]
	v_fmac_f64_e32 v[6:7], v[58:59], v[32:33]
	;; [unrolled: 1-line block ×4, first 2 shown]
	v_cvt_f64_f32_e32 v[32:33], v114
	v_cvt_f64_f32_e32 v[44:45], v110
	;; [unrolled: 1-line block ×3, first 2 shown]
	v_fmac_f64_e32 v[12:13], v[46:47], v[34:35]
	v_cvt_f64_f32_e32 v[46:47], v51
	v_fmac_f64_e32 v[6:7], v[48:49], v[34:35]
	v_fmac_f64_e32 v[14:15], v[40:41], v[34:35]
	;; [unrolled: 1-line block ×3, first 2 shown]
	v_cvt_f64_f32_e32 v[34:35], v115
	v_cvt_f64_f32_e32 v[40:41], v111
	;; [unrolled: 1-line block ×3, first 2 shown]
	s_wait_loadcnt 0x0
	v_fmac_f64_e32 v[12:13], v[52:53], v[36:37]
	v_fmac_f64_e32 v[6:7], v[54:55], v[36:37]
	;; [unrolled: 1-line block ×4, first 2 shown]
	s_delay_alu instid0(VALU_DEP_4) | instskip(NEXT) | instid1(VALU_DEP_4)
	v_fmac_f64_e32 v[12:13], v[42:43], v[38:39]
	v_fmac_f64_e32 v[6:7], v[46:47], v[38:39]
	s_delay_alu instid0(VALU_DEP_4) | instskip(NEXT) | instid1(VALU_DEP_4)
	v_fmac_f64_e32 v[14:15], v[34:35], v[38:39]
	v_fmac_f64_e32 v[16:17], v[40:41], v[38:39]
	s_and_not1_b32 exec_lo, exec_lo, s7
	s_cbranch_execnz .LBB163_23
; %bb.24:
	s_or_b32 exec_lo, exec_lo, s7
.LBB163_25:
	s_delay_alu instid0(SALU_CYCLE_1)
	s_or_b32 exec_lo, exec_lo, s6
.LBB163_26:
	s_delay_alu instid0(SALU_CYCLE_1)
	s_or_b32 exec_lo, exec_lo, s3
	s_cbranch_execz .LBB163_28
	s_branch .LBB163_39
.LBB163_27:
                                        ; implicit-def: $vgpr6_vgpr7
                                        ; implicit-def: $vgpr12_vgpr13
                                        ; implicit-def: $vgpr16_vgpr17
                                        ; implicit-def: $vgpr14_vgpr15
.LBB163_28:
	v_mov_b64_e32 v[6:7], 0
	v_mov_b64_e32 v[12:13], 0
	;; [unrolled: 1-line block ×4, first 2 shown]
	s_and_saveexec_b32 s3, s2
	s_cbranch_execz .LBB163_38
; %bb.29:
	v_dual_mov_b32 v7, v1 :: v_dual_bitop2_b32 v6, 32, v0 bitop3:0x54
	v_sub_nc_u64_e32 v[12:13], v[4:5], v[0:1]
	v_not_b32_e32 v15, v25
	v_not_b32_e32 v14, v24
	v_mov_b64_e32 v[16:17], 0
	v_sub_nc_u64_e32 v[6:7], v[6:7], v[4:5]
	v_mov_b32_e32 v27, 0
	s_mov_b32 s2, exec_lo
	v_add_nc_u64_e32 v[12:13], v[12:13], v[14:15]
	v_mov_b64_e32 v[14:15], 0
	s_delay_alu instid0(VALU_DEP_4) | instskip(NEXT) | instid1(VALU_DEP_1)
	v_add_nc_u64_e32 v[6:7], v[6:7], v[24:25]
	v_max_i64 v[6:7], v[6:7], v[20:21]
	s_delay_alu instid0(VALU_DEP_1) | instskip(SKIP_2) | instid1(VALU_DEP_3)
	v_add_nc_u64_e32 v[24:25], v[12:13], v[6:7]
	v_mov_b64_e32 v[12:13], 0
	v_mov_b64_e32 v[6:7], 0
	v_and_b32_e32 v26, 0x60, v24
	s_delay_alu instid0(VALU_DEP_1)
	v_cmpx_ne_u64_e32 0x60, v[26:27]
	s_cbranch_execz .LBB163_33
; %bb.30:
	v_lshrrev_b32_e32 v1, 5, v24
	v_mov_b64_e32 v[6:7], 0
	v_mov_b64_e32 v[12:13], 0
	;; [unrolled: 1-line block ×4, first 2 shown]
	v_add_nc_u32_e32 v1, 1, v1
	v_lshl_add_u64 v[28:29], v[18:19], 3, s[8:9]
	s_mov_b32 s6, 0
	s_delay_alu instid0(VALU_DEP_2) | instskip(NEXT) | instid1(VALU_DEP_1)
	v_and_b32_e32 v26, 3, v1
	v_sub_nc_u64_e32 v[26:27], 0, v[26:27]
.LBB163_31:                             ; =>This Inner Loop Header: Depth=1
	global_load_b64 v[38:39], v[28:29], off
	s_clause 0x1
	global_load_b128 v[30:33], v[22:23], off
	global_load_b128 v[34:37], v[22:23], off offset:16
	v_add_nc_u64_e32 v[26:27], 1, v[26:27]
	v_add_nc_u64_e32 v[18:19], 32, v[18:19]
	s_wait_xcnt 0x2
	v_add_nc_u64_e32 v[28:29], 0x100, v[28:29]
	s_delay_alu instid0(VALU_DEP_3)
	v_cmp_eq_u64_e32 vcc_lo, 0, v[26:27]
	s_or_b32 s6, vcc_lo, s6
	s_wait_loadcnt 0x2
	v_sub_nc_u64_e32 v[38:39], v[38:39], v[4:5]
	s_wait_loadcnt 0x1
	v_cvt_f64_f32_e32 v[56:57], v32
	v_cvt_f64_f32_e32 v[32:33], v33
	s_wait_loadcnt 0x0
	v_cvt_f64_f32_e32 v[58:59], v34
	v_cvt_f64_f32_e32 v[34:35], v35
	;; [unrolled: 1-line block ×4, first 2 shown]
	v_lshlrev_b64_e32 v[38:39], 5, v[38:39]
	s_wait_kmcnt 0x0
	s_delay_alu instid0(VALU_DEP_1)
	v_add_nc_u64_e32 v[54:55], s[4:5], v[38:39]
	s_clause 0x1
	global_load_b128 v[38:41], v[54:55], off
	global_load_b128 v[42:45], v[54:55], off offset:16
	s_clause 0x1
	global_load_b128 v[46:49], v[22:23], off offset:32
	global_load_b128 v[50:53], v[22:23], off offset:48
	s_wait_xcnt 0x2
	v_cvt_f64_f32_e32 v[54:55], v30
	v_cvt_f64_f32_e32 v[30:31], v31
	s_wait_xcnt 0x0
	v_add_nc_u64_e32 v[22:23], 0x800, v[22:23]
	s_wait_loadcnt 0x3
	s_delay_alu instid0(VALU_DEP_3) | instskip(NEXT) | instid1(VALU_DEP_3)
	v_fmac_f64_e32 v[14:15], v[54:55], v[38:39]
	v_fmac_f64_e32 v[16:17], v[30:31], v[38:39]
	;; [unrolled: 1-line block ×4, first 2 shown]
	s_wait_loadcnt 0x1
	v_cvt_f64_f32_e32 v[30:31], v46
	v_cvt_f64_f32_e32 v[32:33], v47
	;; [unrolled: 1-line block ×4, first 2 shown]
	s_wait_loadcnt 0x0
	v_cvt_f64_f32_e32 v[48:49], v53
	v_fmac_f64_e32 v[14:15], v[58:59], v[40:41]
	v_fmac_f64_e32 v[16:17], v[34:35], v[40:41]
	;; [unrolled: 1-line block ×4, first 2 shown]
	v_cvt_f64_f32_e32 v[34:35], v50
	v_cvt_f64_f32_e32 v[36:37], v51
	;; [unrolled: 1-line block ×3, first 2 shown]
	v_fmac_f64_e32 v[14:15], v[30:31], v[42:43]
	v_fmac_f64_e32 v[16:17], v[32:33], v[42:43]
	;; [unrolled: 1-line block ×4, first 2 shown]
	s_delay_alu instid0(VALU_DEP_4) | instskip(NEXT) | instid1(VALU_DEP_4)
	v_fmac_f64_e32 v[14:15], v[34:35], v[44:45]
	v_fmac_f64_e32 v[16:17], v[36:37], v[44:45]
	s_delay_alu instid0(VALU_DEP_4) | instskip(NEXT) | instid1(VALU_DEP_4)
	v_fmac_f64_e32 v[12:13], v[40:41], v[44:45]
	v_fmac_f64_e32 v[6:7], v[48:49], v[44:45]
	s_and_not1_b32 exec_lo, exec_lo, s6
	s_cbranch_execnz .LBB163_31
; %bb.32:
	s_or_b32 exec_lo, exec_lo, s6
.LBB163_33:
	s_delay_alu instid0(SALU_CYCLE_1) | instskip(NEXT) | instid1(SALU_CYCLE_1)
	s_or_b32 exec_lo, exec_lo, s2
	s_mov_b32 s2, exec_lo
	v_cmpx_lt_u64_e32 0x5f, v[24:25]
	s_cbranch_execz .LBB163_37
; %bb.34:
	v_lshl_add_u64 v[24:25], v[18:19], 3, s[8:9]
	s_mov_b32 s6, 0
	s_delay_alu instid0(VALU_DEP_1)
	v_add_nc_u64_e32 v[24:25], 0x200, v[24:25]
.LBB163_35:                             ; =>This Inner Loop Header: Depth=1
	s_clause 0x2
	global_load_b64 v[30:31], v[24:25], off offset:-512
	global_load_b64 v[54:55], v[24:25], off offset:-256
	global_load_b64 v[78:79], v[24:25], off
	global_load_b128 v[26:29], v[22:23], off
	global_load_b64 v[94:95], v[24:25], off offset:256
	v_add_nc_u64_e32 v[18:19], 0x80, v[18:19]
	s_wait_xcnt 0x0
	v_add_nc_u64_e32 v[24:25], 0x400, v[24:25]
	s_delay_alu instid0(VALU_DEP_2)
	v_cmp_ge_i64_e32 vcc_lo, v[18:19], v[20:21]
	s_or_b32 s6, vcc_lo, s6
	s_wait_loadcnt 0x4
	v_sub_nc_u64_e32 v[30:31], v[30:31], v[4:5]
	s_wait_loadcnt 0x3
	v_sub_nc_u64_e32 v[54:55], v[54:55], v[4:5]
	;; [unrolled: 2-line block ×3, first 2 shown]
	s_wait_loadcnt 0x1
	v_cvt_f64_f32_e32 v[96:97], v27
	v_cvt_f64_f32_e32 v[92:93], v26
	;; [unrolled: 1-line block ×4, first 2 shown]
	v_lshlrev_b64_e32 v[30:31], 5, v[30:31]
	v_lshlrev_b64_e32 v[54:55], 5, v[54:55]
	;; [unrolled: 1-line block ×3, first 2 shown]
	s_wait_kmcnt 0x0
	s_delay_alu instid0(VALU_DEP_3) | instskip(NEXT) | instid1(VALU_DEP_3)
	v_add_nc_u64_e32 v[56:57], s[4:5], v[30:31]
	v_add_nc_u64_e32 v[80:81], s[4:5], v[54:55]
	s_delay_alu instid0(VALU_DEP_3)
	v_add_nc_u64_e32 v[90:91], s[4:5], v[78:79]
	global_load_b128 v[30:33], v[22:23], off offset:16
	global_load_b128 v[34:37], v[56:57], off
	s_clause 0x1
	global_load_b128 v[38:41], v[22:23], off offset:32
	global_load_b128 v[42:45], v[22:23], off offset:48
	;; [unrolled: 1-line block ×3, first 2 shown]
	s_clause 0x1
	global_load_b128 v[50:53], v[22:23], off offset:2048
	global_load_b128 v[54:57], v[22:23], off offset:2064
	global_load_b128 v[58:61], v[80:81], off
	s_clause 0x1
	global_load_b128 v[62:65], v[22:23], off offset:2080
	global_load_b128 v[66:69], v[22:23], off offset:2096
	;; [unrolled: 1-line block ×3, first 2 shown]
	s_clause 0x1
	global_load_b128 v[74:77], v[22:23], off offset:4096
	global_load_b128 v[78:81], v[22:23], off offset:4112
	global_load_b128 v[82:85], v[90:91], off
	s_clause 0x1
	global_load_b128 v[86:89], v[22:23], off offset:4128
	global_load_b128 v[26:29], v[22:23], off offset:4144
	s_wait_loadcnt 0xf
	v_cvt_f64_f32_e32 v[104:105], v31
	s_wait_loadcnt 0xe
	v_fmac_f64_e32 v[16:17], v[96:97], v[34:35]
	v_cvt_f64_f32_e32 v[102:103], v30
	v_cvt_f64_f32_e32 v[106:107], v32
	;; [unrolled: 1-line block ×3, first 2 shown]
	global_load_b128 v[30:33], v[90:91], off offset:16
	v_fmac_f64_e32 v[14:15], v[92:93], v[34:35]
	v_fmac_f64_e32 v[12:13], v[98:99], v[34:35]
	v_fmac_f64_e32 v[6:7], v[100:101], v[34:35]
	s_wait_loadcnt 0xe
	v_cvt_f64_f32_e32 v[96:97], v38
	v_cvt_f64_f32_e32 v[98:99], v39
	v_sub_nc_u64_e32 v[38:39], v[94:95], v[4:5]
	v_cvt_f64_f32_e32 v[100:101], v40
	v_cvt_f64_f32_e32 v[110:111], v41
	s_wait_loadcnt 0xd
	v_cvt_f64_f32_e32 v[94:95], v42
	s_delay_alu instid0(VALU_DEP_4) | instskip(SKIP_1) | instid1(VALU_DEP_2)
	v_lshlrev_b64_e32 v[38:39], 5, v[38:39]
	v_fmac_f64_e32 v[16:17], v[104:105], v[36:37]
	v_add_nc_u64_e32 v[104:105], s[4:5], v[38:39]
	v_fmac_f64_e32 v[14:15], v[102:103], v[36:37]
	v_fmac_f64_e32 v[12:13], v[106:107], v[36:37]
	;; [unrolled: 1-line block ×3, first 2 shown]
	global_load_b128 v[38:41], v[104:105], off
	s_clause 0x1
	global_load_b128 v[90:93], v[22:23], off offset:6144
	global_load_b128 v[34:37], v[22:23], off offset:6160
	v_cvt_f64_f32_e32 v[102:103], v43
	v_cvt_f64_f32_e32 v[106:107], v44
	;; [unrolled: 1-line block ×3, first 2 shown]
	global_load_b128 v[42:45], v[22:23], off offset:6176
	s_wait_loadcnt 0x10
	v_fmac_f64_e32 v[16:17], v[98:99], v[46:47]
	s_wait_loadcnt 0xf
	v_cvt_f64_f32_e32 v[98:99], v51
	v_fmac_f64_e32 v[14:15], v[96:97], v[46:47]
	v_fmac_f64_e32 v[12:13], v[100:101], v[46:47]
	;; [unrolled: 1-line block ×3, first 2 shown]
	v_cvt_f64_f32_e32 v[96:97], v50
	v_cvt_f64_f32_e32 v[100:101], v52
	;; [unrolled: 1-line block ×3, first 2 shown]
	global_load_b128 v[50:53], v[104:105], off offset:16
	v_fmac_f64_e32 v[16:17], v[102:103], v[48:49]
	s_wait_loadcnt 0xf
	v_cvt_f64_f32_e32 v[102:103], v56
	v_cvt_f64_f32_e32 v[56:57], v57
	v_fmac_f64_e32 v[14:15], v[94:95], v[48:49]
	v_fmac_f64_e32 v[12:13], v[106:107], v[48:49]
	;; [unrolled: 1-line block ×3, first 2 shown]
	global_load_b128 v[46:49], v[22:23], off offset:6192
	v_cvt_f64_f32_e32 v[94:95], v54
	v_cvt_f64_f32_e32 v[54:55], v55
	s_wait_xcnt 0x0
	v_add_nc_u64_e32 v[22:23], 0x2000, v[22:23]
	s_wait_loadcnt 0xf
	v_fmac_f64_e32 v[16:17], v[98:99], v[58:59]
	v_fmac_f64_e32 v[14:15], v[96:97], v[58:59]
	;; [unrolled: 1-line block ×4, first 2 shown]
	s_wait_loadcnt 0xe
	v_cvt_f64_f32_e32 v[58:59], v62
	v_cvt_f64_f32_e32 v[62:63], v63
	v_cvt_f64_f32_e32 v[96:97], v64
	v_cvt_f64_f32_e32 v[64:65], v65
	v_fmac_f64_e32 v[16:17], v[54:55], v[60:61]
	s_wait_loadcnt 0xd
	v_cvt_f64_f32_e32 v[54:55], v66
	v_fmac_f64_e32 v[14:15], v[94:95], v[60:61]
	v_fmac_f64_e32 v[12:13], v[102:103], v[60:61]
	;; [unrolled: 1-line block ×3, first 2 shown]
	v_cvt_f64_f32_e32 v[56:57], v67
	v_cvt_f64_f32_e32 v[60:61], v68
	v_cvt_f64_f32_e32 v[66:67], v69
	s_wait_loadcnt 0xb
	v_cvt_f64_f32_e32 v[68:69], v77
	v_fmac_f64_e32 v[16:17], v[62:63], v[70:71]
	v_cvt_f64_f32_e32 v[62:63], v75
	v_fmac_f64_e32 v[14:15], v[58:59], v[70:71]
	v_fmac_f64_e32 v[12:13], v[96:97], v[70:71]
	;; [unrolled: 1-line block ×3, first 2 shown]
	v_cvt_f64_f32_e32 v[58:59], v74
	v_cvt_f64_f32_e32 v[64:65], v76
	v_fmac_f64_e32 v[16:17], v[56:57], v[72:73]
	s_wait_loadcnt 0xa
	v_cvt_f64_f32_e32 v[56:57], v79
	v_fmac_f64_e32 v[14:15], v[54:55], v[72:73]
	v_fmac_f64_e32 v[12:13], v[60:61], v[72:73]
	;; [unrolled: 1-line block ×3, first 2 shown]
	v_cvt_f64_f32_e32 v[54:55], v78
	v_cvt_f64_f32_e32 v[60:61], v80
	;; [unrolled: 1-line block ×3, first 2 shown]
	s_wait_loadcnt 0x9
	v_fmac_f64_e32 v[16:17], v[62:63], v[82:83]
	s_wait_loadcnt 0x8
	v_cvt_f64_f32_e32 v[62:63], v87
	v_fmac_f64_e32 v[14:15], v[58:59], v[82:83]
	v_fmac_f64_e32 v[12:13], v[64:65], v[82:83]
	v_fmac_f64_e32 v[6:7], v[68:69], v[82:83]
	v_cvt_f64_f32_e32 v[58:59], v86
	v_cvt_f64_f32_e32 v[64:65], v88
	;; [unrolled: 1-line block ×3, first 2 shown]
	v_fmac_f64_e32 v[16:17], v[56:57], v[84:85]
	s_wait_loadcnt 0x7
	v_cvt_f64_f32_e32 v[56:57], v28
	v_cvt_f64_f32_e32 v[28:29], v29
	v_fmac_f64_e32 v[14:15], v[54:55], v[84:85]
	v_fmac_f64_e32 v[12:13], v[60:61], v[84:85]
	;; [unrolled: 1-line block ×3, first 2 shown]
	v_cvt_f64_f32_e32 v[54:55], v26
	v_cvt_f64_f32_e32 v[26:27], v27
	s_wait_loadcnt 0x6
	v_fmac_f64_e32 v[16:17], v[62:63], v[30:31]
	v_fmac_f64_e32 v[14:15], v[58:59], v[30:31]
	;; [unrolled: 1-line block ×4, first 2 shown]
	s_delay_alu instid0(VALU_DEP_4) | instskip(NEXT) | instid1(VALU_DEP_4)
	v_fmac_f64_e32 v[16:17], v[26:27], v[32:33]
	v_fmac_f64_e32 v[14:15], v[54:55], v[32:33]
	s_delay_alu instid0(VALU_DEP_4) | instskip(NEXT) | instid1(VALU_DEP_4)
	v_fmac_f64_e32 v[12:13], v[56:57], v[32:33]
	v_fmac_f64_e32 v[6:7], v[28:29], v[32:33]
	s_wait_loadcnt 0x4
	v_cvt_f64_f32_e32 v[30:31], v90
	v_cvt_f64_f32_e32 v[58:59], v91
	;; [unrolled: 1-line block ×4, first 2 shown]
	s_wait_loadcnt 0x3
	v_cvt_f64_f32_e32 v[26:27], v34
	v_cvt_f64_f32_e32 v[28:29], v35
	;; [unrolled: 1-line block ×4, first 2 shown]
	s_wait_loadcnt 0x2
	v_cvt_f64_f32_e32 v[36:37], v43
	v_fmac_f64_e32 v[14:15], v[30:31], v[38:39]
	v_fmac_f64_e32 v[16:17], v[58:59], v[38:39]
	;; [unrolled: 1-line block ×4, first 2 shown]
	v_cvt_f64_f32_e32 v[30:31], v42
	v_cvt_f64_f32_e32 v[38:39], v44
	;; [unrolled: 1-line block ×3, first 2 shown]
	v_fmac_f64_e32 v[14:15], v[26:27], v[40:41]
	v_fmac_f64_e32 v[16:17], v[28:29], v[40:41]
	;; [unrolled: 1-line block ×4, first 2 shown]
	s_wait_loadcnt 0x0
	v_cvt_f64_f32_e32 v[26:27], v46
	v_cvt_f64_f32_e32 v[28:29], v47
	;; [unrolled: 1-line block ×4, first 2 shown]
	v_fmac_f64_e32 v[14:15], v[30:31], v[50:51]
	v_fmac_f64_e32 v[16:17], v[36:37], v[50:51]
	v_fmac_f64_e32 v[12:13], v[38:39], v[50:51]
	v_fmac_f64_e32 v[6:7], v[42:43], v[50:51]
	s_delay_alu instid0(VALU_DEP_4) | instskip(NEXT) | instid1(VALU_DEP_4)
	v_fmac_f64_e32 v[14:15], v[26:27], v[52:53]
	v_fmac_f64_e32 v[16:17], v[28:29], v[52:53]
	s_delay_alu instid0(VALU_DEP_4) | instskip(NEXT) | instid1(VALU_DEP_4)
	v_fmac_f64_e32 v[12:13], v[32:33], v[52:53]
	v_fmac_f64_e32 v[6:7], v[34:35], v[52:53]
	s_and_not1_b32 exec_lo, exec_lo, s6
	s_cbranch_execnz .LBB163_35
; %bb.36:
	s_or_b32 exec_lo, exec_lo, s6
.LBB163_37:
	s_delay_alu instid0(SALU_CYCLE_1)
	s_or_b32 exec_lo, exec_lo, s2
.LBB163_38:
	s_delay_alu instid0(SALU_CYCLE_1)
	s_or_b32 exec_lo, exec_lo, s3
.LBB163_39:
	v_mbcnt_lo_u32_b32 v1, -1, 0
	s_delay_alu instid0(VALU_DEP_1) | instskip(NEXT) | instid1(VALU_DEP_1)
	v_xor_b32_e32 v4, 16, v1
	v_cmp_gt_i32_e32 vcc_lo, 32, v4
	v_cndmask_b32_e32 v4, v1, v4, vcc_lo
	s_delay_alu instid0(VALU_DEP_1)
	v_lshlrev_b32_e32 v23, 2, v4
	ds_bpermute_b32 v4, v23, v14
	ds_bpermute_b32 v5, v23, v15
	;; [unrolled: 1-line block ×4, first 2 shown]
	s_wait_dscnt 0x2
	v_add_f64_e32 v[4:5], v[14:15], v[4:5]
	s_wait_dscnt 0x0
	v_dual_add_f64 v[14:15], v[16:17], v[18:19] :: v_dual_bitop2_b32 v16, 8, v1 bitop3:0x14
	ds_bpermute_b32 v20, v23, v12
	ds_bpermute_b32 v21, v23, v13
	;; [unrolled: 1-line block ×4, first 2 shown]
	v_cmp_gt_i32_e32 vcc_lo, 32, v16
	v_cndmask_b32_e32 v16, v1, v16, vcc_lo
	s_wait_dscnt 0x2
	v_add_f64_e32 v[12:13], v[12:13], v[20:21]
	s_wait_dscnt 0x0
	s_delay_alu instid0(VALU_DEP_2)
	v_dual_add_f64 v[6:7], v[6:7], v[22:23] :: v_dual_lshlrev_b32 v23, 2, v16
	ds_bpermute_b32 v16, v23, v4
	ds_bpermute_b32 v17, v23, v5
	s_wait_dscnt 0x0
	v_add_f64_e32 v[4:5], v[4:5], v[16:17]
	v_xor_b32_e32 v16, 4, v1
	ds_bpermute_b32 v18, v23, v14
	ds_bpermute_b32 v19, v23, v15
	;; [unrolled: 1-line block ×6, first 2 shown]
	v_cmp_gt_i32_e32 vcc_lo, 32, v16
	s_wait_dscnt 0x4
	v_dual_add_f64 v[14:15], v[14:15], v[18:19] :: v_dual_cndmask_b32 v16, v1, v16, vcc_lo
	s_wait_dscnt 0x2
	v_add_f64_e32 v[12:13], v[12:13], v[20:21]
	s_wait_dscnt 0x0
	s_delay_alu instid0(VALU_DEP_2)
	v_dual_add_f64 v[6:7], v[6:7], v[22:23] :: v_dual_lshlrev_b32 v23, 2, v16
	ds_bpermute_b32 v16, v23, v4
	ds_bpermute_b32 v17, v23, v5
	s_wait_dscnt 0x0
	v_add_f64_e32 v[4:5], v[4:5], v[16:17]
	ds_bpermute_b32 v18, v23, v14
	ds_bpermute_b32 v19, v23, v15
	s_wait_dscnt 0x0
	v_add_f64_e32 v[16:17], v[14:15], v[18:19]
	ds_bpermute_b32 v20, v23, v12
	ds_bpermute_b32 v21, v23, v13
	;; [unrolled: 1-line block ×4, first 2 shown]
	s_wait_dscnt 0x2
	v_add_f64_e32 v[18:19], v[12:13], v[20:21]
	s_wait_dscnt 0x0
	v_dual_add_f64 v[6:7], v[6:7], v[22:23] :: v_dual_bitop2_b32 v12, 2, v1 bitop3:0x14
	s_delay_alu instid0(VALU_DEP_1) | instskip(SKIP_1) | instid1(VALU_DEP_1)
	v_cmp_gt_i32_e32 vcc_lo, 32, v12
	v_cndmask_b32_e32 v12, v1, v12, vcc_lo
	v_lshlrev_b32_e32 v14, 2, v12
	ds_bpermute_b32 v12, v14, v4
	ds_bpermute_b32 v13, v14, v5
	;; [unrolled: 1-line block ×8, first 2 shown]
	s_wait_dscnt 0x6
	v_add_f64_e32 v[14:15], v[4:5], v[12:13]
	s_wait_dscnt 0x4
	v_add_f64_e32 v[12:13], v[16:17], v[20:21]
	v_xor_b32_e32 v16, 1, v1
	s_delay_alu instid0(VALU_DEP_1)
	v_cmp_gt_i32_e32 vcc_lo, 32, v16
	s_wait_dscnt 0x2
	v_add_f64_e32 v[4:5], v[18:19], v[22:23]
	s_wait_dscnt 0x0
	v_add_f64_e32 v[6:7], v[6:7], v[24:25]
	v_cndmask_b32_e32 v1, v1, v16, vcc_lo
	v_cmp_eq_u32_e32 vcc_lo, 31, v0
	s_delay_alu instid0(VALU_DEP_2)
	v_lshlrev_b32_e32 v1, 2, v1
	ds_bpermute_b32 v22, v1, v14
	ds_bpermute_b32 v23, v1, v15
	;; [unrolled: 1-line block ×8, first 2 shown]
	s_and_b32 exec_lo, exec_lo, vcc_lo
	s_cbranch_execz .LBB163_10
; %bb.40:
	s_wait_dscnt 0x6
	v_add_f64_e32 v[0:1], v[14:15], v[22:23]
	s_wait_dscnt 0x4
	v_add_f64_e32 v[12:13], v[12:13], v[20:21]
	;; [unrolled: 2-line block ×4, first 2 shown]
	s_load_b64 s[0:1], s[0:1], 0x58
	v_lshlrev_b64_e32 v[10:11], 5, v[10:11]
	s_mov_b32 s2, exec_lo
	v_mul_f64_e32 v[4:5], v[2:3], v[0:1]
	v_mul_f64_e32 v[6:7], v[2:3], v[12:13]
	;; [unrolled: 1-line block ×4, first 2 shown]
	v_cmpx_eq_f64_e32 0, v[8:9]
	s_xor_b32 s2, exec_lo, s2
	s_cbranch_execz .LBB163_42
; %bb.41:
	s_wait_kmcnt 0x0
	v_add_nc_u64_e32 v[8:9], s[0:1], v[10:11]
                                        ; implicit-def: $vgpr10_vgpr11
	s_clause 0x1
	global_store_b128 v[8:9], v[4:7], off
	global_store_b128 v[8:9], v[0:3], off offset:16
                                        ; implicit-def: $vgpr8_vgpr9
                                        ; implicit-def: $vgpr4_vgpr5
                                        ; implicit-def: $vgpr0_vgpr1
.LBB163_42:
	s_wait_xcnt 0x0
	s_and_not1_saveexec_b32 s2, s2
	s_cbranch_execz .LBB163_10
; %bb.43:
	s_wait_kmcnt 0x0
	v_add_nc_u64_e32 v[18:19], s[0:1], v[10:11]
	s_clause 0x1
	global_load_b128 v[10:13], v[18:19], off
	global_load_b128 v[14:17], v[18:19], off offset:16
	s_wait_loadcnt 0x1
	v_fmac_f64_e32 v[4:5], v[8:9], v[10:11]
	v_fmac_f64_e32 v[6:7], v[8:9], v[12:13]
	s_wait_loadcnt 0x0
	v_fmac_f64_e32 v[0:1], v[8:9], v[14:15]
	v_fmac_f64_e32 v[2:3], v[8:9], v[16:17]
	s_clause 0x1
	global_store_b128 v[18:19], v[4:7], off
	global_store_b128 v[18:19], v[0:3], off offset:16
	s_sendmsg sendmsg(MSG_DEALLOC_VGPRS)
	s_endpgm
	.section	.rodata,"a",@progbits
	.p2align	6, 0x0
	.amdhsa_kernel _ZN9rocsparseL18bsrxmvn_4x4_kernelILj128ELj32EdllfddEEvT3_20rocsparse_direction_NS_24const_host_device_scalarIT1_EES1_PKS1_PKT2_SA_S7_PKT4_PKT5_S5_PT6_21rocsparse_index_base_b
		.amdhsa_group_segment_fixed_size 0
		.amdhsa_private_segment_fixed_size 0
		.amdhsa_kernarg_size 104
		.amdhsa_user_sgpr_count 2
		.amdhsa_user_sgpr_dispatch_ptr 0
		.amdhsa_user_sgpr_queue_ptr 0
		.amdhsa_user_sgpr_kernarg_segment_ptr 1
		.amdhsa_user_sgpr_dispatch_id 0
		.amdhsa_user_sgpr_kernarg_preload_length 0
		.amdhsa_user_sgpr_kernarg_preload_offset 0
		.amdhsa_user_sgpr_private_segment_size 0
		.amdhsa_wavefront_size32 1
		.amdhsa_uses_dynamic_stack 0
		.amdhsa_enable_private_segment 0
		.amdhsa_system_sgpr_workgroup_id_x 1
		.amdhsa_system_sgpr_workgroup_id_y 0
		.amdhsa_system_sgpr_workgroup_id_z 0
		.amdhsa_system_sgpr_workgroup_info 0
		.amdhsa_system_vgpr_workitem_id 0
		.amdhsa_next_free_vgpr 122
		.amdhsa_next_free_sgpr 12
		.amdhsa_named_barrier_count 0
		.amdhsa_reserve_vcc 1
		.amdhsa_float_round_mode_32 0
		.amdhsa_float_round_mode_16_64 0
		.amdhsa_float_denorm_mode_32 3
		.amdhsa_float_denorm_mode_16_64 3
		.amdhsa_fp16_overflow 0
		.amdhsa_memory_ordered 1
		.amdhsa_forward_progress 1
		.amdhsa_inst_pref_size 37
		.amdhsa_round_robin_scheduling 0
		.amdhsa_exception_fp_ieee_invalid_op 0
		.amdhsa_exception_fp_denorm_src 0
		.amdhsa_exception_fp_ieee_div_zero 0
		.amdhsa_exception_fp_ieee_overflow 0
		.amdhsa_exception_fp_ieee_underflow 0
		.amdhsa_exception_fp_ieee_inexact 0
		.amdhsa_exception_int_div_zero 0
	.end_amdhsa_kernel
	.section	.text._ZN9rocsparseL18bsrxmvn_4x4_kernelILj128ELj32EdllfddEEvT3_20rocsparse_direction_NS_24const_host_device_scalarIT1_EES1_PKS1_PKT2_SA_S7_PKT4_PKT5_S5_PT6_21rocsparse_index_base_b,"axG",@progbits,_ZN9rocsparseL18bsrxmvn_4x4_kernelILj128ELj32EdllfddEEvT3_20rocsparse_direction_NS_24const_host_device_scalarIT1_EES1_PKS1_PKT2_SA_S7_PKT4_PKT5_S5_PT6_21rocsparse_index_base_b,comdat
.Lfunc_end163:
	.size	_ZN9rocsparseL18bsrxmvn_4x4_kernelILj128ELj32EdllfddEEvT3_20rocsparse_direction_NS_24const_host_device_scalarIT1_EES1_PKS1_PKT2_SA_S7_PKT4_PKT5_S5_PT6_21rocsparse_index_base_b, .Lfunc_end163-_ZN9rocsparseL18bsrxmvn_4x4_kernelILj128ELj32EdllfddEEvT3_20rocsparse_direction_NS_24const_host_device_scalarIT1_EES1_PKS1_PKT2_SA_S7_PKT4_PKT5_S5_PT6_21rocsparse_index_base_b
                                        ; -- End function
	.set _ZN9rocsparseL18bsrxmvn_4x4_kernelILj128ELj32EdllfddEEvT3_20rocsparse_direction_NS_24const_host_device_scalarIT1_EES1_PKS1_PKT2_SA_S7_PKT4_PKT5_S5_PT6_21rocsparse_index_base_b.num_vgpr, 122
	.set _ZN9rocsparseL18bsrxmvn_4x4_kernelILj128ELj32EdllfddEEvT3_20rocsparse_direction_NS_24const_host_device_scalarIT1_EES1_PKS1_PKT2_SA_S7_PKT4_PKT5_S5_PT6_21rocsparse_index_base_b.num_agpr, 0
	.set _ZN9rocsparseL18bsrxmvn_4x4_kernelILj128ELj32EdllfddEEvT3_20rocsparse_direction_NS_24const_host_device_scalarIT1_EES1_PKS1_PKT2_SA_S7_PKT4_PKT5_S5_PT6_21rocsparse_index_base_b.numbered_sgpr, 12
	.set _ZN9rocsparseL18bsrxmvn_4x4_kernelILj128ELj32EdllfddEEvT3_20rocsparse_direction_NS_24const_host_device_scalarIT1_EES1_PKS1_PKT2_SA_S7_PKT4_PKT5_S5_PT6_21rocsparse_index_base_b.num_named_barrier, 0
	.set _ZN9rocsparseL18bsrxmvn_4x4_kernelILj128ELj32EdllfddEEvT3_20rocsparse_direction_NS_24const_host_device_scalarIT1_EES1_PKS1_PKT2_SA_S7_PKT4_PKT5_S5_PT6_21rocsparse_index_base_b.private_seg_size, 0
	.set _ZN9rocsparseL18bsrxmvn_4x4_kernelILj128ELj32EdllfddEEvT3_20rocsparse_direction_NS_24const_host_device_scalarIT1_EES1_PKS1_PKT2_SA_S7_PKT4_PKT5_S5_PT6_21rocsparse_index_base_b.uses_vcc, 1
	.set _ZN9rocsparseL18bsrxmvn_4x4_kernelILj128ELj32EdllfddEEvT3_20rocsparse_direction_NS_24const_host_device_scalarIT1_EES1_PKS1_PKT2_SA_S7_PKT4_PKT5_S5_PT6_21rocsparse_index_base_b.uses_flat_scratch, 0
	.set _ZN9rocsparseL18bsrxmvn_4x4_kernelILj128ELj32EdllfddEEvT3_20rocsparse_direction_NS_24const_host_device_scalarIT1_EES1_PKS1_PKT2_SA_S7_PKT4_PKT5_S5_PT6_21rocsparse_index_base_b.has_dyn_sized_stack, 0
	.set _ZN9rocsparseL18bsrxmvn_4x4_kernelILj128ELj32EdllfddEEvT3_20rocsparse_direction_NS_24const_host_device_scalarIT1_EES1_PKS1_PKT2_SA_S7_PKT4_PKT5_S5_PT6_21rocsparse_index_base_b.has_recursion, 0
	.set _ZN9rocsparseL18bsrxmvn_4x4_kernelILj128ELj32EdllfddEEvT3_20rocsparse_direction_NS_24const_host_device_scalarIT1_EES1_PKS1_PKT2_SA_S7_PKT4_PKT5_S5_PT6_21rocsparse_index_base_b.has_indirect_call, 0
	.section	.AMDGPU.csdata,"",@progbits
; Kernel info:
; codeLenInByte = 4712
; TotalNumSgprs: 14
; NumVgprs: 122
; ScratchSize: 0
; MemoryBound: 0
; FloatMode: 240
; IeeeMode: 1
; LDSByteSize: 0 bytes/workgroup (compile time only)
; SGPRBlocks: 0
; VGPRBlocks: 7
; NumSGPRsForWavesPerEU: 14
; NumVGPRsForWavesPerEU: 122
; NamedBarCnt: 0
; Occupancy: 8
; WaveLimiterHint : 1
; COMPUTE_PGM_RSRC2:SCRATCH_EN: 0
; COMPUTE_PGM_RSRC2:USER_SGPR: 2
; COMPUTE_PGM_RSRC2:TRAP_HANDLER: 0
; COMPUTE_PGM_RSRC2:TGID_X_EN: 1
; COMPUTE_PGM_RSRC2:TGID_Y_EN: 0
; COMPUTE_PGM_RSRC2:TGID_Z_EN: 0
; COMPUTE_PGM_RSRC2:TIDIG_COMP_CNT: 0
	.section	.text._ZN9rocsparseL18bsrxmvn_4x4_kernelILj128ELj64EdllfddEEvT3_20rocsparse_direction_NS_24const_host_device_scalarIT1_EES1_PKS1_PKT2_SA_S7_PKT4_PKT5_S5_PT6_21rocsparse_index_base_b,"axG",@progbits,_ZN9rocsparseL18bsrxmvn_4x4_kernelILj128ELj64EdllfddEEvT3_20rocsparse_direction_NS_24const_host_device_scalarIT1_EES1_PKS1_PKT2_SA_S7_PKT4_PKT5_S5_PT6_21rocsparse_index_base_b,comdat
	.globl	_ZN9rocsparseL18bsrxmvn_4x4_kernelILj128ELj64EdllfddEEvT3_20rocsparse_direction_NS_24const_host_device_scalarIT1_EES1_PKS1_PKT2_SA_S7_PKT4_PKT5_S5_PT6_21rocsparse_index_base_b ; -- Begin function _ZN9rocsparseL18bsrxmvn_4x4_kernelILj128ELj64EdllfddEEvT3_20rocsparse_direction_NS_24const_host_device_scalarIT1_EES1_PKS1_PKT2_SA_S7_PKT4_PKT5_S5_PT6_21rocsparse_index_base_b
	.p2align	8
	.type	_ZN9rocsparseL18bsrxmvn_4x4_kernelILj128ELj64EdllfddEEvT3_20rocsparse_direction_NS_24const_host_device_scalarIT1_EES1_PKS1_PKT2_SA_S7_PKT4_PKT5_S5_PT6_21rocsparse_index_base_b,@function
_ZN9rocsparseL18bsrxmvn_4x4_kernelILj128ELj64EdllfddEEvT3_20rocsparse_direction_NS_24const_host_device_scalarIT1_EES1_PKS1_PKT2_SA_S7_PKT4_PKT5_S5_PT6_21rocsparse_index_base_b: ; @_ZN9rocsparseL18bsrxmvn_4x4_kernelILj128ELj64EdllfddEEvT3_20rocsparse_direction_NS_24const_host_device_scalarIT1_EES1_PKS1_PKT2_SA_S7_PKT4_PKT5_S5_PT6_21rocsparse_index_base_b
; %bb.0:
	s_clause 0x2
	s_load_b64 s[8:9], s[0:1], 0x60
	s_load_b128 s[4:7], s[0:1], 0x10
	s_load_b64 s[2:3], s[0:1], 0x50
	s_wait_kmcnt 0x0
	s_bitcmp1_b32 s9, 0
	v_mov_b64_e32 v[2:3], s[4:5]
	s_cselect_b32 s9, -1, 0
	s_delay_alu instid0(SALU_CYCLE_1)
	s_and_b32 vcc_lo, exec_lo, s9
	s_xor_b32 s9, s9, -1
	s_cbranch_vccnz .LBB164_2
; %bb.1:
	v_mov_b32_e32 v1, 0
	flat_load_b64 v[2:3], v1, s[4:5]
.LBB164_2:
	v_mov_b64_e32 v[8:9], s[2:3]
	s_and_not1_b32 vcc_lo, exec_lo, s9
	s_cbranch_vccnz .LBB164_4
; %bb.3:
	s_wait_xcnt 0x0
	v_mov_b32_e32 v1, 0
	flat_load_b64 v[8:9], v1, s[2:3]
.LBB164_4:
	s_wait_loadcnt_dscnt 0x0
	v_cmp_neq_f64_e32 vcc_lo, 0, v[2:3]
	s_delay_alu instid0(VALU_DEP_2) | instskip(SKIP_1) | instid1(SALU_CYCLE_1)
	v_cmp_neq_f64_e64 s2, 1.0, v[8:9]
	s_or_b32 s2, vcc_lo, s2
	s_and_saveexec_b32 s3, s2
	s_cbranch_execz .LBB164_10
; %bb.5:
	s_load_b64 s[2:3], s[0:1], 0x20
	s_bfe_u32 s4, ttmp6, 0x4000c
	s_and_b32 s5, ttmp6, 15
	s_add_co_i32 s4, s4, 1
	s_getreg_b32 s9, hwreg(HW_REG_IB_STS2, 6, 4)
	s_mul_i32 s4, ttmp9, s4
	v_dual_lshrrev_b32 v1, 6, v0 :: v_dual_mov_b32 v7, 0
	s_add_co_i32 s5, s5, s4
	s_cmp_eq_u32 s9, 0
	s_cselect_b32 s4, ttmp9, s5
	s_delay_alu instid0(VALU_DEP_1) | instid1(SALU_CYCLE_1)
	v_lshl_or_b32 v6, s4, 1, v1
	s_mov_b32 s4, 0
	s_wait_kmcnt 0x0
	s_cmp_lg_u64 s[2:3], 0
	s_cbranch_scc0 .LBB164_11
; %bb.6:
	v_cmp_gt_i64_e32 vcc_lo, s[6:7], v[6:7]
	s_mov_b32 s5, 0
                                        ; implicit-def: $vgpr10_vgpr11
                                        ; implicit-def: $vgpr4_vgpr5
	s_and_saveexec_b32 s6, vcc_lo
	s_delay_alu instid0(SALU_CYCLE_1)
	s_xor_b32 s6, exec_lo, s6
	s_cbranch_execz .LBB164_8
; %bb.7:
	v_lshl_add_u64 v[4:5], v[6:7], 3, s[2:3]
	s_mov_b32 s9, 0
	s_mov_b32 s4, exec_lo
	global_load_b64 v[4:5], v[4:5], off
	s_wait_loadcnt 0x0
	v_sub_nc_u64_e64 v[10:11], v[4:5], s[8:9]
	v_mov_b64_e32 v[4:5], s[8:9]
.LBB164_8:
	s_or_b32 exec_lo, exec_lo, s6
	s_delay_alu instid0(SALU_CYCLE_1)
	s_and_b32 vcc_lo, exec_lo, s5
	s_cbranch_vccnz .LBB164_12
.LBB164_9:
	s_and_b32 exec_lo, exec_lo, s4
	s_cbranch_execnz .LBB164_15
.LBB164_10:
	s_sendmsg sendmsg(MSG_DEALLOC_VGPRS)
	s_endpgm
.LBB164_11:
                                        ; implicit-def: $vgpr10_vgpr11
                                        ; implicit-def: $vgpr4_vgpr5
	s_cbranch_execz .LBB164_9
.LBB164_12:
	s_load_b64 s[2:3], s[0:1], 0x0
	s_wait_kmcnt 0x0
	v_cmp_gt_i64_e32 vcc_lo, s[2:3], v[6:7]
	s_and_saveexec_b32 s2, vcc_lo
; %bb.13:
	s_mov_b32 s9, 0
	s_or_b32 s4, s4, exec_lo
; %bb.14:
	s_or_b32 exec_lo, exec_lo, s2
	v_mov_b64_e32 v[4:5], s[8:9]
	v_mov_b64_e32 v[10:11], v[6:7]
	s_and_b32 exec_lo, exec_lo, s4
	s_cbranch_execz .LBB164_10
.LBB164_15:
	s_load_b256 s[4:11], s[0:1], 0x28
	s_delay_alu instid0(VALU_DEP_1) | instskip(SKIP_3) | instid1(VALU_DEP_2)
	v_lshlrev_b64_e32 v[6:7], 3, v[10:11]
	v_dual_mov_b32 v1, 0 :: v_dual_bitop2_b32 v0, 63, v0 bitop3:0x40
	s_load_b32 s3, s[0:1], 0x8
	s_wait_kmcnt 0x0
	v_add_nc_u64_e32 v[12:13], s[4:5], v[6:7]
	v_add_nc_u64_e32 v[6:7], s[6:7], v[6:7]
	s_cmp_eq_u64 s[6:7], 0
	s_load_b64 s[4:5], s[0:1], 0x48
	s_cselect_b32 vcc_lo, -1, 0
	s_cmp_eq_u32 s3, 1
	global_load_b64 v[24:25], v[12:13], off
	s_wait_xcnt 0x0
	v_add_nc_u64_e32 v[12:13], 8, v[12:13]
	s_delay_alu instid0(VALU_DEP_1) | instskip(SKIP_3) | instid1(VALU_DEP_1)
	v_dual_cndmask_b32 v7, v7, v13 :: v_dual_cndmask_b32 v6, v6, v12
	global_load_b64 v[6:7], v[6:7], off
	s_wait_loadcnt 0x1
	v_sub_nc_u64_e32 v[12:13], v[24:25], v[4:5]
	v_add_nc_u64_e32 v[18:19], v[12:13], v[0:1]
	s_wait_loadcnt 0x0
	v_sub_nc_u64_e32 v[20:21], v[6:7], v[4:5]
	s_delay_alu instid0(VALU_DEP_2) | instskip(NEXT) | instid1(VALU_DEP_2)
	v_lshlrev_b64_e32 v[12:13], 6, v[18:19]
	v_cmp_lt_i64_e64 s2, v[18:19], v[20:21]
	s_delay_alu instid0(VALU_DEP_2)
	v_add_nc_u64_e32 v[22:23], s[10:11], v[12:13]
	s_cbranch_scc1 .LBB164_27
; %bb.16:
	v_mov_b64_e32 v[6:7], 0
	v_mov_b64_e32 v[12:13], 0
	v_mov_b64_e32 v[16:17], 0
	v_mov_b64_e32 v[14:15], 0
	s_and_saveexec_b32 s3, s2
	s_cbranch_execz .LBB164_26
; %bb.17:
	v_dual_mov_b32 v7, v1 :: v_dual_bitop2_b32 v6, 64, v0 bitop3:0x54
	v_sub_nc_u64_e32 v[12:13], v[4:5], v[0:1]
	v_not_b32_e32 v15, v25
	v_not_b32_e32 v14, v24
	v_mov_b64_e32 v[16:17], 0
	v_sub_nc_u64_e32 v[6:7], v[6:7], v[4:5]
	v_mov_b64_e32 v[26:27], v[18:19]
	v_mov_b64_e32 v[28:29], v[22:23]
	v_add_nc_u64_e32 v[12:13], v[12:13], v[14:15]
	v_mov_b64_e32 v[14:15], 0
	v_mov_b32_e32 v35, 0
	s_mov_b32 s6, exec_lo
	v_add_nc_u64_e32 v[6:7], v[6:7], v[24:25]
	s_delay_alu instid0(VALU_DEP_1) | instskip(NEXT) | instid1(VALU_DEP_1)
	v_max_i64 v[6:7], v[6:7], v[20:21]
	v_add_nc_u64_e32 v[30:31], v[12:13], v[6:7]
	v_mov_b64_e32 v[12:13], 0
	v_mov_b64_e32 v[6:7], 0
	s_delay_alu instid0(VALU_DEP_3) | instskip(NEXT) | instid1(VALU_DEP_1)
	v_and_b32_e32 v34, 0xc0, v30
	v_cmpx_ne_u64_e32 0xc0, v[34:35]
	s_cbranch_execz .LBB164_21
; %bb.18:
	v_lshrrev_b32_e32 v6, 6, v30
	v_mov_b64_e32 v[12:13], 0
	v_mov_b64_e32 v[16:17], 0
	;; [unrolled: 1-line block ×4, first 2 shown]
	v_add_nc_u32_e32 v6, 1, v6
	v_mov_b64_e32 v[26:27], v[18:19]
	v_lshl_add_u64 v[32:33], v[18:19], 3, s[8:9]
	s_mov_b32 s7, 0
	s_delay_alu instid0(VALU_DEP_3) | instskip(SKIP_1) | instid1(VALU_DEP_2)
	v_and_b32_e32 v34, 3, v6
	v_mov_b64_e32 v[6:7], 0
	v_sub_nc_u64_e32 v[34:35], 0, v[34:35]
.LBB164_19:                             ; =>This Inner Loop Header: Depth=1
	global_load_b64 v[52:53], v[32:33], off
	s_clause 0x3
	global_load_b128 v[36:39], v[28:29], off
	global_load_b128 v[40:43], v[28:29], off offset:16
	global_load_b128 v[44:47], v[28:29], off offset:32
	;; [unrolled: 1-line block ×3, first 2 shown]
	v_add_nc_u64_e32 v[34:35], 1, v[34:35]
	s_wait_xcnt 0x0
	v_add_nc_u64_e32 v[28:29], 0x1000, v[28:29]
	v_add_nc_u64_e32 v[26:27], 64, v[26:27]
	;; [unrolled: 1-line block ×3, first 2 shown]
	s_delay_alu instid0(VALU_DEP_4)
	v_cmp_eq_u64_e32 vcc_lo, 0, v[34:35]
	s_or_b32 s7, vcc_lo, s7
	s_wait_loadcnt 0x4
	v_sub_nc_u64_e32 v[52:53], v[52:53], v[4:5]
	s_wait_loadcnt 0x2
	v_cvt_f64_f32_e32 v[62:63], v40
	s_wait_loadcnt 0x1
	v_cvt_f64_f32_e32 v[64:65], v44
	;; [unrolled: 2-line block ×3, first 2 shown]
	v_cvt_f64_f32_e32 v[40:41], v41
	v_cvt_f64_f32_e32 v[44:45], v45
	v_lshlrev_b64_e32 v[52:53], 5, v[52:53]
	v_cvt_f64_f32_e32 v[48:49], v49
	s_wait_kmcnt 0x0
	s_delay_alu instid0(VALU_DEP_2)
	v_add_nc_u64_e32 v[60:61], s[4:5], v[52:53]
	s_clause 0x1
	global_load_b128 v[52:55], v[60:61], off
	global_load_b128 v[56:59], v[60:61], off offset:16
	s_wait_xcnt 0x0
	v_cvt_f64_f32_e32 v[60:61], v36
	v_cvt_f64_f32_e32 v[36:37], v37
	s_wait_loadcnt 0x1
	s_delay_alu instid0(VALU_DEP_2)
	v_fmac_f64_e32 v[14:15], v[60:61], v[52:53]
	v_fmac_f64_e32 v[16:17], v[62:63], v[52:53]
	;; [unrolled: 1-line block ×4, first 2 shown]
	v_cvt_f64_f32_e32 v[52:53], v38
	v_cvt_f64_f32_e32 v[60:61], v42
	;; [unrolled: 1-line block ×4, first 2 shown]
	v_fmac_f64_e32 v[14:15], v[36:37], v[54:55]
	v_fmac_f64_e32 v[16:17], v[40:41], v[54:55]
	;; [unrolled: 1-line block ×4, first 2 shown]
	v_cvt_f64_f32_e32 v[36:37], v39
	v_cvt_f64_f32_e32 v[38:39], v43
	v_cvt_f64_f32_e32 v[40:41], v47
	v_cvt_f64_f32_e32 v[42:43], v51
	s_wait_loadcnt 0x0
	v_fmac_f64_e32 v[14:15], v[52:53], v[56:57]
	v_fmac_f64_e32 v[16:17], v[60:61], v[56:57]
	;; [unrolled: 1-line block ×4, first 2 shown]
	s_delay_alu instid0(VALU_DEP_4) | instskip(NEXT) | instid1(VALU_DEP_4)
	v_fmac_f64_e32 v[14:15], v[36:37], v[58:59]
	v_fmac_f64_e32 v[16:17], v[38:39], v[58:59]
	s_delay_alu instid0(VALU_DEP_4) | instskip(NEXT) | instid1(VALU_DEP_4)
	v_fmac_f64_e32 v[12:13], v[40:41], v[58:59]
	v_fmac_f64_e32 v[6:7], v[42:43], v[58:59]
	s_and_not1_b32 exec_lo, exec_lo, s7
	s_cbranch_execnz .LBB164_19
; %bb.20:
	s_or_b32 exec_lo, exec_lo, s7
.LBB164_21:
	s_delay_alu instid0(SALU_CYCLE_1) | instskip(NEXT) | instid1(SALU_CYCLE_1)
	s_or_b32 exec_lo, exec_lo, s6
	s_mov_b32 s6, exec_lo
	v_cmpx_lt_u64_e32 0xbf, v[30:31]
	s_cbranch_execz .LBB164_25
; %bb.22:
	v_lshl_add_u64 v[30:31], v[26:27], 3, s[8:9]
	s_mov_b32 s7, 0
	s_delay_alu instid0(VALU_DEP_1)
	v_add_nc_u64_e32 v[30:31], 0x400, v[30:31]
.LBB164_23:                             ; =>This Inner Loop Header: Depth=1
	s_clause 0x2
	global_load_b64 v[48:49], v[30:31], off offset:-1024
	global_load_b64 v[72:73], v[30:31], off offset:-512
	global_load_b64 v[96:97], v[30:31], off
	s_clause 0x3
	global_load_b128 v[32:35], v[28:29], off
	global_load_b128 v[36:39], v[28:29], off offset:16
	global_load_b128 v[40:43], v[28:29], off offset:32
	;; [unrolled: 1-line block ×3, first 2 shown]
	global_load_b64 v[116:117], v[30:31], off offset:512
	v_add_nc_u64_e32 v[26:27], 0x100, v[26:27]
	s_wait_xcnt 0x0
	v_add_nc_u64_e32 v[30:31], 0x800, v[30:31]
	s_delay_alu instid0(VALU_DEP_2)
	v_cmp_ge_i64_e32 vcc_lo, v[26:27], v[20:21]
	s_or_b32 s7, vcc_lo, s7
	s_wait_loadcnt 0x7
	v_sub_nc_u64_e32 v[48:49], v[48:49], v[4:5]
	s_wait_loadcnt 0x6
	v_sub_nc_u64_e32 v[72:73], v[72:73], v[4:5]
	;; [unrolled: 2-line block ×3, first 2 shown]
	s_wait_loadcnt 0x4
	v_cvt_f64_f32_e32 v[104:105], v32
	s_wait_loadcnt 0x3
	v_cvt_f64_f32_e32 v[106:107], v36
	;; [unrolled: 2-line block ×4, first 2 shown]
	v_lshlrev_b64_e32 v[48:49], 5, v[48:49]
	v_lshlrev_b64_e32 v[72:73], 5, v[72:73]
	;; [unrolled: 1-line block ×3, first 2 shown]
	v_cvt_f64_f32_e32 v[32:33], v33
	v_cvt_f64_f32_e32 v[36:37], v37
	;; [unrolled: 1-line block ×4, first 2 shown]
	s_wait_kmcnt 0x0
	v_add_nc_u64_e32 v[74:75], s[4:5], v[48:49]
	v_add_nc_u64_e32 v[98:99], s[4:5], v[72:73]
	;; [unrolled: 1-line block ×3, first 2 shown]
	v_cvt_f64_f32_e32 v[118:119], v42
	v_cvt_f64_f32_e32 v[120:121], v46
	;; [unrolled: 1-line block ×4, first 2 shown]
	s_clause 0x1
	global_load_b128 v[48:51], v[74:75], off
	global_load_b128 v[52:55], v[74:75], off offset:16
	s_clause 0x3
	global_load_b128 v[56:59], v[28:29], off offset:4096
	global_load_b128 v[60:63], v[28:29], off offset:4112
	;; [unrolled: 1-line block ×4, first 2 shown]
	s_clause 0x1
	global_load_b128 v[72:75], v[98:99], off
	global_load_b128 v[76:79], v[98:99], off offset:16
	s_clause 0x3
	global_load_b128 v[80:83], v[28:29], off offset:8192
	global_load_b128 v[84:87], v[28:29], off offset:8208
	;; [unrolled: 1-line block ×4, first 2 shown]
	s_clause 0x1
	global_load_b128 v[96:99], v[100:101], off
	global_load_b128 v[100:103], v[100:101], off offset:16
	s_wait_loadcnt 0xd
	v_fmac_f64_e32 v[14:15], v[104:105], v[48:49]
	v_fmac_f64_e32 v[16:17], v[106:107], v[48:49]
	;; [unrolled: 1-line block ×4, first 2 shown]
	s_clause 0x2
	global_load_b128 v[104:107], v[28:29], off offset:12320
	global_load_b128 v[108:111], v[28:29], off offset:12304
	;; [unrolled: 1-line block ×3, first 2 shown]
	v_fmac_f64_e32 v[14:15], v[32:33], v[50:51]
	v_fmac_f64_e32 v[16:17], v[36:37], v[50:51]
	;; [unrolled: 1-line block ×4, first 2 shown]
	global_load_b128 v[48:51], v[28:29], off offset:12336
	v_cvt_f64_f32_e32 v[36:37], v34
	v_cvt_f64_f32_e32 v[44:45], v38
	v_sub_nc_u64_e32 v[32:33], v[116:117], v[4:5]
	v_cvt_f64_f32_e32 v[40:41], v35
	v_cvt_f64_f32_e32 v[38:39], v39
	s_wait_xcnt 0x0
	v_add_nc_u64_e32 v[28:29], 0x4000, v[28:29]
	s_delay_alu instid0(VALU_DEP_4) | instskip(NEXT) | instid1(VALU_DEP_1)
	v_lshlrev_b64_e32 v[32:33], 5, v[32:33]
	v_add_nc_u64_e32 v[116:117], s[4:5], v[32:33]
	global_load_b128 v[32:35], v[116:117], off
	s_wait_loadcnt 0x11
	v_fmac_f64_e32 v[12:13], v[118:119], v[52:53]
	v_fmac_f64_e32 v[6:7], v[120:121], v[52:53]
	s_wait_loadcnt 0xe
	v_cvt_f64_f32_e32 v[118:119], v64
	v_fmac_f64_e32 v[14:15], v[36:37], v[52:53]
	v_fmac_f64_e32 v[16:17], v[44:45], v[52:53]
	v_cvt_f64_f32_e32 v[44:45], v56
	v_cvt_f64_f32_e32 v[52:53], v60
	s_wait_loadcnt 0xd
	v_cvt_f64_f32_e32 v[120:121], v68
	v_fmac_f64_e32 v[12:13], v[42:43], v[54:55]
	v_fmac_f64_e32 v[6:7], v[46:47], v[54:55]
	v_cvt_f64_f32_e32 v[42:43], v61
	v_fmac_f64_e32 v[14:15], v[40:41], v[54:55]
	v_fmac_f64_e32 v[16:17], v[38:39], v[54:55]
	v_cvt_f64_f32_e32 v[40:41], v57
	v_cvt_f64_f32_e32 v[46:47], v65
	;; [unrolled: 1-line block ×3, first 2 shown]
	global_load_b128 v[36:39], v[116:117], off offset:16
	v_cvt_f64_f32_e32 v[56:57], v66
	v_cvt_f64_f32_e32 v[60:61], v70
	s_wait_loadcnt 0xd
	v_fmac_f64_e32 v[12:13], v[118:119], v[72:73]
	v_fmac_f64_e32 v[6:7], v[120:121], v[72:73]
	;; [unrolled: 1-line block ×4, first 2 shown]
	v_cvt_f64_f32_e32 v[44:45], v58
	v_cvt_f64_f32_e32 v[52:53], v62
	v_fmac_f64_e32 v[12:13], v[46:47], v[74:75]
	v_fmac_f64_e32 v[6:7], v[54:55], v[74:75]
	v_cvt_f64_f32_e32 v[46:47], v67
	v_fmac_f64_e32 v[14:15], v[40:41], v[74:75]
	v_fmac_f64_e32 v[16:17], v[42:43], v[74:75]
	v_cvt_f64_f32_e32 v[40:41], v59
	v_cvt_f64_f32_e32 v[42:43], v63
	;; [unrolled: 1-line block ×3, first 2 shown]
	s_wait_loadcnt 0x8
	v_cvt_f64_f32_e32 v[58:59], v92
	v_fmac_f64_e32 v[12:13], v[56:57], v[76:77]
	v_fmac_f64_e32 v[6:7], v[60:61], v[76:77]
	v_cvt_f64_f32_e32 v[56:57], v88
	v_fmac_f64_e32 v[14:15], v[44:45], v[76:77]
	v_fmac_f64_e32 v[16:17], v[52:53], v[76:77]
	v_cvt_f64_f32_e32 v[44:45], v80
	v_cvt_f64_f32_e32 v[52:53], v84
	v_fmac_f64_e32 v[12:13], v[46:47], v[78:79]
	v_fmac_f64_e32 v[6:7], v[54:55], v[78:79]
	v_cvt_f64_f32_e32 v[46:47], v89
	v_fmac_f64_e32 v[14:15], v[40:41], v[78:79]
	v_fmac_f64_e32 v[16:17], v[42:43], v[78:79]
	v_cvt_f64_f32_e32 v[40:41], v81
	v_cvt_f64_f32_e32 v[42:43], v85
	;; [unrolled: 1-line block ×3, first 2 shown]
	s_wait_loadcnt 0x7
	v_fmac_f64_e32 v[12:13], v[56:57], v[96:97]
	v_fmac_f64_e32 v[6:7], v[58:59], v[96:97]
	v_cvt_f64_f32_e32 v[56:57], v90
	v_fmac_f64_e32 v[14:15], v[44:45], v[96:97]
	v_fmac_f64_e32 v[16:17], v[52:53], v[96:97]
	v_cvt_f64_f32_e32 v[44:45], v82
	v_cvt_f64_f32_e32 v[52:53], v86
	;; [unrolled: 1-line block ×3, first 2 shown]
	v_fmac_f64_e32 v[12:13], v[46:47], v[98:99]
	v_fmac_f64_e32 v[6:7], v[54:55], v[98:99]
	v_cvt_f64_f32_e32 v[46:47], v91
	v_fmac_f64_e32 v[14:15], v[40:41], v[98:99]
	v_fmac_f64_e32 v[16:17], v[42:43], v[98:99]
	v_cvt_f64_f32_e32 v[40:41], v83
	v_cvt_f64_f32_e32 v[42:43], v87
	;; [unrolled: 1-line block ×3, first 2 shown]
	s_wait_loadcnt 0x6
	v_fmac_f64_e32 v[12:13], v[56:57], v[100:101]
	v_fmac_f64_e32 v[6:7], v[58:59], v[100:101]
	s_wait_loadcnt 0x5
	v_cvt_f64_f32_e32 v[56:57], v104
	v_fmac_f64_e32 v[14:15], v[44:45], v[100:101]
	v_fmac_f64_e32 v[16:17], v[52:53], v[100:101]
	s_wait_loadcnt 0x3
	v_cvt_f64_f32_e32 v[44:45], v112
	v_cvt_f64_f32_e32 v[52:53], v108
	v_fmac_f64_e32 v[12:13], v[46:47], v[102:103]
	v_fmac_f64_e32 v[6:7], v[54:55], v[102:103]
	s_wait_loadcnt 0x2
	v_cvt_f64_f32_e32 v[58:59], v48
	v_fmac_f64_e32 v[14:15], v[40:41], v[102:103]
	v_fmac_f64_e32 v[16:17], v[42:43], v[102:103]
	v_cvt_f64_f32_e32 v[40:41], v113
	v_cvt_f64_f32_e32 v[42:43], v109
	;; [unrolled: 1-line block ×5, first 2 shown]
	s_wait_loadcnt 0x1
	v_fmac_f64_e32 v[12:13], v[56:57], v[32:33]
	v_fmac_f64_e32 v[6:7], v[58:59], v[32:33]
	;; [unrolled: 1-line block ×4, first 2 shown]
	v_cvt_f64_f32_e32 v[32:33], v114
	v_cvt_f64_f32_e32 v[44:45], v110
	;; [unrolled: 1-line block ×3, first 2 shown]
	v_fmac_f64_e32 v[12:13], v[46:47], v[34:35]
	v_cvt_f64_f32_e32 v[46:47], v51
	v_fmac_f64_e32 v[6:7], v[48:49], v[34:35]
	v_fmac_f64_e32 v[14:15], v[40:41], v[34:35]
	;; [unrolled: 1-line block ×3, first 2 shown]
	v_cvt_f64_f32_e32 v[34:35], v115
	v_cvt_f64_f32_e32 v[40:41], v111
	;; [unrolled: 1-line block ×3, first 2 shown]
	s_wait_loadcnt 0x0
	v_fmac_f64_e32 v[12:13], v[52:53], v[36:37]
	v_fmac_f64_e32 v[6:7], v[54:55], v[36:37]
	;; [unrolled: 1-line block ×4, first 2 shown]
	s_delay_alu instid0(VALU_DEP_4) | instskip(NEXT) | instid1(VALU_DEP_4)
	v_fmac_f64_e32 v[12:13], v[42:43], v[38:39]
	v_fmac_f64_e32 v[6:7], v[46:47], v[38:39]
	s_delay_alu instid0(VALU_DEP_4) | instskip(NEXT) | instid1(VALU_DEP_4)
	v_fmac_f64_e32 v[14:15], v[34:35], v[38:39]
	v_fmac_f64_e32 v[16:17], v[40:41], v[38:39]
	s_and_not1_b32 exec_lo, exec_lo, s7
	s_cbranch_execnz .LBB164_23
; %bb.24:
	s_or_b32 exec_lo, exec_lo, s7
.LBB164_25:
	s_delay_alu instid0(SALU_CYCLE_1)
	s_or_b32 exec_lo, exec_lo, s6
.LBB164_26:
	s_delay_alu instid0(SALU_CYCLE_1)
	s_or_b32 exec_lo, exec_lo, s3
	s_cbranch_execz .LBB164_28
	s_branch .LBB164_39
.LBB164_27:
                                        ; implicit-def: $vgpr6_vgpr7
                                        ; implicit-def: $vgpr12_vgpr13
                                        ; implicit-def: $vgpr16_vgpr17
                                        ; implicit-def: $vgpr14_vgpr15
.LBB164_28:
	v_mov_b64_e32 v[6:7], 0
	v_mov_b64_e32 v[12:13], 0
	;; [unrolled: 1-line block ×4, first 2 shown]
	s_and_saveexec_b32 s3, s2
	s_cbranch_execz .LBB164_38
; %bb.29:
	v_dual_mov_b32 v7, v1 :: v_dual_bitop2_b32 v6, 64, v0 bitop3:0x54
	v_sub_nc_u64_e32 v[12:13], v[4:5], v[0:1]
	v_not_b32_e32 v15, v25
	v_not_b32_e32 v14, v24
	v_mov_b64_e32 v[16:17], 0
	v_sub_nc_u64_e32 v[6:7], v[6:7], v[4:5]
	v_mov_b32_e32 v27, 0
	s_mov_b32 s2, exec_lo
	v_add_nc_u64_e32 v[12:13], v[12:13], v[14:15]
	v_mov_b64_e32 v[14:15], 0
	s_delay_alu instid0(VALU_DEP_4) | instskip(NEXT) | instid1(VALU_DEP_1)
	v_add_nc_u64_e32 v[6:7], v[6:7], v[24:25]
	v_max_i64 v[6:7], v[6:7], v[20:21]
	s_delay_alu instid0(VALU_DEP_1) | instskip(SKIP_2) | instid1(VALU_DEP_3)
	v_add_nc_u64_e32 v[24:25], v[12:13], v[6:7]
	v_mov_b64_e32 v[12:13], 0
	v_mov_b64_e32 v[6:7], 0
	v_and_b32_e32 v26, 0xc0, v24
	s_delay_alu instid0(VALU_DEP_1)
	v_cmpx_ne_u64_e32 0xc0, v[26:27]
	s_cbranch_execz .LBB164_33
; %bb.30:
	v_lshrrev_b32_e32 v1, 6, v24
	v_mov_b64_e32 v[6:7], 0
	v_mov_b64_e32 v[12:13], 0
	;; [unrolled: 1-line block ×4, first 2 shown]
	v_add_nc_u32_e32 v1, 1, v1
	v_lshl_add_u64 v[28:29], v[18:19], 3, s[8:9]
	s_mov_b32 s6, 0
	s_delay_alu instid0(VALU_DEP_2) | instskip(NEXT) | instid1(VALU_DEP_1)
	v_and_b32_e32 v26, 3, v1
	v_sub_nc_u64_e32 v[26:27], 0, v[26:27]
.LBB164_31:                             ; =>This Inner Loop Header: Depth=1
	global_load_b64 v[38:39], v[28:29], off
	s_clause 0x1
	global_load_b128 v[30:33], v[22:23], off
	global_load_b128 v[34:37], v[22:23], off offset:16
	v_add_nc_u64_e32 v[26:27], 1, v[26:27]
	v_add_nc_u64_e32 v[18:19], 64, v[18:19]
	s_wait_xcnt 0x2
	v_add_nc_u64_e32 v[28:29], 0x200, v[28:29]
	s_delay_alu instid0(VALU_DEP_3)
	v_cmp_eq_u64_e32 vcc_lo, 0, v[26:27]
	s_or_b32 s6, vcc_lo, s6
	s_wait_loadcnt 0x2
	v_sub_nc_u64_e32 v[38:39], v[38:39], v[4:5]
	s_wait_loadcnt 0x1
	v_cvt_f64_f32_e32 v[56:57], v32
	v_cvt_f64_f32_e32 v[32:33], v33
	s_wait_loadcnt 0x0
	v_cvt_f64_f32_e32 v[58:59], v34
	v_cvt_f64_f32_e32 v[34:35], v35
	;; [unrolled: 1-line block ×4, first 2 shown]
	v_lshlrev_b64_e32 v[38:39], 5, v[38:39]
	s_wait_kmcnt 0x0
	s_delay_alu instid0(VALU_DEP_1)
	v_add_nc_u64_e32 v[54:55], s[4:5], v[38:39]
	s_clause 0x1
	global_load_b128 v[38:41], v[54:55], off
	global_load_b128 v[42:45], v[54:55], off offset:16
	s_clause 0x1
	global_load_b128 v[46:49], v[22:23], off offset:32
	global_load_b128 v[50:53], v[22:23], off offset:48
	s_wait_xcnt 0x2
	v_cvt_f64_f32_e32 v[54:55], v30
	v_cvt_f64_f32_e32 v[30:31], v31
	s_wait_xcnt 0x0
	v_add_nc_u64_e32 v[22:23], 0x1000, v[22:23]
	s_wait_loadcnt 0x3
	s_delay_alu instid0(VALU_DEP_3) | instskip(NEXT) | instid1(VALU_DEP_3)
	v_fmac_f64_e32 v[14:15], v[54:55], v[38:39]
	v_fmac_f64_e32 v[16:17], v[30:31], v[38:39]
	;; [unrolled: 1-line block ×4, first 2 shown]
	s_wait_loadcnt 0x1
	v_cvt_f64_f32_e32 v[30:31], v46
	v_cvt_f64_f32_e32 v[32:33], v47
	;; [unrolled: 1-line block ×4, first 2 shown]
	s_wait_loadcnt 0x0
	v_cvt_f64_f32_e32 v[48:49], v53
	v_fmac_f64_e32 v[14:15], v[58:59], v[40:41]
	v_fmac_f64_e32 v[16:17], v[34:35], v[40:41]
	;; [unrolled: 1-line block ×4, first 2 shown]
	v_cvt_f64_f32_e32 v[34:35], v50
	v_cvt_f64_f32_e32 v[36:37], v51
	;; [unrolled: 1-line block ×3, first 2 shown]
	v_fmac_f64_e32 v[14:15], v[30:31], v[42:43]
	v_fmac_f64_e32 v[16:17], v[32:33], v[42:43]
	;; [unrolled: 1-line block ×4, first 2 shown]
	s_delay_alu instid0(VALU_DEP_4) | instskip(NEXT) | instid1(VALU_DEP_4)
	v_fmac_f64_e32 v[14:15], v[34:35], v[44:45]
	v_fmac_f64_e32 v[16:17], v[36:37], v[44:45]
	s_delay_alu instid0(VALU_DEP_4) | instskip(NEXT) | instid1(VALU_DEP_4)
	v_fmac_f64_e32 v[12:13], v[40:41], v[44:45]
	v_fmac_f64_e32 v[6:7], v[48:49], v[44:45]
	s_and_not1_b32 exec_lo, exec_lo, s6
	s_cbranch_execnz .LBB164_31
; %bb.32:
	s_or_b32 exec_lo, exec_lo, s6
.LBB164_33:
	s_delay_alu instid0(SALU_CYCLE_1) | instskip(NEXT) | instid1(SALU_CYCLE_1)
	s_or_b32 exec_lo, exec_lo, s2
	s_mov_b32 s2, exec_lo
	v_cmpx_lt_u64_e32 0xbf, v[24:25]
	s_cbranch_execz .LBB164_37
; %bb.34:
	v_lshl_add_u64 v[24:25], v[18:19], 3, s[8:9]
	s_mov_b32 s6, 0
	s_delay_alu instid0(VALU_DEP_1)
	v_add_nc_u64_e32 v[24:25], 0x400, v[24:25]
.LBB164_35:                             ; =>This Inner Loop Header: Depth=1
	s_clause 0x2
	global_load_b64 v[30:31], v[24:25], off offset:-1024
	global_load_b64 v[54:55], v[24:25], off offset:-512
	global_load_b64 v[78:79], v[24:25], off
	global_load_b128 v[26:29], v[22:23], off
	global_load_b64 v[94:95], v[24:25], off offset:512
	v_add_nc_u64_e32 v[18:19], 0x100, v[18:19]
	s_wait_xcnt 0x0
	v_add_nc_u64_e32 v[24:25], 0x800, v[24:25]
	s_delay_alu instid0(VALU_DEP_2)
	v_cmp_ge_i64_e32 vcc_lo, v[18:19], v[20:21]
	s_or_b32 s6, vcc_lo, s6
	s_wait_loadcnt 0x4
	v_sub_nc_u64_e32 v[30:31], v[30:31], v[4:5]
	s_wait_loadcnt 0x3
	v_sub_nc_u64_e32 v[54:55], v[54:55], v[4:5]
	;; [unrolled: 2-line block ×3, first 2 shown]
	s_wait_loadcnt 0x1
	v_cvt_f64_f32_e32 v[96:97], v27
	v_cvt_f64_f32_e32 v[92:93], v26
	;; [unrolled: 1-line block ×4, first 2 shown]
	v_lshlrev_b64_e32 v[30:31], 5, v[30:31]
	v_lshlrev_b64_e32 v[54:55], 5, v[54:55]
	;; [unrolled: 1-line block ×3, first 2 shown]
	s_wait_kmcnt 0x0
	s_delay_alu instid0(VALU_DEP_3) | instskip(NEXT) | instid1(VALU_DEP_3)
	v_add_nc_u64_e32 v[56:57], s[4:5], v[30:31]
	v_add_nc_u64_e32 v[80:81], s[4:5], v[54:55]
	s_delay_alu instid0(VALU_DEP_3)
	v_add_nc_u64_e32 v[90:91], s[4:5], v[78:79]
	global_load_b128 v[30:33], v[22:23], off offset:16
	global_load_b128 v[34:37], v[56:57], off
	s_clause 0x1
	global_load_b128 v[38:41], v[22:23], off offset:32
	global_load_b128 v[42:45], v[22:23], off offset:48
	;; [unrolled: 1-line block ×3, first 2 shown]
	s_clause 0x1
	global_load_b128 v[50:53], v[22:23], off offset:4096
	global_load_b128 v[54:57], v[22:23], off offset:4112
	global_load_b128 v[58:61], v[80:81], off
	s_clause 0x1
	global_load_b128 v[62:65], v[22:23], off offset:4128
	global_load_b128 v[66:69], v[22:23], off offset:4144
	global_load_b128 v[70:73], v[80:81], off offset:16
	s_clause 0x1
	global_load_b128 v[74:77], v[22:23], off offset:8192
	global_load_b128 v[78:81], v[22:23], off offset:8208
	global_load_b128 v[82:85], v[90:91], off
	s_clause 0x1
	global_load_b128 v[86:89], v[22:23], off offset:8224
	global_load_b128 v[26:29], v[22:23], off offset:8240
	s_wait_loadcnt 0xf
	v_cvt_f64_f32_e32 v[104:105], v31
	s_wait_loadcnt 0xe
	v_fmac_f64_e32 v[16:17], v[96:97], v[34:35]
	v_cvt_f64_f32_e32 v[102:103], v30
	v_cvt_f64_f32_e32 v[106:107], v32
	v_cvt_f64_f32_e32 v[108:109], v33
	global_load_b128 v[30:33], v[90:91], off offset:16
	v_fmac_f64_e32 v[14:15], v[92:93], v[34:35]
	v_fmac_f64_e32 v[12:13], v[98:99], v[34:35]
	;; [unrolled: 1-line block ×3, first 2 shown]
	s_wait_loadcnt 0xe
	v_cvt_f64_f32_e32 v[96:97], v38
	v_cvt_f64_f32_e32 v[98:99], v39
	v_sub_nc_u64_e32 v[38:39], v[94:95], v[4:5]
	v_cvt_f64_f32_e32 v[100:101], v40
	v_cvt_f64_f32_e32 v[110:111], v41
	s_wait_loadcnt 0xd
	v_cvt_f64_f32_e32 v[94:95], v42
	s_delay_alu instid0(VALU_DEP_4) | instskip(SKIP_1) | instid1(VALU_DEP_2)
	v_lshlrev_b64_e32 v[38:39], 5, v[38:39]
	v_fmac_f64_e32 v[16:17], v[104:105], v[36:37]
	v_add_nc_u64_e32 v[104:105], s[4:5], v[38:39]
	v_fmac_f64_e32 v[14:15], v[102:103], v[36:37]
	v_fmac_f64_e32 v[12:13], v[106:107], v[36:37]
	;; [unrolled: 1-line block ×3, first 2 shown]
	global_load_b128 v[38:41], v[104:105], off
	s_clause 0x1
	global_load_b128 v[90:93], v[22:23], off offset:12288
	global_load_b128 v[34:37], v[22:23], off offset:12304
	v_cvt_f64_f32_e32 v[102:103], v43
	v_cvt_f64_f32_e32 v[106:107], v44
	;; [unrolled: 1-line block ×3, first 2 shown]
	global_load_b128 v[42:45], v[22:23], off offset:12320
	s_wait_loadcnt 0x10
	v_fmac_f64_e32 v[16:17], v[98:99], v[46:47]
	s_wait_loadcnt 0xf
	v_cvt_f64_f32_e32 v[98:99], v51
	v_fmac_f64_e32 v[14:15], v[96:97], v[46:47]
	v_fmac_f64_e32 v[12:13], v[100:101], v[46:47]
	;; [unrolled: 1-line block ×3, first 2 shown]
	v_cvt_f64_f32_e32 v[96:97], v50
	v_cvt_f64_f32_e32 v[100:101], v52
	;; [unrolled: 1-line block ×3, first 2 shown]
	global_load_b128 v[50:53], v[104:105], off offset:16
	v_fmac_f64_e32 v[16:17], v[102:103], v[48:49]
	s_wait_loadcnt 0xf
	v_cvt_f64_f32_e32 v[102:103], v56
	v_cvt_f64_f32_e32 v[56:57], v57
	v_fmac_f64_e32 v[14:15], v[94:95], v[48:49]
	v_fmac_f64_e32 v[12:13], v[106:107], v[48:49]
	;; [unrolled: 1-line block ×3, first 2 shown]
	global_load_b128 v[46:49], v[22:23], off offset:12336
	v_cvt_f64_f32_e32 v[94:95], v54
	v_cvt_f64_f32_e32 v[54:55], v55
	s_wait_xcnt 0x0
	v_add_nc_u64_e32 v[22:23], 0x4000, v[22:23]
	s_wait_loadcnt 0xf
	v_fmac_f64_e32 v[16:17], v[98:99], v[58:59]
	v_fmac_f64_e32 v[14:15], v[96:97], v[58:59]
	;; [unrolled: 1-line block ×4, first 2 shown]
	s_wait_loadcnt 0xe
	v_cvt_f64_f32_e32 v[58:59], v62
	v_cvt_f64_f32_e32 v[62:63], v63
	;; [unrolled: 1-line block ×4, first 2 shown]
	v_fmac_f64_e32 v[16:17], v[54:55], v[60:61]
	s_wait_loadcnt 0xd
	v_cvt_f64_f32_e32 v[54:55], v66
	v_fmac_f64_e32 v[14:15], v[94:95], v[60:61]
	v_fmac_f64_e32 v[12:13], v[102:103], v[60:61]
	;; [unrolled: 1-line block ×3, first 2 shown]
	v_cvt_f64_f32_e32 v[56:57], v67
	v_cvt_f64_f32_e32 v[60:61], v68
	;; [unrolled: 1-line block ×3, first 2 shown]
	s_wait_loadcnt 0xb
	v_cvt_f64_f32_e32 v[68:69], v77
	v_fmac_f64_e32 v[16:17], v[62:63], v[70:71]
	v_cvt_f64_f32_e32 v[62:63], v75
	v_fmac_f64_e32 v[14:15], v[58:59], v[70:71]
	v_fmac_f64_e32 v[12:13], v[96:97], v[70:71]
	;; [unrolled: 1-line block ×3, first 2 shown]
	v_cvt_f64_f32_e32 v[58:59], v74
	v_cvt_f64_f32_e32 v[64:65], v76
	v_fmac_f64_e32 v[16:17], v[56:57], v[72:73]
	s_wait_loadcnt 0xa
	v_cvt_f64_f32_e32 v[56:57], v79
	v_fmac_f64_e32 v[14:15], v[54:55], v[72:73]
	v_fmac_f64_e32 v[12:13], v[60:61], v[72:73]
	;; [unrolled: 1-line block ×3, first 2 shown]
	v_cvt_f64_f32_e32 v[54:55], v78
	v_cvt_f64_f32_e32 v[60:61], v80
	;; [unrolled: 1-line block ×3, first 2 shown]
	s_wait_loadcnt 0x9
	v_fmac_f64_e32 v[16:17], v[62:63], v[82:83]
	s_wait_loadcnt 0x8
	v_cvt_f64_f32_e32 v[62:63], v87
	v_fmac_f64_e32 v[14:15], v[58:59], v[82:83]
	v_fmac_f64_e32 v[12:13], v[64:65], v[82:83]
	;; [unrolled: 1-line block ×3, first 2 shown]
	v_cvt_f64_f32_e32 v[58:59], v86
	v_cvt_f64_f32_e32 v[64:65], v88
	;; [unrolled: 1-line block ×3, first 2 shown]
	v_fmac_f64_e32 v[16:17], v[56:57], v[84:85]
	s_wait_loadcnt 0x7
	v_cvt_f64_f32_e32 v[56:57], v28
	v_cvt_f64_f32_e32 v[28:29], v29
	v_fmac_f64_e32 v[14:15], v[54:55], v[84:85]
	v_fmac_f64_e32 v[12:13], v[60:61], v[84:85]
	;; [unrolled: 1-line block ×3, first 2 shown]
	v_cvt_f64_f32_e32 v[54:55], v26
	v_cvt_f64_f32_e32 v[26:27], v27
	s_wait_loadcnt 0x6
	v_fmac_f64_e32 v[16:17], v[62:63], v[30:31]
	v_fmac_f64_e32 v[14:15], v[58:59], v[30:31]
	;; [unrolled: 1-line block ×4, first 2 shown]
	s_delay_alu instid0(VALU_DEP_4) | instskip(NEXT) | instid1(VALU_DEP_4)
	v_fmac_f64_e32 v[16:17], v[26:27], v[32:33]
	v_fmac_f64_e32 v[14:15], v[54:55], v[32:33]
	s_delay_alu instid0(VALU_DEP_4) | instskip(NEXT) | instid1(VALU_DEP_4)
	v_fmac_f64_e32 v[12:13], v[56:57], v[32:33]
	v_fmac_f64_e32 v[6:7], v[28:29], v[32:33]
	s_wait_loadcnt 0x4
	v_cvt_f64_f32_e32 v[30:31], v90
	v_cvt_f64_f32_e32 v[58:59], v91
	;; [unrolled: 1-line block ×4, first 2 shown]
	s_wait_loadcnt 0x3
	v_cvt_f64_f32_e32 v[26:27], v34
	v_cvt_f64_f32_e32 v[28:29], v35
	;; [unrolled: 1-line block ×4, first 2 shown]
	s_wait_loadcnt 0x2
	v_cvt_f64_f32_e32 v[36:37], v43
	v_fmac_f64_e32 v[14:15], v[30:31], v[38:39]
	v_fmac_f64_e32 v[16:17], v[58:59], v[38:39]
	;; [unrolled: 1-line block ×4, first 2 shown]
	v_cvt_f64_f32_e32 v[30:31], v42
	v_cvt_f64_f32_e32 v[38:39], v44
	;; [unrolled: 1-line block ×3, first 2 shown]
	v_fmac_f64_e32 v[14:15], v[26:27], v[40:41]
	v_fmac_f64_e32 v[16:17], v[28:29], v[40:41]
	;; [unrolled: 1-line block ×4, first 2 shown]
	s_wait_loadcnt 0x0
	v_cvt_f64_f32_e32 v[26:27], v46
	v_cvt_f64_f32_e32 v[28:29], v47
	v_cvt_f64_f32_e32 v[32:33], v48
	v_cvt_f64_f32_e32 v[34:35], v49
	v_fmac_f64_e32 v[14:15], v[30:31], v[50:51]
	v_fmac_f64_e32 v[16:17], v[36:37], v[50:51]
	;; [unrolled: 1-line block ×4, first 2 shown]
	s_delay_alu instid0(VALU_DEP_4) | instskip(NEXT) | instid1(VALU_DEP_4)
	v_fmac_f64_e32 v[14:15], v[26:27], v[52:53]
	v_fmac_f64_e32 v[16:17], v[28:29], v[52:53]
	s_delay_alu instid0(VALU_DEP_4) | instskip(NEXT) | instid1(VALU_DEP_4)
	v_fmac_f64_e32 v[12:13], v[32:33], v[52:53]
	v_fmac_f64_e32 v[6:7], v[34:35], v[52:53]
	s_and_not1_b32 exec_lo, exec_lo, s6
	s_cbranch_execnz .LBB164_35
; %bb.36:
	s_or_b32 exec_lo, exec_lo, s6
.LBB164_37:
	s_delay_alu instid0(SALU_CYCLE_1)
	s_or_b32 exec_lo, exec_lo, s2
.LBB164_38:
	s_delay_alu instid0(SALU_CYCLE_1)
	s_or_b32 exec_lo, exec_lo, s3
.LBB164_39:
	v_mbcnt_lo_u32_b32 v1, -1, 0
	s_delay_alu instid0(VALU_DEP_1) | instskip(NEXT) | instid1(VALU_DEP_1)
	v_or_b32_e32 v4, 32, v1
	v_cmp_gt_i32_e32 vcc_lo, 32, v4
	v_cndmask_b32_e32 v4, v1, v4, vcc_lo
	s_delay_alu instid0(VALU_DEP_1)
	v_lshlrev_b32_e32 v23, 2, v4
	ds_bpermute_b32 v4, v23, v14
	ds_bpermute_b32 v5, v23, v15
	;; [unrolled: 1-line block ×4, first 2 shown]
	s_wait_dscnt 0x2
	v_add_f64_e32 v[4:5], v[14:15], v[4:5]
	s_wait_dscnt 0x0
	v_dual_add_f64 v[14:15], v[16:17], v[18:19] :: v_dual_bitop2_b32 v16, 16, v1 bitop3:0x14
	ds_bpermute_b32 v20, v23, v12
	ds_bpermute_b32 v21, v23, v13
	;; [unrolled: 1-line block ×4, first 2 shown]
	v_cmp_gt_i32_e32 vcc_lo, 32, v16
	v_cndmask_b32_e32 v16, v1, v16, vcc_lo
	s_wait_dscnt 0x2
	v_add_f64_e32 v[12:13], v[12:13], v[20:21]
	s_wait_dscnt 0x0
	s_delay_alu instid0(VALU_DEP_2)
	v_dual_add_f64 v[6:7], v[6:7], v[22:23] :: v_dual_lshlrev_b32 v23, 2, v16
	ds_bpermute_b32 v16, v23, v4
	ds_bpermute_b32 v17, v23, v5
	s_wait_dscnt 0x0
	v_add_f64_e32 v[4:5], v[4:5], v[16:17]
	v_xor_b32_e32 v16, 8, v1
	ds_bpermute_b32 v18, v23, v14
	ds_bpermute_b32 v19, v23, v15
	;; [unrolled: 1-line block ×6, first 2 shown]
	v_cmp_gt_i32_e32 vcc_lo, 32, v16
	s_wait_dscnt 0x4
	v_dual_add_f64 v[14:15], v[14:15], v[18:19] :: v_dual_cndmask_b32 v16, v1, v16, vcc_lo
	s_wait_dscnt 0x2
	v_add_f64_e32 v[12:13], v[12:13], v[20:21]
	s_wait_dscnt 0x0
	s_delay_alu instid0(VALU_DEP_2)
	v_dual_add_f64 v[6:7], v[6:7], v[22:23] :: v_dual_lshlrev_b32 v23, 2, v16
	ds_bpermute_b32 v18, v23, v14
	ds_bpermute_b32 v19, v23, v15
	s_wait_dscnt 0x0
	v_add_f64_e32 v[14:15], v[14:15], v[18:19]
	ds_bpermute_b32 v16, v23, v4
	ds_bpermute_b32 v17, v23, v5
	ds_bpermute_b32 v20, v23, v12
	ds_bpermute_b32 v21, v23, v13
	ds_bpermute_b32 v22, v23, v6
	ds_bpermute_b32 v23, v23, v7
	s_wait_dscnt 0x4
	v_add_f64_e32 v[4:5], v[4:5], v[16:17]
	v_xor_b32_e32 v16, 4, v1
	s_wait_dscnt 0x2
	v_add_f64_e32 v[12:13], v[12:13], v[20:21]
	s_wait_dscnt 0x0
	v_add_f64_e32 v[6:7], v[6:7], v[22:23]
	v_cmp_gt_i32_e32 vcc_lo, 32, v16
	v_cndmask_b32_e32 v16, v1, v16, vcc_lo
	s_delay_alu instid0(VALU_DEP_1)
	v_lshlrev_b32_e32 v23, 2, v16
	ds_bpermute_b32 v18, v23, v14
	ds_bpermute_b32 v19, v23, v15
	;; [unrolled: 1-line block ×4, first 2 shown]
	s_wait_dscnt 0x0
	v_add_f64_e32 v[4:5], v[4:5], v[16:17]
	v_add_f64_e32 v[16:17], v[14:15], v[18:19]
	ds_bpermute_b32 v20, v23, v12
	ds_bpermute_b32 v21, v23, v13
	;; [unrolled: 1-line block ×4, first 2 shown]
	s_wait_dscnt 0x2
	v_add_f64_e32 v[18:19], v[12:13], v[20:21]
	s_wait_dscnt 0x0
	v_dual_add_f64 v[6:7], v[6:7], v[22:23] :: v_dual_bitop2_b32 v12, 2, v1 bitop3:0x14
	s_delay_alu instid0(VALU_DEP_1) | instskip(SKIP_1) | instid1(VALU_DEP_1)
	v_cmp_gt_i32_e32 vcc_lo, 32, v12
	v_cndmask_b32_e32 v12, v1, v12, vcc_lo
	v_lshlrev_b32_e32 v14, 2, v12
	ds_bpermute_b32 v12, v14, v4
	ds_bpermute_b32 v13, v14, v5
	;; [unrolled: 1-line block ×8, first 2 shown]
	s_wait_dscnt 0x6
	v_add_f64_e32 v[14:15], v[4:5], v[12:13]
	s_wait_dscnt 0x4
	v_add_f64_e32 v[12:13], v[16:17], v[20:21]
	v_xor_b32_e32 v16, 1, v1
	s_delay_alu instid0(VALU_DEP_1)
	v_cmp_gt_i32_e32 vcc_lo, 32, v16
	s_wait_dscnt 0x2
	v_add_f64_e32 v[4:5], v[18:19], v[22:23]
	s_wait_dscnt 0x0
	v_add_f64_e32 v[6:7], v[6:7], v[24:25]
	v_cndmask_b32_e32 v1, v1, v16, vcc_lo
	v_cmp_eq_u32_e32 vcc_lo, 63, v0
	s_delay_alu instid0(VALU_DEP_2)
	v_lshlrev_b32_e32 v1, 2, v1
	ds_bpermute_b32 v22, v1, v14
	ds_bpermute_b32 v23, v1, v15
	;; [unrolled: 1-line block ×8, first 2 shown]
	s_and_b32 exec_lo, exec_lo, vcc_lo
	s_cbranch_execz .LBB164_10
; %bb.40:
	s_wait_dscnt 0x6
	v_add_f64_e32 v[0:1], v[14:15], v[22:23]
	s_wait_dscnt 0x4
	v_add_f64_e32 v[12:13], v[12:13], v[20:21]
	;; [unrolled: 2-line block ×4, first 2 shown]
	s_load_b64 s[0:1], s[0:1], 0x58
	v_lshlrev_b64_e32 v[10:11], 5, v[10:11]
	s_mov_b32 s2, exec_lo
	v_mul_f64_e32 v[4:5], v[2:3], v[0:1]
	v_mul_f64_e32 v[6:7], v[2:3], v[12:13]
	;; [unrolled: 1-line block ×4, first 2 shown]
	v_cmpx_eq_f64_e32 0, v[8:9]
	s_xor_b32 s2, exec_lo, s2
	s_cbranch_execz .LBB164_42
; %bb.41:
	s_wait_kmcnt 0x0
	v_add_nc_u64_e32 v[8:9], s[0:1], v[10:11]
                                        ; implicit-def: $vgpr10_vgpr11
	s_clause 0x1
	global_store_b128 v[8:9], v[4:7], off
	global_store_b128 v[8:9], v[0:3], off offset:16
                                        ; implicit-def: $vgpr8_vgpr9
                                        ; implicit-def: $vgpr4_vgpr5
                                        ; implicit-def: $vgpr0_vgpr1
.LBB164_42:
	s_wait_xcnt 0x0
	s_and_not1_saveexec_b32 s2, s2
	s_cbranch_execz .LBB164_10
; %bb.43:
	s_wait_kmcnt 0x0
	v_add_nc_u64_e32 v[18:19], s[0:1], v[10:11]
	s_clause 0x1
	global_load_b128 v[10:13], v[18:19], off
	global_load_b128 v[14:17], v[18:19], off offset:16
	s_wait_loadcnt 0x1
	v_fmac_f64_e32 v[4:5], v[8:9], v[10:11]
	v_fmac_f64_e32 v[6:7], v[8:9], v[12:13]
	s_wait_loadcnt 0x0
	v_fmac_f64_e32 v[0:1], v[8:9], v[14:15]
	v_fmac_f64_e32 v[2:3], v[8:9], v[16:17]
	s_clause 0x1
	global_store_b128 v[18:19], v[4:7], off
	global_store_b128 v[18:19], v[0:3], off offset:16
	s_sendmsg sendmsg(MSG_DEALLOC_VGPRS)
	s_endpgm
	.section	.rodata,"a",@progbits
	.p2align	6, 0x0
	.amdhsa_kernel _ZN9rocsparseL18bsrxmvn_4x4_kernelILj128ELj64EdllfddEEvT3_20rocsparse_direction_NS_24const_host_device_scalarIT1_EES1_PKS1_PKT2_SA_S7_PKT4_PKT5_S5_PT6_21rocsparse_index_base_b
		.amdhsa_group_segment_fixed_size 0
		.amdhsa_private_segment_fixed_size 0
		.amdhsa_kernarg_size 104
		.amdhsa_user_sgpr_count 2
		.amdhsa_user_sgpr_dispatch_ptr 0
		.amdhsa_user_sgpr_queue_ptr 0
		.amdhsa_user_sgpr_kernarg_segment_ptr 1
		.amdhsa_user_sgpr_dispatch_id 0
		.amdhsa_user_sgpr_kernarg_preload_length 0
		.amdhsa_user_sgpr_kernarg_preload_offset 0
		.amdhsa_user_sgpr_private_segment_size 0
		.amdhsa_wavefront_size32 1
		.amdhsa_uses_dynamic_stack 0
		.amdhsa_enable_private_segment 0
		.amdhsa_system_sgpr_workgroup_id_x 1
		.amdhsa_system_sgpr_workgroup_id_y 0
		.amdhsa_system_sgpr_workgroup_id_z 0
		.amdhsa_system_sgpr_workgroup_info 0
		.amdhsa_system_vgpr_workitem_id 0
		.amdhsa_next_free_vgpr 122
		.amdhsa_next_free_sgpr 12
		.amdhsa_named_barrier_count 0
		.amdhsa_reserve_vcc 1
		.amdhsa_float_round_mode_32 0
		.amdhsa_float_round_mode_16_64 0
		.amdhsa_float_denorm_mode_32 3
		.amdhsa_float_denorm_mode_16_64 3
		.amdhsa_fp16_overflow 0
		.amdhsa_memory_ordered 1
		.amdhsa_forward_progress 1
		.amdhsa_inst_pref_size 38
		.amdhsa_round_robin_scheduling 0
		.amdhsa_exception_fp_ieee_invalid_op 0
		.amdhsa_exception_fp_denorm_src 0
		.amdhsa_exception_fp_ieee_div_zero 0
		.amdhsa_exception_fp_ieee_overflow 0
		.amdhsa_exception_fp_ieee_underflow 0
		.amdhsa_exception_fp_ieee_inexact 0
		.amdhsa_exception_int_div_zero 0
	.end_amdhsa_kernel
	.section	.text._ZN9rocsparseL18bsrxmvn_4x4_kernelILj128ELj64EdllfddEEvT3_20rocsparse_direction_NS_24const_host_device_scalarIT1_EES1_PKS1_PKT2_SA_S7_PKT4_PKT5_S5_PT6_21rocsparse_index_base_b,"axG",@progbits,_ZN9rocsparseL18bsrxmvn_4x4_kernelILj128ELj64EdllfddEEvT3_20rocsparse_direction_NS_24const_host_device_scalarIT1_EES1_PKS1_PKT2_SA_S7_PKT4_PKT5_S5_PT6_21rocsparse_index_base_b,comdat
.Lfunc_end164:
	.size	_ZN9rocsparseL18bsrxmvn_4x4_kernelILj128ELj64EdllfddEEvT3_20rocsparse_direction_NS_24const_host_device_scalarIT1_EES1_PKS1_PKT2_SA_S7_PKT4_PKT5_S5_PT6_21rocsparse_index_base_b, .Lfunc_end164-_ZN9rocsparseL18bsrxmvn_4x4_kernelILj128ELj64EdllfddEEvT3_20rocsparse_direction_NS_24const_host_device_scalarIT1_EES1_PKS1_PKT2_SA_S7_PKT4_PKT5_S5_PT6_21rocsparse_index_base_b
                                        ; -- End function
	.set _ZN9rocsparseL18bsrxmvn_4x4_kernelILj128ELj64EdllfddEEvT3_20rocsparse_direction_NS_24const_host_device_scalarIT1_EES1_PKS1_PKT2_SA_S7_PKT4_PKT5_S5_PT6_21rocsparse_index_base_b.num_vgpr, 122
	.set _ZN9rocsparseL18bsrxmvn_4x4_kernelILj128ELj64EdllfddEEvT3_20rocsparse_direction_NS_24const_host_device_scalarIT1_EES1_PKS1_PKT2_SA_S7_PKT4_PKT5_S5_PT6_21rocsparse_index_base_b.num_agpr, 0
	.set _ZN9rocsparseL18bsrxmvn_4x4_kernelILj128ELj64EdllfddEEvT3_20rocsparse_direction_NS_24const_host_device_scalarIT1_EES1_PKS1_PKT2_SA_S7_PKT4_PKT5_S5_PT6_21rocsparse_index_base_b.numbered_sgpr, 12
	.set _ZN9rocsparseL18bsrxmvn_4x4_kernelILj128ELj64EdllfddEEvT3_20rocsparse_direction_NS_24const_host_device_scalarIT1_EES1_PKS1_PKT2_SA_S7_PKT4_PKT5_S5_PT6_21rocsparse_index_base_b.num_named_barrier, 0
	.set _ZN9rocsparseL18bsrxmvn_4x4_kernelILj128ELj64EdllfddEEvT3_20rocsparse_direction_NS_24const_host_device_scalarIT1_EES1_PKS1_PKT2_SA_S7_PKT4_PKT5_S5_PT6_21rocsparse_index_base_b.private_seg_size, 0
	.set _ZN9rocsparseL18bsrxmvn_4x4_kernelILj128ELj64EdllfddEEvT3_20rocsparse_direction_NS_24const_host_device_scalarIT1_EES1_PKS1_PKT2_SA_S7_PKT4_PKT5_S5_PT6_21rocsparse_index_base_b.uses_vcc, 1
	.set _ZN9rocsparseL18bsrxmvn_4x4_kernelILj128ELj64EdllfddEEvT3_20rocsparse_direction_NS_24const_host_device_scalarIT1_EES1_PKS1_PKT2_SA_S7_PKT4_PKT5_S5_PT6_21rocsparse_index_base_b.uses_flat_scratch, 0
	.set _ZN9rocsparseL18bsrxmvn_4x4_kernelILj128ELj64EdllfddEEvT3_20rocsparse_direction_NS_24const_host_device_scalarIT1_EES1_PKS1_PKT2_SA_S7_PKT4_PKT5_S5_PT6_21rocsparse_index_base_b.has_dyn_sized_stack, 0
	.set _ZN9rocsparseL18bsrxmvn_4x4_kernelILj128ELj64EdllfddEEvT3_20rocsparse_direction_NS_24const_host_device_scalarIT1_EES1_PKS1_PKT2_SA_S7_PKT4_PKT5_S5_PT6_21rocsparse_index_base_b.has_recursion, 0
	.set _ZN9rocsparseL18bsrxmvn_4x4_kernelILj128ELj64EdllfddEEvT3_20rocsparse_direction_NS_24const_host_device_scalarIT1_EES1_PKS1_PKT2_SA_S7_PKT4_PKT5_S5_PT6_21rocsparse_index_base_b.has_indirect_call, 0
	.section	.AMDGPU.csdata,"",@progbits
; Kernel info:
; codeLenInByte = 4824
; TotalNumSgprs: 14
; NumVgprs: 122
; ScratchSize: 0
; MemoryBound: 0
; FloatMode: 240
; IeeeMode: 1
; LDSByteSize: 0 bytes/workgroup (compile time only)
; SGPRBlocks: 0
; VGPRBlocks: 7
; NumSGPRsForWavesPerEU: 14
; NumVGPRsForWavesPerEU: 122
; NamedBarCnt: 0
; Occupancy: 8
; WaveLimiterHint : 1
; COMPUTE_PGM_RSRC2:SCRATCH_EN: 0
; COMPUTE_PGM_RSRC2:USER_SGPR: 2
; COMPUTE_PGM_RSRC2:TRAP_HANDLER: 0
; COMPUTE_PGM_RSRC2:TGID_X_EN: 1
; COMPUTE_PGM_RSRC2:TGID_Y_EN: 0
; COMPUTE_PGM_RSRC2:TGID_Z_EN: 0
; COMPUTE_PGM_RSRC2:TIDIG_COMP_CNT: 0
	.section	.text._ZN9rocsparseL18bsrxmvn_4x4_kernelILj128ELj4E21rocsparse_complex_numIdEiiS1_IfES2_S2_EEvT3_20rocsparse_direction_NS_24const_host_device_scalarIT1_EES4_PKS4_PKT2_SD_SA_PKT4_PKT5_S8_PT6_21rocsparse_index_base_b,"axG",@progbits,_ZN9rocsparseL18bsrxmvn_4x4_kernelILj128ELj4E21rocsparse_complex_numIdEiiS1_IfES2_S2_EEvT3_20rocsparse_direction_NS_24const_host_device_scalarIT1_EES4_PKS4_PKT2_SD_SA_PKT4_PKT5_S8_PT6_21rocsparse_index_base_b,comdat
	.globl	_ZN9rocsparseL18bsrxmvn_4x4_kernelILj128ELj4E21rocsparse_complex_numIdEiiS1_IfES2_S2_EEvT3_20rocsparse_direction_NS_24const_host_device_scalarIT1_EES4_PKS4_PKT2_SD_SA_PKT4_PKT5_S8_PT6_21rocsparse_index_base_b ; -- Begin function _ZN9rocsparseL18bsrxmvn_4x4_kernelILj128ELj4E21rocsparse_complex_numIdEiiS1_IfES2_S2_EEvT3_20rocsparse_direction_NS_24const_host_device_scalarIT1_EES4_PKS4_PKT2_SD_SA_PKT4_PKT5_S8_PT6_21rocsparse_index_base_b
	.p2align	8
	.type	_ZN9rocsparseL18bsrxmvn_4x4_kernelILj128ELj4E21rocsparse_complex_numIdEiiS1_IfES2_S2_EEvT3_20rocsparse_direction_NS_24const_host_device_scalarIT1_EES4_PKS4_PKT2_SD_SA_PKT4_PKT5_S8_PT6_21rocsparse_index_base_b,@function
_ZN9rocsparseL18bsrxmvn_4x4_kernelILj128ELj4E21rocsparse_complex_numIdEiiS1_IfES2_S2_EEvT3_20rocsparse_direction_NS_24const_host_device_scalarIT1_EES4_PKS4_PKT2_SD_SA_PKT4_PKT5_S8_PT6_21rocsparse_index_base_b: ; @_ZN9rocsparseL18bsrxmvn_4x4_kernelILj128ELj4E21rocsparse_complex_numIdEiiS1_IfES2_S2_EEvT3_20rocsparse_direction_NS_24const_host_device_scalarIT1_EES4_PKS4_PKT2_SD_SA_PKT4_PKT5_S8_PT6_21rocsparse_index_base_b
; %bb.0:
	s_clause 0x1
	s_load_b64 s[12:13], s[0:1], 0x68
	s_load_b64 s[2:3], s[0:1], 0x8
	v_mov_b32_e32 v1, 0
	s_add_nc_u64 s[4:5], s[0:1], 8
	s_load_b64 s[6:7], s[0:1], 0x50
	s_wait_kmcnt 0x0
	s_bitcmp1_b32 s13, 0
	s_cselect_b32 s3, s5, s3
	s_cselect_b32 s2, s4, s2
	flat_load_b128 v[6:9], v1, s[2:3]
	s_wait_xcnt 0x0
	s_add_nc_u64 s[2:3], s[0:1], 0x50
	s_delay_alu instid0(SALU_CYCLE_1)
	s_cselect_b32 s3, s3, s7
	s_cselect_b32 s2, s2, s6
	flat_load_b128 v[2:5], v1, s[2:3]
	s_wait_loadcnt_dscnt 0x101
	v_cmp_eq_f64_e32 vcc_lo, 0, v[6:7]
	s_wait_xcnt 0x0
	v_cmp_eq_f64_e64 s2, 0, v[8:9]
	s_and_b32 s4, vcc_lo, s2
	s_mov_b32 s2, -1
	s_and_saveexec_b32 s3, s4
	s_cbranch_execz .LBB165_2
; %bb.1:
	s_wait_loadcnt_dscnt 0x0
	v_cmp_neq_f64_e32 vcc_lo, 1.0, v[2:3]
	v_cmp_neq_f64_e64 s2, 0, v[4:5]
	s_or_b32 s2, vcc_lo, s2
	s_delay_alu instid0(SALU_CYCLE_1)
	s_or_not1_b32 s2, s2, exec_lo
.LBB165_2:
	s_or_b32 exec_lo, exec_lo, s3
	s_and_saveexec_b32 s3, s2
	s_cbranch_execz .LBB165_8
; %bb.3:
	s_clause 0x1
	s_load_b64 s[4:5], s[0:1], 0x20
	s_load_b64 s[2:3], s[0:1], 0x0
	s_bfe_u32 s6, ttmp6, 0x4000c
	s_and_b32 s7, ttmp6, 15
	s_add_co_i32 s6, s6, 1
	s_getreg_b32 s8, hwreg(HW_REG_IB_STS2, 6, 4)
	s_mul_i32 s6, ttmp9, s6
	v_lshrrev_b32_e32 v1, 2, v0
	s_add_co_i32 s7, s7, s6
	s_cmp_eq_u32 s8, 0
	s_cselect_b32 s6, ttmp9, s7
	s_delay_alu instid0(VALU_DEP_1) | instid1(SALU_CYCLE_1)
	v_lshl_or_b32 v26, s6, 5, v1
	s_mov_b32 s6, 0
	s_wait_kmcnt 0x0
	s_cmp_lg_u64 s[4:5], 0
	s_cbranch_scc0 .LBB165_9
; %bb.4:
	s_load_b32 s6, s[0:1], 0x18
	s_mov_b32 s7, 0
                                        ; implicit-def: $vgpr1
	s_wait_kmcnt 0x0
	v_cmp_gt_i32_e32 vcc_lo, s6, v26
	s_mov_b32 s6, 0
	s_and_saveexec_b32 s8, vcc_lo
	s_delay_alu instid0(SALU_CYCLE_1)
	s_xor_b32 s8, exec_lo, s8
	s_cbranch_execz .LBB165_6
; %bb.5:
	global_load_b32 v1, v26, s[4:5] scale_offset
	s_mov_b32 s6, exec_lo
	s_wait_loadcnt 0x0
	v_subrev_nc_u32_e32 v1, s12, v1
.LBB165_6:
	s_or_b32 exec_lo, exec_lo, s8
	s_delay_alu instid0(SALU_CYCLE_1)
	s_and_b32 vcc_lo, exec_lo, s7
	s_cbranch_vccz .LBB165_10
.LBB165_7:
	v_cmp_gt_i32_e32 vcc_lo, s2, v26
	s_and_not1_b32 s2, s6, exec_lo
	s_and_b32 s4, vcc_lo, exec_lo
	s_delay_alu instid0(SALU_CYCLE_1) | instskip(NEXT) | instid1(SALU_CYCLE_1)
	s_or_b32 s6, s2, s4
	s_and_b32 exec_lo, exec_lo, s6
	s_cbranch_execnz .LBB165_11
.LBB165_8:
	s_sendmsg sendmsg(MSG_DEALLOC_VGPRS)
	s_endpgm
.LBB165_9:
                                        ; implicit-def: $vgpr1
	s_cbranch_execnz .LBB165_7
.LBB165_10:
	s_delay_alu instid0(VALU_DEP_1)
	v_mov_b32_e32 v26, v1
	s_and_b32 exec_lo, exec_lo, s6
	s_cbranch_execz .LBB165_8
.LBB165_11:
	s_load_b256 s[4:11], s[0:1], 0x28
	s_wait_kmcnt 0x0
	global_load_b32 v32, v26, s[4:5] scale_offset
	s_cmp_eq_u64 s[6:7], 0
	s_cselect_b32 vcc_lo, -1, 0
	v_ashrrev_i32_e32 v27, 31, v26
	s_cmp_eq_u32 s3, 1
	s_delay_alu instid0(VALU_DEP_1) | instskip(SKIP_1) | instid1(VALU_DEP_2)
	v_lshlrev_b64_e32 v[10:11], 2, v[26:27]
	v_and_b32_e32 v27, 3, v0
	v_add_nc_u64_e32 v[12:13], s[4:5], v[10:11]
	v_add_nc_u64_e32 v[10:11], s[6:7], v[10:11]
	s_wait_xcnt 0x0
	s_load_b64 s[4:5], s[0:1], 0x48
	s_delay_alu instid0(VALU_DEP_2) | instskip(NEXT) | instid1(VALU_DEP_1)
	v_add_nc_u64_e32 v[12:13], 4, v[12:13]
	v_cndmask_b32_e32 v11, v11, v13, vcc_lo
	s_wait_loadcnt 0x0
	v_subrev_nc_u32_e32 v0, s12, v32
	s_delay_alu instid0(VALU_DEP_1) | instskip(SKIP_2) | instid1(VALU_DEP_1)
	v_dual_cndmask_b32 v10, v10, v12, vcc_lo :: v_dual_add_nc_u32 v16, v0, v27
	global_load_b32 v10, v[10:11], off
	v_ashrrev_i32_e32 v17, 31, v16
	v_lshlrev_b64_e32 v[0:1], 7, v[16:17]
	s_delay_alu instid0(VALU_DEP_1) | instskip(SKIP_2) | instid1(VALU_DEP_1)
	v_add_nc_u64_e32 v[18:19], s[10:11], v[0:1]
	s_wait_loadcnt 0x0
	v_subrev_nc_u32_e32 v17, s12, v10
	v_cmp_lt_i32_e64 s2, v16, v17
	s_cbranch_scc1 .LBB165_23
; %bb.12:
	v_mov_b64_e32 v[0:1], 0
	v_mov_b64_e32 v[22:23], 0
	v_mov_b64_e32 v[10:11], 0
	v_mov_b64_e32 v[24:25], 0
	v_mov_b64_e32 v[12:13], 0
	v_mov_b64_e32 v[28:29], 0
	v_mov_b64_e32 v[14:15], 0
	v_mov_b64_e32 v[20:21], 0
	s_and_saveexec_b32 s3, s2
	s_cbranch_execz .LBB165_22
; %bb.13:
	v_add_nc_u32_e32 v0, v32, v27
	v_not_b32_e32 v1, v32
	v_mov_b64_e32 v[20:21], 0
	v_mov_b64_e32 v[14:15], 0
	;; [unrolled: 1-line block ×3, first 2 shown]
	v_subrev_nc_u32_e32 v0, s12, v0
	v_mov_b64_e32 v[12:13], 0
	v_mov_b64_e32 v[24:25], 0
	v_mov_b64_e32 v[10:11], 0
	v_mov_b64_e32 v[22:23], 0
	v_add_max_i32_e64 v0, v0, 4, v17
	v_mov_b64_e32 v[30:31], v[18:19]
	s_delay_alu instid0(VALU_DEP_2) | instskip(NEXT) | instid1(VALU_DEP_1)
	v_add3_u32 v0, s12, v0, v1
	v_sub_nc_u32_e32 v34, v0, v27
	v_mov_b64_e32 v[0:1], 0
	s_delay_alu instid0(VALU_DEP_2) | instskip(NEXT) | instid1(VALU_DEP_1)
	v_and_b32_e32 v33, 12, v34
	v_cmp_ne_u32_e32 vcc_lo, 12, v33
	v_mov_b32_e32 v33, v16
	s_and_saveexec_b32 s6, vcc_lo
	s_cbranch_execz .LBB165_17
; %bb.14:
	v_dual_mov_b32 v33, v16 :: v_dual_lshrrev_b32 v10, 2, v34
	v_mov_b64_e32 v[0:1], 0
	v_mov_b64_e32 v[22:23], 0
	;; [unrolled: 1-line block ×3, first 2 shown]
	s_delay_alu instid0(VALU_DEP_4)
	v_add_nc_u32_e32 v12, 1, v10
	v_mov_b64_e32 v[10:11], 0
	v_mov_b64_e32 v[28:29], 0
	v_mov_b64_e32 v[14:15], 0
	v_mov_b64_e32 v[20:21], 0
	v_and_b32_e32 v30, 3, v12
	v_mov_b64_e32 v[12:13], 0
	s_mov_b32 s7, 0
	s_delay_alu instid0(VALU_DEP_2)
	v_sub_nc_u32_e32 v35, 0, v30
	v_mov_b64_e32 v[30:31], v[18:19]
.LBB165_15:                             ; =>This Inner Loop Header: Depth=1
	global_load_b32 v52, v33, s[8:9] scale_offset
	s_clause 0x3
	global_load_b128 v[36:39], v[30:31], off
	global_load_b128 v[40:43], v[30:31], off offset:32
	global_load_b128 v[44:47], v[30:31], off offset:64
	;; [unrolled: 1-line block ×3, first 2 shown]
	v_add_co_u32 v35, s10, v35, 1
	s_or_b32 s7, s10, s7
	s_wait_xcnt 0x4
	v_add_nc_u32_e32 v33, 4, v33
	s_wait_loadcnt 0x4
	v_subrev_nc_u32_e32 v52, s12, v52
	s_wait_loadcnt 0x2
	v_cvt_f64_f32_e32 v[86:87], v40
	v_cvt_f64_f32_e32 v[40:41], v41
	s_wait_loadcnt 0x1
	v_cvt_f64_f32_e32 v[88:89], v44
	v_lshlrev_b32_e32 v84, 2, v52
	s_wait_kmcnt 0x0
	s_clause 0x1
	global_load_b128 v[52:55], v84, s[4:5] scale_offset
	global_load_b128 v[56:59], v84, s[4:5] offset:16 scale_offset
	s_clause 0x3
	global_load_b128 v[60:63], v[30:31], off offset:16
	global_load_b128 v[64:67], v[30:31], off offset:48
	;; [unrolled: 1-line block ×4, first 2 shown]
	s_clause 0x1
	global_load_b128 v[76:79], v84, s[4:5] offset:32 scale_offset
	global_load_b128 v[80:83], v84, s[4:5] offset:48 scale_offset
	s_wait_xcnt 0x0
	v_cvt_f64_f32_e32 v[84:85], v36
	v_cvt_f64_f32_e32 v[36:37], v37
	;; [unrolled: 1-line block ×3, first 2 shown]
	s_wait_loadcnt 0x8
	v_cvt_f64_f32_e32 v[90:91], v48
	v_cvt_f64_f32_e32 v[48:49], v49
	;; [unrolled: 1-line block ×8, first 2 shown]
	v_add_nc_u64_e32 v[30:31], 0x200, v[30:31]
	s_wait_loadcnt 0x7
	v_fmac_f64_e32 v[22:23], v[84:85], v[52:53]
	v_fmac_f64_e32 v[0:1], v[36:37], v[52:53]
	;; [unrolled: 1-line block ×8, first 2 shown]
	v_cvt_f64_f32_e32 v[52:53], v38
	v_cvt_f64_f32_e32 v[38:39], v39
	v_fma_f64 v[22:23], -v[36:37], v[54:55], v[22:23]
	v_fmac_f64_e32 v[0:1], v[84:85], v[54:55]
	v_fma_f64 v[24:25], -v[40:41], v[54:55], v[24:25]
	v_fmac_f64_e32 v[10:11], v[86:87], v[54:55]
	v_fma_f64 v[28:29], -v[44:45], v[54:55], v[28:29]
	v_fmac_f64_e32 v[12:13], v[88:89], v[54:55]
	v_fma_f64 v[20:21], -v[48:49], v[54:55], v[20:21]
	v_fmac_f64_e32 v[14:15], v[90:91], v[54:55]
	s_wait_loadcnt 0x5
	v_cvt_f64_f32_e32 v[36:37], v60
	v_cvt_f64_f32_e32 v[40:41], v61
	s_wait_loadcnt 0x4
	v_cvt_f64_f32_e32 v[44:45], v64
	v_cvt_f64_f32_e32 v[48:49], v65
	s_wait_loadcnt 0x3
	v_cvt_f64_f32_e32 v[54:55], v68
	s_wait_loadcnt 0x2
	v_cvt_f64_f32_e32 v[60:61], v72
	v_cvt_f64_f32_e32 v[64:65], v73
	v_fmac_f64_e32 v[22:23], v[52:53], v[56:57]
	v_fmac_f64_e32 v[0:1], v[38:39], v[56:57]
	;; [unrolled: 1-line block ×8, first 2 shown]
	v_cvt_f64_f32_e32 v[56:57], v69
	v_fma_f64 v[22:23], -v[38:39], v[58:59], v[22:23]
	v_fmac_f64_e32 v[0:1], v[52:53], v[58:59]
	v_fma_f64 v[24:25], -v[42:43], v[58:59], v[24:25]
	v_fmac_f64_e32 v[10:11], v[92:93], v[58:59]
	;; [unrolled: 2-line block ×4, first 2 shown]
	v_cvt_f64_f32_e32 v[38:39], v62
	v_cvt_f64_f32_e32 v[42:43], v63
	;; [unrolled: 1-line block ×8, first 2 shown]
	s_wait_loadcnt 0x1
	v_fmac_f64_e32 v[22:23], v[36:37], v[76:77]
	v_fmac_f64_e32 v[0:1], v[40:41], v[76:77]
	;; [unrolled: 1-line block ×8, first 2 shown]
	v_fma_f64 v[22:23], -v[40:41], v[78:79], v[22:23]
	v_fmac_f64_e32 v[0:1], v[36:37], v[78:79]
	v_fma_f64 v[24:25], -v[48:49], v[78:79], v[24:25]
	v_fmac_f64_e32 v[10:11], v[44:45], v[78:79]
	;; [unrolled: 2-line block ×4, first 2 shown]
	s_wait_loadcnt 0x0
	v_fmac_f64_e32 v[22:23], v[38:39], v[80:81]
	v_fmac_f64_e32 v[0:1], v[42:43], v[80:81]
	;; [unrolled: 1-line block ×8, first 2 shown]
	v_fma_f64 v[22:23], -v[42:43], v[82:83], v[22:23]
	v_fmac_f64_e32 v[0:1], v[38:39], v[82:83]
	v_fma_f64 v[24:25], -v[50:51], v[82:83], v[24:25]
	v_fmac_f64_e32 v[10:11], v[46:47], v[82:83]
	;; [unrolled: 2-line block ×4, first 2 shown]
	s_and_not1_b32 exec_lo, exec_lo, s7
	s_cbranch_execnz .LBB165_15
; %bb.16:
	s_or_b32 exec_lo, exec_lo, s7
.LBB165_17:
	s_delay_alu instid0(SALU_CYCLE_1) | instskip(NEXT) | instid1(SALU_CYCLE_1)
	s_or_b32 exec_lo, exec_lo, s6
	s_mov_b32 s6, exec_lo
	v_cmpx_lt_u32_e32 11, v34
	s_cbranch_execz .LBB165_21
; %bb.18:
	s_mov_b32 s7, 0
.LBB165_19:                             ; =>This Inner Loop Header: Depth=1
	s_clause 0x1
	global_load_b32 v50, v33, s[8:9] scale_offset
	global_load_b32 v98, v33, s[8:9] offset:16 scale_offset
	s_clause 0x3
	global_load_b128 v[34:37], v[30:31], off
	global_load_b128 v[38:41], v[30:31], off offset:32
	global_load_b128 v[42:45], v[30:31], off offset:64
	;; [unrolled: 1-line block ×3, first 2 shown]
	s_clause 0x1
	global_load_b32 v138, v33, s[8:9] offset:32 scale_offset
	global_load_b32 v139, v33, s[8:9] offset:48 scale_offset
	s_wait_xcnt 0x0
	v_add_nc_u32_e32 v33, 16, v33
	s_delay_alu instid0(VALU_DEP_1)
	v_cmp_ge_i32_e32 vcc_lo, v33, v17
	s_or_b32 s7, vcc_lo, s7
	s_wait_loadcnt 0x7
	v_subrev_nc_u32_e32 v50, s12, v50
	s_wait_loadcnt 0x6
	v_subrev_nc_u32_e32 v98, s12, v98
	s_wait_loadcnt 0x5
	v_cvt_f64_f32_e32 v[122:123], v34
	v_cvt_f64_f32_e32 v[34:35], v35
	s_wait_loadcnt 0x4
	v_cvt_f64_f32_e32 v[124:125], v38
	v_lshlrev_b32_e32 v99, 2, v50
	s_wait_kmcnt 0x0
	s_clause 0x1
	global_load_b128 v[50:53], v99, s[4:5] scale_offset
	global_load_b128 v[54:57], v99, s[4:5] offset:16 scale_offset
	s_clause 0x3
	global_load_b128 v[58:61], v[30:31], off offset:16
	global_load_b128 v[62:65], v[30:31], off offset:48
	global_load_b128 v[66:69], v[30:31], off offset:80
	global_load_b128 v[70:73], v[30:31], off offset:112
	s_clause 0x1
	global_load_b128 v[74:77], v99, s[4:5] offset:32 scale_offset
	global_load_b128 v[78:81], v99, s[4:5] offset:48 scale_offset
	s_clause 0x3
	global_load_b128 v[82:85], v[30:31], off offset:512
	global_load_b128 v[86:89], v[30:31], off offset:544
	;; [unrolled: 1-line block ×4, first 2 shown]
	v_cvt_f64_f32_e32 v[38:39], v39
	s_wait_loadcnt 0xf
	v_cvt_f64_f32_e32 v[126:127], v42
	v_cvt_f64_f32_e32 v[42:43], v43
	s_wait_loadcnt 0xe
	v_cvt_f64_f32_e32 v[128:129], v46
	v_cvt_f64_f32_e32 v[46:47], v47
	v_cvt_f64_f32_e32 v[130:131], v40
	v_cvt_f64_f32_e32 v[40:41], v41
	v_cvt_f64_f32_e32 v[132:133], v44
	v_cvt_f64_f32_e32 v[44:45], v45
	v_cvt_f64_f32_e32 v[134:135], v48
	v_cvt_f64_f32_e32 v[48:49], v49
	s_wait_loadcnt 0xb
	v_fmac_f64_e32 v[24:25], v[124:125], v[50:51]
	v_lshlrev_b32_e32 v136, 2, v98
	v_fmac_f64_e32 v[22:23], v[122:123], v[50:51]
	v_fmac_f64_e32 v[0:1], v[34:35], v[50:51]
	;; [unrolled: 1-line block ×7, first 2 shown]
	v_cvt_f64_f32_e32 v[50:51], v36
	v_cvt_f64_f32_e32 v[36:37], v37
	v_fma_f64 v[24:25], -v[38:39], v[52:53], v[24:25]
	s_clause 0x1
	global_load_b128 v[98:101], v136, s[4:5] scale_offset
	global_load_b128 v[102:105], v136, s[4:5] offset:16 scale_offset
	s_clause 0x3
	global_load_b128 v[106:109], v[30:31], off offset:528
	global_load_b128 v[110:113], v[30:31], off offset:560
	;; [unrolled: 1-line block ×4, first 2 shown]
	v_fma_f64 v[34:35], -v[34:35], v[52:53], v[22:23]
	v_fmac_f64_e32 v[0:1], v[122:123], v[52:53]
	v_fmac_f64_e32 v[10:11], v[124:125], v[52:53]
	v_fma_f64 v[28:29], -v[42:43], v[52:53], v[28:29]
	v_fmac_f64_e32 v[12:13], v[126:127], v[52:53]
	v_fma_f64 v[38:39], -v[46:47], v[52:53], v[20:21]
	v_fmac_f64_e32 v[14:15], v[128:129], v[52:53]
	global_load_b128 v[20:23], v136, s[4:5] offset:32 scale_offset
	s_wait_loadcnt 0xf
	v_cvt_f64_f32_e32 v[122:123], v62
	v_cvt_f64_f32_e32 v[62:63], v63
	s_wait_loadcnt 0xe
	v_cvt_f64_f32_e32 v[124:125], v66
	v_cvt_f64_f32_e32 v[66:67], v67
	;; [unrolled: 3-line block ×3, first 2 shown]
	v_fmac_f64_e32 v[24:25], v[130:131], v[54:55]
	v_fmac_f64_e32 v[34:35], v[50:51], v[54:55]
	;; [unrolled: 1-line block ×8, first 2 shown]
	v_cvt_f64_f32_e32 v[54:55], v58
	v_cvt_f64_f32_e32 v[58:59], v59
	v_fma_f64 v[24:25], -v[40:41], v[56:57], v[24:25]
	v_fma_f64 v[128:129], -v[36:37], v[56:57], v[34:35]
	v_fmac_f64_e32 v[0:1], v[50:51], v[56:57]
	v_fmac_f64_e32 v[10:11], v[130:131], v[56:57]
	v_fma_f64 v[28:29], -v[44:45], v[56:57], v[28:29]
	v_fmac_f64_e32 v[12:13], v[132:133], v[56:57]
	v_fma_f64 v[130:131], -v[48:49], v[56:57], v[38:39]
	v_fmac_f64_e32 v[14:15], v[134:135], v[56:57]
	global_load_b128 v[34:37], v136, s[4:5] offset:48 scale_offset
	s_clause 0x3
	global_load_b128 v[38:41], v[30:31], off offset:1024
	global_load_b128 v[42:45], v[30:31], off offset:1056
	;; [unrolled: 1-line block ×4, first 2 shown]
	v_cvt_f64_f32_e32 v[132:133], v64
	v_cvt_f64_f32_e32 v[64:65], v65
	;; [unrolled: 1-line block ×4, first 2 shown]
	s_wait_xcnt 0x4
	v_cvt_f64_f32_e32 v[136:137], v72
	v_cvt_f64_f32_e32 v[72:73], v73
	s_wait_loadcnt 0x11
	v_fmac_f64_e32 v[24:25], v[122:123], v[74:75]
	v_fmac_f64_e32 v[128:129], v[54:55], v[74:75]
	;; [unrolled: 1-line block ×8, first 2 shown]
	v_cvt_f64_f32_e32 v[74:75], v60
	v_cvt_f64_f32_e32 v[60:61], v61
	v_fma_f64 v[24:25], -v[62:63], v[76:77], v[24:25]
	v_fma_f64 v[58:59], -v[58:59], v[76:77], v[128:129]
	v_fmac_f64_e32 v[0:1], v[54:55], v[76:77]
	v_fmac_f64_e32 v[10:11], v[122:123], v[76:77]
	v_fma_f64 v[28:29], -v[66:67], v[76:77], v[28:29]
	v_fmac_f64_e32 v[12:13], v[124:125], v[76:77]
	v_fma_f64 v[62:63], -v[70:71], v[76:77], v[130:131]
	v_fmac_f64_e32 v[14:15], v[126:127], v[76:77]
	v_subrev_nc_u32_e32 v54, s12, v138
	s_wait_loadcnt 0xe
	v_cvt_f64_f32_e32 v[122:123], v86
	v_cvt_f64_f32_e32 v[86:87], v87
	s_wait_loadcnt 0xd
	v_cvt_f64_f32_e32 v[124:125], v90
	v_cvt_f64_f32_e32 v[90:91], v91
	v_lshlrev_b32_e32 v138, 2, v54
	s_wait_loadcnt 0xc
	v_cvt_f64_f32_e32 v[126:127], v94
	v_cvt_f64_f32_e32 v[94:95], v95
	global_load_b128 v[54:57], v138, s[4:5] scale_offset
	v_fmac_f64_e32 v[24:25], v[132:133], v[78:79]
	v_fmac_f64_e32 v[58:59], v[74:75], v[78:79]
	;; [unrolled: 1-line block ×8, first 2 shown]
	v_cvt_f64_f32_e32 v[78:79], v82
	v_cvt_f64_f32_e32 v[82:83], v83
	v_fma_f64 v[24:25], -v[64:65], v[80:81], v[24:25]
	v_fma_f64 v[128:129], -v[60:61], v[80:81], v[58:59]
	v_fmac_f64_e32 v[0:1], v[74:75], v[80:81]
	v_fmac_f64_e32 v[10:11], v[132:133], v[80:81]
	v_fma_f64 v[28:29], -v[68:69], v[80:81], v[28:29]
	v_fmac_f64_e32 v[12:13], v[134:135], v[80:81]
	v_fma_f64 v[130:131], -v[72:73], v[80:81], v[62:63]
	v_fmac_f64_e32 v[14:15], v[136:137], v[80:81]
	global_load_b128 v[58:61], v138, s[4:5] offset:16 scale_offset
	s_clause 0x3
	global_load_b128 v[62:65], v[30:31], off offset:1040
	global_load_b128 v[66:69], v[30:31], off offset:1072
	global_load_b128 v[70:73], v[30:31], off offset:1104
	global_load_b128 v[74:77], v[30:31], off offset:1136
	v_cvt_f64_f32_e32 v[132:133], v88
	v_cvt_f64_f32_e32 v[88:89], v89
	v_cvt_f64_f32_e32 v[134:135], v92
	v_cvt_f64_f32_e32 v[92:93], v93
	v_cvt_f64_f32_e32 v[136:137], v96
	v_cvt_f64_f32_e32 v[96:97], v97
	s_wait_loadcnt 0x11
	v_fmac_f64_e32 v[128:129], v[78:79], v[98:99]
	v_fmac_f64_e32 v[0:1], v[82:83], v[98:99]
	;; [unrolled: 1-line block ×8, first 2 shown]
	v_cvt_f64_f32_e32 v[98:99], v84
	v_cvt_f64_f32_e32 v[84:85], v85
	v_fma_f64 v[82:83], -v[82:83], v[100:101], v[128:129]
	v_fmac_f64_e32 v[0:1], v[78:79], v[100:101]
	v_fma_f64 v[24:25], -v[86:87], v[100:101], v[24:25]
	v_fmac_f64_e32 v[10:11], v[122:123], v[100:101]
	;; [unrolled: 2-line block ×4, first 2 shown]
	global_load_b128 v[78:81], v138, s[4:5] offset:32 scale_offset
	s_wait_loadcnt 0xf
	v_cvt_f64_f32_e32 v[122:123], v110
	v_cvt_f64_f32_e32 v[110:111], v111
	s_wait_loadcnt 0xe
	v_cvt_f64_f32_e32 v[124:125], v114
	v_cvt_f64_f32_e32 v[114:115], v115
	;; [unrolled: 3-line block ×3, first 2 shown]
	v_fmac_f64_e32 v[82:83], v[98:99], v[102:103]
	v_fmac_f64_e32 v[0:1], v[84:85], v[102:103]
	;; [unrolled: 1-line block ×8, first 2 shown]
	v_cvt_f64_f32_e32 v[102:103], v106
	v_cvt_f64_f32_e32 v[106:107], v107
	v_fma_f64 v[128:129], -v[84:85], v[104:105], v[82:83]
	v_fmac_f64_e32 v[0:1], v[98:99], v[104:105]
	v_fma_f64 v[24:25], -v[88:89], v[104:105], v[24:25]
	v_fmac_f64_e32 v[10:11], v[132:133], v[104:105]
	;; [unrolled: 2-line block ×4, first 2 shown]
	global_load_b128 v[82:85], v138, s[4:5] offset:48 scale_offset
	s_clause 0x3
	global_load_b128 v[86:89], v[30:31], off offset:1568
	global_load_b128 v[90:93], v[30:31], off offset:1536
	;; [unrolled: 1-line block ×4, first 2 shown]
	v_cvt_f64_f32_e32 v[104:105], v108
	v_cvt_f64_f32_e32 v[108:109], v109
	;; [unrolled: 1-line block ×8, first 2 shown]
	s_wait_loadcnt 0x11
	v_fmac_f64_e32 v[128:129], v[102:103], v[20:21]
	v_fmac_f64_e32 v[0:1], v[106:107], v[20:21]
	v_fmac_f64_e32 v[24:25], v[122:123], v[20:21]
	v_fmac_f64_e32 v[10:11], v[110:111], v[20:21]
	v_fmac_f64_e32 v[28:29], v[124:125], v[20:21]
	v_fmac_f64_e32 v[12:13], v[114:115], v[20:21]
	v_fmac_f64_e32 v[130:131], v[126:127], v[20:21]
	v_fmac_f64_e32 v[14:15], v[118:119], v[20:21]
	v_subrev_nc_u32_e32 v20, s12, v139
	s_wait_xcnt 0x4
	s_delay_alu instid0(VALU_DEP_1)
	v_dual_fma_f64 v[106:107], -v[106:107], v[22:23], v[128:129] :: v_dual_lshlrev_b32 v138, 2, v20
	v_fmac_f64_e32 v[0:1], v[102:103], v[22:23]
	v_fma_f64 v[24:25], -v[110:111], v[22:23], v[24:25]
	v_fmac_f64_e32 v[10:11], v[122:123], v[22:23]
	v_fma_f64 v[28:29], -v[114:115], v[22:23], v[28:29]
	;; [unrolled: 2-line block ×3, first 2 shown]
	v_fmac_f64_e32 v[14:15], v[126:127], v[22:23]
	global_load_b128 v[20:23], v138, s[4:5] scale_offset
	s_wait_loadcnt 0x10
	v_cvt_f64_f32_e32 v[118:119], v38
	v_cvt_f64_f32_e32 v[38:39], v39
	s_wait_loadcnt 0xf
	v_cvt_f64_f32_e32 v[122:123], v42
	v_cvt_f64_f32_e32 v[42:43], v43
	;; [unrolled: 3-line block ×4, first 2 shown]
	v_cvt_f64_f32_e32 v[130:131], v41
	v_fmac_f64_e32 v[106:107], v[104:105], v[34:35]
	v_fmac_f64_e32 v[0:1], v[108:109], v[34:35]
	;; [unrolled: 1-line block ×8, first 2 shown]
	v_fma_f64 v[128:129], -v[108:109], v[36:37], v[106:107]
	v_fmac_f64_e32 v[0:1], v[104:105], v[36:37]
	v_fma_f64 v[24:25], -v[112:113], v[36:37], v[24:25]
	v_fmac_f64_e32 v[10:11], v[132:133], v[36:37]
	;; [unrolled: 2-line block ×4, first 2 shown]
	global_load_b128 v[34:37], v138, s[4:5] offset:16 scale_offset
	s_clause 0x3
	global_load_b128 v[102:105], v[30:31], off offset:1584
	global_load_b128 v[106:109], v[30:31], off offset:1552
	;; [unrolled: 1-line block ×4, first 2 shown]
	v_cvt_f64_f32_e32 v[132:133], v44
	v_cvt_f64_f32_e32 v[44:45], v45
	;; [unrolled: 1-line block ×6, first 2 shown]
	s_wait_xcnt 0x0
	v_add_nc_u64_e32 v[30:31], 0x800, v[30:31]
	s_wait_loadcnt 0x11
	v_fmac_f64_e32 v[128:129], v[118:119], v[54:55]
	v_fmac_f64_e32 v[0:1], v[38:39], v[54:55]
	;; [unrolled: 1-line block ×8, first 2 shown]
	v_cvt_f64_f32_e32 v[54:55], v40
	v_fma_f64 v[128:129], -v[38:39], v[56:57], v[128:129]
	v_fmac_f64_e32 v[0:1], v[118:119], v[56:57]
	v_fma_f64 v[24:25], -v[42:43], v[56:57], v[24:25]
	v_fmac_f64_e32 v[10:11], v[122:123], v[56:57]
	;; [unrolled: 2-line block ×4, first 2 shown]
	global_load_b128 v[38:41], v138, s[4:5] offset:32 scale_offset
	s_wait_loadcnt 0x10
	v_cvt_f64_f32_e32 v[46:47], v62
	v_cvt_f64_f32_e32 v[50:51], v63
	s_wait_loadcnt 0xf
	v_cvt_f64_f32_e32 v[56:57], v66
	s_wait_loadcnt 0xe
	v_cvt_f64_f32_e32 v[62:63], v70
	v_fmac_f64_e32 v[128:129], v[54:55], v[58:59]
	v_fmac_f64_e32 v[0:1], v[130:131], v[58:59]
	;; [unrolled: 1-line block ×8, first 2 shown]
	v_cvt_f64_f32_e32 v[58:59], v67
	v_cvt_f64_f32_e32 v[66:67], v71
	s_wait_loadcnt 0xd
	v_cvt_f64_f32_e32 v[70:71], v74
	v_cvt_f64_f32_e32 v[74:75], v75
	v_fma_f64 v[118:119], -v[130:131], v[60:61], v[128:129]
	v_fmac_f64_e32 v[0:1], v[54:55], v[60:61]
	v_fma_f64 v[24:25], -v[44:45], v[60:61], v[24:25]
	v_fmac_f64_e32 v[10:11], v[132:133], v[60:61]
	;; [unrolled: 2-line block ×4, first 2 shown]
	global_load_b128 v[42:45], v138, s[4:5] offset:48 scale_offset
	v_cvt_f64_f32_e32 v[52:53], v64
	v_cvt_f64_f32_e32 v[54:55], v65
	;; [unrolled: 1-line block ×6, first 2 shown]
	s_wait_loadcnt 0xd
	v_fmac_f64_e32 v[118:119], v[46:47], v[78:79]
	v_fmac_f64_e32 v[0:1], v[50:51], v[78:79]
	;; [unrolled: 1-line block ×8, first 2 shown]
	v_cvt_f64_f32_e32 v[78:79], v76
	v_cvt_f64_f32_e32 v[76:77], v77
	v_fma_f64 v[50:51], -v[50:51], v[80:81], v[118:119]
	v_fmac_f64_e32 v[0:1], v[46:47], v[80:81]
	v_fma_f64 v[24:25], -v[58:59], v[80:81], v[24:25]
	v_fmac_f64_e32 v[10:11], v[56:57], v[80:81]
	;; [unrolled: 2-line block ×4, first 2 shown]
	s_wait_loadcnt 0xa
	v_cvt_f64_f32_e32 v[48:49], v90
	v_cvt_f64_f32_e32 v[56:57], v91
	;; [unrolled: 1-line block ×4, first 2 shown]
	s_wait_loadcnt 0x9
	v_cvt_f64_f32_e32 v[66:67], v94
	v_cvt_f64_f32_e32 v[70:71], v95
	s_wait_loadcnt 0x8
	v_cvt_f64_f32_e32 v[74:75], v98
	v_cvt_f64_f32_e32 v[80:81], v99
	v_fmac_f64_e32 v[50:51], v[52:53], v[82:83]
	v_fmac_f64_e32 v[0:1], v[54:55], v[82:83]
	;; [unrolled: 1-line block ×8, first 2 shown]
	v_fma_f64 v[50:51], -v[54:55], v[84:85], v[50:51]
	v_fmac_f64_e32 v[0:1], v[52:53], v[84:85]
	v_fma_f64 v[24:25], -v[64:65], v[84:85], v[24:25]
	v_fmac_f64_e32 v[10:11], v[60:61], v[84:85]
	v_fma_f64 v[28:29], -v[72:73], v[84:85], v[28:29]
	v_fmac_f64_e32 v[12:13], v[68:69], v[84:85]
	v_fma_f64 v[46:47], -v[76:77], v[84:85], v[46:47]
	v_fmac_f64_e32 v[14:15], v[78:79], v[84:85]
	v_cvt_f64_f32_e32 v[52:53], v93
	v_cvt_f64_f32_e32 v[54:55], v88
	;; [unrolled: 1-line block ×7, first 2 shown]
	s_wait_loadcnt 0x7
	v_fmac_f64_e32 v[50:51], v[48:49], v[20:21]
	v_fmac_f64_e32 v[0:1], v[56:57], v[20:21]
	;; [unrolled: 1-line block ×8, first 2 shown]
	v_cvt_f64_f32_e32 v[20:21], v92
	v_fma_f64 v[50:51], -v[56:57], v[22:23], v[50:51]
	v_fmac_f64_e32 v[0:1], v[48:49], v[22:23]
	v_fma_f64 v[24:25], -v[62:63], v[22:23], v[24:25]
	v_fmac_f64_e32 v[10:11], v[58:59], v[22:23]
	;; [unrolled: 2-line block ×4, first 2 shown]
	s_wait_loadcnt 0x4
	v_cvt_f64_f32_e32 v[22:23], v106
	v_cvt_f64_f32_e32 v[48:49], v102
	;; [unrolled: 1-line block ×3, first 2 shown]
	s_wait_loadcnt 0x3
	v_cvt_f64_f32_e32 v[58:59], v110
	v_cvt_f64_f32_e32 v[62:63], v111
	s_wait_loadcnt 0x2
	v_cvt_f64_f32_e32 v[66:67], v114
	v_cvt_f64_f32_e32 v[70:71], v115
	v_fmac_f64_e32 v[50:51], v[20:21], v[34:35]
	v_fmac_f64_e32 v[0:1], v[52:53], v[34:35]
	;; [unrolled: 1-line block ×8, first 2 shown]
	v_cvt_f64_f32_e32 v[34:35], v107
	v_fma_f64 v[50:51], -v[52:53], v[36:37], v[50:51]
	v_fmac_f64_e32 v[0:1], v[20:21], v[36:37]
	v_fma_f64 v[20:21], -v[60:61], v[36:37], v[24:25]
	v_fmac_f64_e32 v[10:11], v[54:55], v[36:37]
	;; [unrolled: 2-line block ×4, first 2 shown]
	v_cvt_f64_f32_e32 v[36:37], v108
	v_cvt_f64_f32_e32 v[46:47], v104
	;; [unrolled: 1-line block ×7, first 2 shown]
	s_wait_loadcnt 0x1
	v_fmac_f64_e32 v[50:51], v[22:23], v[38:39]
	v_fmac_f64_e32 v[0:1], v[34:35], v[38:39]
	;; [unrolled: 1-line block ×8, first 2 shown]
	v_cvt_f64_f32_e32 v[38:39], v109
	v_fma_f64 v[34:35], -v[34:35], v[40:41], v[50:51]
	v_fmac_f64_e32 v[0:1], v[22:23], v[40:41]
	v_fma_f64 v[20:21], -v[56:57], v[40:41], v[20:21]
	v_fmac_f64_e32 v[10:11], v[48:49], v[40:41]
	v_fma_f64 v[48:49], -v[62:63], v[40:41], v[24:25]
	v_fmac_f64_e32 v[12:13], v[58:59], v[40:41]
	v_fma_f64 v[50:51], -v[70:71], v[40:41], v[28:29]
	v_fmac_f64_e32 v[14:15], v[66:67], v[40:41]
	s_wait_loadcnt 0x0
	v_fmac_f64_e32 v[34:35], v[36:37], v[42:43]
	v_fmac_f64_e32 v[0:1], v[38:39], v[42:43]
	;; [unrolled: 1-line block ×8, first 2 shown]
	v_fma_f64 v[22:23], -v[38:39], v[44:45], v[34:35]
	v_fmac_f64_e32 v[0:1], v[36:37], v[44:45]
	v_fma_f64 v[24:25], -v[52:53], v[44:45], v[20:21]
	v_fmac_f64_e32 v[10:11], v[46:47], v[44:45]
	;; [unrolled: 2-line block ×4, first 2 shown]
	s_and_not1_b32 exec_lo, exec_lo, s7
	s_cbranch_execnz .LBB165_19
; %bb.20:
	s_or_b32 exec_lo, exec_lo, s7
.LBB165_21:
	s_delay_alu instid0(SALU_CYCLE_1)
	s_or_b32 exec_lo, exec_lo, s6
.LBB165_22:
	s_delay_alu instid0(SALU_CYCLE_1)
	s_or_b32 exec_lo, exec_lo, s3
	s_cbranch_execz .LBB165_24
	s_branch .LBB165_35
.LBB165_23:
                                        ; implicit-def: $vgpr0_vgpr1
                                        ; implicit-def: $vgpr22_vgpr23
                                        ; implicit-def: $vgpr10_vgpr11
                                        ; implicit-def: $vgpr24_vgpr25
                                        ; implicit-def: $vgpr12_vgpr13
                                        ; implicit-def: $vgpr28_vgpr29
                                        ; implicit-def: $vgpr14_vgpr15
                                        ; implicit-def: $vgpr20_vgpr21
.LBB165_24:
	v_mov_b64_e32 v[0:1], 0
	v_mov_b64_e32 v[22:23], 0
	;; [unrolled: 1-line block ×8, first 2 shown]
	s_and_saveexec_b32 s3, s2
	s_cbranch_execz .LBB165_34
; %bb.25:
	v_add_nc_u32_e32 v0, v32, v27
	v_not_b32_e32 v1, v32
	v_mov_b64_e32 v[20:21], 0
	v_mov_b64_e32 v[14:15], 0
	;; [unrolled: 1-line block ×3, first 2 shown]
	v_subrev_nc_u32_e32 v0, s12, v0
	v_mov_b64_e32 v[12:13], 0
	v_mov_b64_e32 v[24:25], 0
	;; [unrolled: 1-line block ×4, first 2 shown]
	v_add_max_i32_e64 v0, v0, 4, v17
	s_mov_b32 s2, exec_lo
	s_delay_alu instid0(VALU_DEP_1) | instskip(NEXT) | instid1(VALU_DEP_1)
	v_add3_u32 v0, s12, v0, v1
	v_sub_nc_u32_e32 v30, v0, v27
	v_mov_b64_e32 v[0:1], 0
	s_delay_alu instid0(VALU_DEP_2) | instskip(NEXT) | instid1(VALU_DEP_1)
	v_and_b32_e32 v31, 12, v30
	v_cmpx_ne_u32_e32 12, v31
	s_cbranch_execz .LBB165_29
; %bb.26:
	v_lshrrev_b32_e32 v0, 2, v30
	v_mov_b64_e32 v[22:23], 0
	v_mov_b64_e32 v[10:11], 0
	;; [unrolled: 1-line block ×4, first 2 shown]
	v_add_nc_u32_e32 v12, 1, v0
	v_mov_b64_e32 v[0:1], 0
	v_mov_b64_e32 v[14:15], 0
	;; [unrolled: 1-line block ×3, first 2 shown]
	s_mov_b32 s6, 0
	v_and_b32_e32 v31, 3, v12
	v_mov_b64_e32 v[12:13], 0
	s_delay_alu instid0(VALU_DEP_2)
	v_sub_nc_u32_e32 v31, 0, v31
.LBB165_27:                             ; =>This Inner Loop Header: Depth=1
	global_load_b32 v40, v16, s[8:9] scale_offset
	s_clause 0x1
	global_load_b128 v[32:35], v[18:19], off
	global_load_b128 v[36:39], v[18:19], off offset:16
	v_add_co_u32 v31, s7, v31, 1
	s_or_b32 s6, s7, s6
	s_wait_xcnt 0x2
	v_add_nc_u32_e32 v16, 4, v16
	s_wait_loadcnt 0x2
	v_subrev_nc_u32_e32 v40, s12, v40
	s_wait_loadcnt 0x1
	v_cvt_f64_f32_e32 v[82:83], v34
	v_cvt_f64_f32_e32 v[34:35], v35
	s_wait_loadcnt 0x0
	v_cvt_f64_f32_e32 v[84:85], v36
	v_cvt_f64_f32_e32 v[36:37], v37
	v_lshlrev_b32_e32 v80, 2, v40
	s_wait_kmcnt 0x0
	s_clause 0x1
	global_load_b128 v[40:43], v80, s[4:5] scale_offset
	global_load_b128 v[44:47], v80, s[4:5] offset:16 scale_offset
	s_clause 0x3
	global_load_b128 v[48:51], v[18:19], off offset:32
	global_load_b128 v[52:55], v[18:19], off offset:48
	;; [unrolled: 1-line block ×4, first 2 shown]
	s_clause 0x1
	global_load_b128 v[64:67], v80, s[4:5] offset:32 scale_offset
	global_load_b128 v[68:71], v80, s[4:5] offset:48 scale_offset
	s_clause 0x1
	global_load_b128 v[72:75], v[18:19], off offset:96
	global_load_b128 v[76:79], v[18:19], off offset:112
	s_wait_xcnt 0x2
	v_cvt_f64_f32_e32 v[80:81], v32
	v_cvt_f64_f32_e32 v[32:33], v33
	;; [unrolled: 1-line block ×4, first 2 shown]
	s_wait_xcnt 0x0
	v_add_nc_u64_e32 v[18:19], 0x200, v[18:19]
	s_wait_loadcnt 0x9
	v_fmac_f64_e32 v[22:23], v[80:81], v[40:41]
	v_fmac_f64_e32 v[0:1], v[32:33], v[40:41]
	v_fmac_f64_e32 v[24:25], v[82:83], v[40:41]
	v_fmac_f64_e32 v[10:11], v[34:35], v[40:41]
	v_fmac_f64_e32 v[28:29], v[84:85], v[40:41]
	v_fmac_f64_e32 v[12:13], v[36:37], v[40:41]
	v_fmac_f64_e32 v[20:21], v[86:87], v[40:41]
	v_fmac_f64_e32 v[14:15], v[38:39], v[40:41]
	s_wait_loadcnt 0x7
	v_cvt_f64_f32_e32 v[40:41], v48
	v_cvt_f64_f32_e32 v[48:49], v49
	;; [unrolled: 1-line block ×4, first 2 shown]
	s_wait_loadcnt 0x6
	v_cvt_f64_f32_e32 v[90:91], v52
	v_cvt_f64_f32_e32 v[52:53], v53
	;; [unrolled: 1-line block ×4, first 2 shown]
	v_fma_f64 v[22:23], -v[32:33], v[42:43], v[22:23]
	v_fmac_f64_e32 v[0:1], v[80:81], v[42:43]
	v_fma_f64 v[24:25], -v[34:35], v[42:43], v[24:25]
	v_fmac_f64_e32 v[10:11], v[82:83], v[42:43]
	;; [unrolled: 2-line block ×4, first 2 shown]
	s_wait_loadcnt 0x5
	v_cvt_f64_f32_e32 v[32:33], v56
	v_cvt_f64_f32_e32 v[34:35], v57
	;; [unrolled: 1-line block ×4, first 2 shown]
	s_wait_loadcnt 0x4
	v_cvt_f64_f32_e32 v[42:43], v60
	v_cvt_f64_f32_e32 v[56:57], v62
	;; [unrolled: 1-line block ×3, first 2 shown]
	s_wait_loadcnt 0x0
	v_cvt_f64_f32_e32 v[62:63], v79
	v_fmac_f64_e32 v[22:23], v[40:41], v[44:45]
	v_fmac_f64_e32 v[0:1], v[48:49], v[44:45]
	;; [unrolled: 1-line block ×8, first 2 shown]
	v_cvt_f64_f32_e32 v[44:45], v61
	v_cvt_f64_f32_e32 v[60:61], v78
	v_fma_f64 v[22:23], -v[48:49], v[46:47], v[22:23]
	v_fmac_f64_e32 v[0:1], v[40:41], v[46:47]
	v_fma_f64 v[24:25], -v[50:51], v[46:47], v[24:25]
	v_fmac_f64_e32 v[10:11], v[88:89], v[46:47]
	;; [unrolled: 2-line block ×4, first 2 shown]
	v_cvt_f64_f32_e32 v[40:41], v72
	v_cvt_f64_f32_e32 v[46:47], v73
	;; [unrolled: 1-line block ×6, first 2 shown]
	v_fmac_f64_e32 v[22:23], v[32:33], v[64:65]
	v_fmac_f64_e32 v[0:1], v[34:35], v[64:65]
	;; [unrolled: 1-line block ×8, first 2 shown]
	v_fma_f64 v[22:23], -v[34:35], v[66:67], v[22:23]
	v_fmac_f64_e32 v[0:1], v[32:33], v[66:67]
	v_fma_f64 v[24:25], -v[38:39], v[66:67], v[24:25]
	v_fmac_f64_e32 v[10:11], v[36:37], v[66:67]
	;; [unrolled: 2-line block ×4, first 2 shown]
	v_fmac_f64_e32 v[22:23], v[40:41], v[68:69]
	v_fmac_f64_e32 v[0:1], v[46:47], v[68:69]
	;; [unrolled: 1-line block ×8, first 2 shown]
	v_fma_f64 v[22:23], -v[46:47], v[70:71], v[22:23]
	v_fmac_f64_e32 v[0:1], v[40:41], v[70:71]
	v_fma_f64 v[24:25], -v[50:51], v[70:71], v[24:25]
	v_fmac_f64_e32 v[10:11], v[48:49], v[70:71]
	;; [unrolled: 2-line block ×4, first 2 shown]
	s_and_not1_b32 exec_lo, exec_lo, s6
	s_cbranch_execnz .LBB165_27
; %bb.28:
	s_or_b32 exec_lo, exec_lo, s6
.LBB165_29:
	s_delay_alu instid0(SALU_CYCLE_1) | instskip(NEXT) | instid1(SALU_CYCLE_1)
	s_or_b32 exec_lo, exec_lo, s2
	s_mov_b32 s2, exec_lo
	v_cmpx_lt_u32_e32 11, v30
	s_cbranch_execz .LBB165_33
; %bb.30:
	s_mov_b32 s6, 0
.LBB165_31:                             ; =>This Inner Loop Header: Depth=1
	s_clause 0x1
	global_load_b32 v38, v16, s[8:9] scale_offset
	global_load_b32 v86, v16, s[8:9] offset:16 scale_offset
	s_clause 0x1
	global_load_b128 v[30:33], v[18:19], off
	global_load_b128 v[34:37], v[18:19], off offset:16
	s_clause 0x1
	global_load_b32 v130, v16, s[8:9] offset:32 scale_offset
	global_load_b32 v134, v16, s[8:9] offset:48 scale_offset
	s_wait_xcnt 0x0
	v_add_nc_u32_e32 v16, 16, v16
	s_delay_alu instid0(VALU_DEP_1)
	v_cmp_ge_i32_e32 vcc_lo, v16, v17
	s_or_b32 s6, vcc_lo, s6
	s_wait_loadcnt 0x5
	v_subrev_nc_u32_e32 v38, s12, v38
	s_wait_loadcnt 0x4
	v_subrev_nc_u32_e32 v86, s12, v86
	s_wait_loadcnt 0x3
	v_cvt_f64_f32_e32 v[104:105], v31
	v_cvt_f64_f32_e32 v[106:107], v32
	v_cvt_f64_f32_e32 v[108:109], v33
	v_lshlrev_b32_e32 v87, 2, v38
	s_wait_kmcnt 0x0
	global_load_b128 v[38:41], v87, s[4:5] scale_offset
	s_clause 0x1
	global_load_b128 v[42:45], v[18:19], off offset:32
	global_load_b128 v[46:49], v[18:19], off offset:48
	global_load_b128 v[50:53], v87, s[4:5] offset:16 scale_offset
	s_clause 0x1
	global_load_b128 v[54:57], v[18:19], off offset:64
	global_load_b128 v[58:61], v[18:19], off offset:80
	global_load_b128 v[62:65], v87, s[4:5] offset:32 scale_offset
	;; [unrolled: 4-line block ×3, first 2 shown]
	s_clause 0x1
	global_load_b128 v[78:81], v[18:19], off offset:512
	global_load_b128 v[82:85], v[18:19], off offset:528
	v_cvt_f64_f32_e32 v[102:103], v30
	s_wait_loadcnt 0xe
	v_cvt_f64_f32_e32 v[110:111], v34
	v_cvt_f64_f32_e32 v[112:113], v35
	;; [unrolled: 1-line block ×4, first 2 shown]
	s_wait_loadcnt 0xb
	v_fmac_f64_e32 v[24:25], v[106:107], v[38:39]
	v_lshlrev_b32_e32 v131, 2, v86
	v_fmac_f64_e32 v[22:23], v[102:103], v[38:39]
	v_fmac_f64_e32 v[0:1], v[104:105], v[38:39]
	;; [unrolled: 1-line block ×7, first 2 shown]
	s_wait_loadcnt 0xa
	v_cvt_f64_f32_e32 v[118:119], v42
	v_cvt_f64_f32_e32 v[120:121], v43
	;; [unrolled: 1-line block ×4, first 2 shown]
	s_wait_loadcnt 0x9
	v_cvt_f64_f32_e32 v[126:127], v46
	v_cvt_f64_f32_e32 v[46:47], v47
	;; [unrolled: 1-line block ×4, first 2 shown]
	v_fma_f64 v[24:25], -v[108:109], v[40:41], v[24:25]
	global_load_b128 v[86:89], v131, s[4:5] scale_offset
	s_clause 0x1
	global_load_b128 v[90:93], v[18:19], off offset:544
	global_load_b128 v[94:97], v[18:19], off offset:560
	global_load_b128 v[30:33], v131, s[4:5] offset:16 scale_offset
	s_clause 0x1
	global_load_b128 v[34:37], v[18:19], off offset:576
	global_load_b128 v[98:101], v[18:19], off offset:592
	v_fma_f64 v[104:105], -v[104:105], v[40:41], v[22:23]
	v_fmac_f64_e32 v[0:1], v[102:103], v[40:41]
	v_fmac_f64_e32 v[10:11], v[106:107], v[40:41]
	v_fma_f64 v[28:29], -v[112:113], v[40:41], v[28:29]
	v_fmac_f64_e32 v[12:13], v[110:111], v[40:41]
	v_fma_f64 v[102:103], -v[116:117], v[40:41], v[20:21]
	v_fmac_f64_e32 v[14:15], v[114:115], v[40:41]
	global_load_b128 v[20:23], v131, s[4:5] offset:32 scale_offset
	s_clause 0x1
	global_load_b128 v[38:41], v[18:19], off offset:608
	global_load_b128 v[42:45], v[18:19], off offset:624
	s_wait_loadcnt 0x10
	v_cvt_f64_f32_e32 v[106:107], v54
	v_cvt_f64_f32_e32 v[108:109], v55
	;; [unrolled: 1-line block ×4, first 2 shown]
	s_wait_loadcnt 0xf
	v_cvt_f64_f32_e32 v[114:115], v58
	v_cvt_f64_f32_e32 v[58:59], v59
	v_cvt_f64_f32_e32 v[116:117], v60
	v_cvt_f64_f32_e32 v[60:61], v61
	v_fmac_f64_e32 v[24:25], v[122:123], v[50:51]
	v_fmac_f64_e32 v[104:105], v[118:119], v[50:51]
	;; [unrolled: 1-line block ×8, first 2 shown]
	v_fma_f64 v[24:25], -v[124:125], v[52:53], v[24:25]
	s_wait_loadcnt 0xd
	v_cvt_f64_f32_e32 v[124:125], v69
	v_fma_f64 v[104:105], -v[120:121], v[52:53], v[104:105]
	v_fmac_f64_e32 v[0:1], v[118:119], v[52:53]
	v_fmac_f64_e32 v[10:11], v[122:123], v[52:53]
	v_fma_f64 v[28:29], -v[46:47], v[52:53], v[28:29]
	v_fmac_f64_e32 v[12:13], v[126:127], v[52:53]
	v_fma_f64 v[102:103], -v[48:49], v[52:53], v[102:103]
	v_fmac_f64_e32 v[14:15], v[128:129], v[52:53]
	global_load_b128 v[46:49], v131, s[4:5] offset:48 scale_offset
	s_clause 0x1
	global_load_b128 v[50:53], v[18:19], off offset:1024
	global_load_b128 v[54:57], v[18:19], off offset:1040
	v_cvt_f64_f32_e32 v[118:119], v66
	v_cvt_f64_f32_e32 v[120:121], v67
	;; [unrolled: 1-line block ×3, first 2 shown]
	s_wait_loadcnt 0xf
	v_cvt_f64_f32_e32 v[126:127], v70
	v_cvt_f64_f32_e32 v[70:71], v71
	;; [unrolled: 1-line block ×4, first 2 shown]
	v_fmac_f64_e32 v[24:25], v[110:111], v[62:63]
	v_fmac_f64_e32 v[104:105], v[106:107], v[62:63]
	v_fmac_f64_e32 v[0:1], v[108:109], v[62:63]
	v_fmac_f64_e32 v[10:11], v[112:113], v[62:63]
	v_fmac_f64_e32 v[28:29], v[114:115], v[62:63]
	v_fmac_f64_e32 v[12:13], v[58:59], v[62:63]
	v_fmac_f64_e32 v[102:103], v[116:117], v[62:63]
	v_fmac_f64_e32 v[14:15], v[60:61], v[62:63]
	v_fma_f64 v[24:25], -v[112:113], v[64:65], v[24:25]
	s_wait_loadcnt 0xd
	v_cvt_f64_f32_e32 v[112:113], v81
	v_fma_f64 v[104:105], -v[108:109], v[64:65], v[104:105]
	v_fmac_f64_e32 v[0:1], v[106:107], v[64:65]
	v_fmac_f64_e32 v[10:11], v[110:111], v[64:65]
	v_fma_f64 v[28:29], -v[58:59], v[64:65], v[28:29]
	v_fmac_f64_e32 v[12:13], v[114:115], v[64:65]
	v_fma_f64 v[102:103], -v[60:61], v[64:65], v[102:103]
	v_fmac_f64_e32 v[14:15], v[116:117], v[64:65]
	v_subrev_nc_u32_e32 v58, s12, v130
	v_cvt_f64_f32_e32 v[106:107], v78
	v_cvt_f64_f32_e32 v[108:109], v79
	v_cvt_f64_f32_e32 v[110:111], v80
	s_wait_loadcnt 0xc
	v_cvt_f64_f32_e32 v[114:115], v82
	v_lshlrev_b32_e32 v130, 2, v58
	v_cvt_f64_f32_e32 v[82:83], v83
	v_cvt_f64_f32_e32 v[116:117], v84
	v_cvt_f64_f32_e32 v[84:85], v85
	global_load_b128 v[58:61], v130, s[4:5] scale_offset
	s_clause 0x1
	global_load_b128 v[62:65], v[18:19], off offset:1056
	global_load_b128 v[66:69], v[18:19], off offset:1072
	v_fmac_f64_e32 v[24:25], v[122:123], v[74:75]
	v_fmac_f64_e32 v[104:105], v[118:119], v[74:75]
	;; [unrolled: 1-line block ×8, first 2 shown]
	v_fma_f64 v[24:25], -v[124:125], v[76:77], v[24:25]
	v_fma_f64 v[104:105], -v[120:121], v[76:77], v[104:105]
	v_fmac_f64_e32 v[0:1], v[118:119], v[76:77]
	v_fmac_f64_e32 v[10:11], v[122:123], v[76:77]
	v_fma_f64 v[28:29], -v[70:71], v[76:77], v[28:29]
	v_fmac_f64_e32 v[12:13], v[126:127], v[76:77]
	v_fma_f64 v[102:103], -v[72:73], v[76:77], v[102:103]
	v_fmac_f64_e32 v[14:15], v[128:129], v[76:77]
	global_load_b128 v[70:73], v130, s[4:5] offset:16 scale_offset
	s_clause 0x1
	global_load_b128 v[74:77], v[18:19], off offset:1088
	global_load_b128 v[78:81], v[18:19], off offset:1104
	s_wait_loadcnt 0x11
	v_fmac_f64_e32 v[104:105], v[106:107], v[86:87]
	v_fmac_f64_e32 v[0:1], v[108:109], v[86:87]
	;; [unrolled: 1-line block ×8, first 2 shown]
	s_wait_loadcnt 0x10
	v_cvt_f64_f32_e32 v[118:119], v90
	v_cvt_f64_f32_e32 v[90:91], v91
	;; [unrolled: 1-line block ×4, first 2 shown]
	s_wait_loadcnt 0xf
	v_cvt_f64_f32_e32 v[122:123], v94
	v_cvt_f64_f32_e32 v[94:95], v95
	;; [unrolled: 1-line block ×4, first 2 shown]
	s_wait_loadcnt 0x9
	v_cvt_f64_f32_e32 v[126:127], v42
	v_cvt_f64_f32_e32 v[128:129], v43
	v_cvt_f64_f32_e32 v[132:133], v45
	v_fma_f64 v[104:105], -v[108:109], v[88:89], v[104:105]
	v_fmac_f64_e32 v[0:1], v[106:107], v[88:89]
	v_fma_f64 v[24:25], -v[112:113], v[88:89], v[24:25]
	v_fmac_f64_e32 v[10:11], v[110:111], v[88:89]
	;; [unrolled: 2-line block ×4, first 2 shown]
	global_load_b128 v[82:85], v130, s[4:5] offset:32 scale_offset
	v_cvt_f64_f32_e32 v[108:109], v34
	v_cvt_f64_f32_e32 v[110:111], v35
	;; [unrolled: 1-line block ×8, first 2 shown]
	v_fmac_f64_e32 v[104:105], v[118:119], v[30:31]
	v_fmac_f64_e32 v[0:1], v[90:91], v[30:31]
	v_fmac_f64_e32 v[24:25], v[120:121], v[30:31]
	v_fmac_f64_e32 v[10:11], v[92:93], v[30:31]
	v_fmac_f64_e32 v[106:107], v[122:123], v[30:31]
	v_fmac_f64_e32 v[12:13], v[94:95], v[30:31]
	v_fmac_f64_e32 v[102:103], v[124:125], v[30:31]
	v_fmac_f64_e32 v[14:15], v[96:97], v[30:31]
	s_clause 0x1
	global_load_b128 v[28:31], v[18:19], off offset:1120
	global_load_b128 v[86:89], v[18:19], off offset:1136
	v_fma_f64 v[104:105], -v[90:91], v[32:33], v[104:105]
	v_fmac_f64_e32 v[0:1], v[118:119], v[32:33]
	v_fma_f64 v[24:25], -v[92:93], v[32:33], v[24:25]
	v_fmac_f64_e32 v[10:11], v[120:121], v[32:33]
	;; [unrolled: 2-line block ×4, first 2 shown]
	global_load_b128 v[32:35], v130, s[4:5] offset:48 scale_offset
	s_clause 0x1
	global_load_b128 v[90:93], v[18:19], off offset:1536
	global_load_b128 v[94:97], v[18:19], off offset:1552
	v_cvt_f64_f32_e32 v[118:119], v38
	v_cvt_f64_f32_e32 v[120:121], v39
	;; [unrolled: 1-line block ×4, first 2 shown]
	s_wait_xcnt 0x2
	v_cvt_f64_f32_e32 v[130:131], v44
	v_fmac_f64_e32 v[104:105], v[108:109], v[20:21]
	v_fmac_f64_e32 v[0:1], v[110:111], v[20:21]
	;; [unrolled: 1-line block ×8, first 2 shown]
	v_subrev_nc_u32_e32 v20, s12, v134
	s_delay_alu instid0(VALU_DEP_1)
	v_dual_fma_f64 v[104:105], -v[110:111], v[22:23], v[104:105] :: v_dual_lshlrev_b32 v134, 2, v20
	v_fmac_f64_e32 v[0:1], v[108:109], v[22:23]
	v_fma_f64 v[24:25], -v[36:37], v[22:23], v[24:25]
	v_fmac_f64_e32 v[10:11], v[112:113], v[22:23]
	v_fma_f64 v[98:99], -v[98:99], v[22:23], v[106:107]
	;; [unrolled: 2-line block ×3, first 2 shown]
	v_fmac_f64_e32 v[14:15], v[116:117], v[22:23]
	s_clause 0x1
	global_load_b128 v[20:23], v134, s[4:5] offset:16 scale_offset
	global_load_b128 v[36:39], v134, s[4:5] scale_offset
	s_wait_loadcnt 0xf
	v_cvt_f64_f32_e32 v[102:103], v50
	v_cvt_f64_f32_e32 v[106:107], v51
	;; [unrolled: 1-line block ×4, first 2 shown]
	s_wait_loadcnt 0xe
	v_cvt_f64_f32_e32 v[112:113], v54
	v_cvt_f64_f32_e32 v[114:115], v55
	;; [unrolled: 1-line block ×4, first 2 shown]
	v_fmac_f64_e32 v[104:105], v[118:119], v[46:47]
	v_fmac_f64_e32 v[0:1], v[120:121], v[46:47]
	;; [unrolled: 1-line block ×8, first 2 shown]
	s_clause 0x1
	global_load_b128 v[40:43], v[18:19], off offset:1584
	global_load_b128 v[44:47], v[18:19], off offset:1568
	v_fma_f64 v[104:105], -v[120:121], v[48:49], v[104:105]
	v_fmac_f64_e32 v[0:1], v[118:119], v[48:49]
	v_fma_f64 v[24:25], -v[124:125], v[48:49], v[24:25]
	v_fmac_f64_e32 v[10:11], v[122:123], v[48:49]
	;; [unrolled: 2-line block ×4, first 2 shown]
	s_clause 0x1
	global_load_b128 v[48:51], v[18:19], off offset:1616
	global_load_b128 v[52:55], v[18:19], off offset:1600
	s_wait_loadcnt 0x10
	v_cvt_f64_f32_e32 v[118:119], v62
	v_cvt_f64_f32_e32 v[120:121], v63
	;; [unrolled: 1-line block ×4, first 2 shown]
	s_wait_loadcnt 0xf
	v_cvt_f64_f32_e32 v[126:127], v66
	v_cvt_f64_f32_e32 v[128:129], v67
	v_cvt_f64_f32_e32 v[130:131], v68
	v_cvt_f64_f32_e32 v[132:133], v69
	v_fmac_f64_e32 v[104:105], v[102:103], v[58:59]
	v_fmac_f64_e32 v[0:1], v[106:107], v[58:59]
	;; [unrolled: 1-line block ×8, first 2 shown]
	v_fma_f64 v[104:105], -v[106:107], v[60:61], v[104:105]
	v_fmac_f64_e32 v[0:1], v[102:103], v[60:61]
	v_fma_f64 v[24:25], -v[110:111], v[60:61], v[24:25]
	v_fmac_f64_e32 v[10:11], v[108:109], v[60:61]
	v_fma_f64 v[98:99], -v[114:115], v[60:61], v[98:99]
	v_fmac_f64_e32 v[12:13], v[112:113], v[60:61]
	v_fma_f64 v[100:101], -v[56:57], v[60:61], v[100:101]
	v_fmac_f64_e32 v[14:15], v[116:117], v[60:61]
	s_clause 0x1
	global_load_b128 v[56:59], v134, s[4:5] offset:48 scale_offset
	global_load_b128 v[60:63], v134, s[4:5] offset:32 scale_offset
	s_wait_loadcnt 0xf
	v_cvt_f64_f32_e32 v[102:103], v74
	v_cvt_f64_f32_e32 v[74:75], v75
	;; [unrolled: 1-line block ×4, first 2 shown]
	s_wait_loadcnt 0xe
	v_cvt_f64_f32_e32 v[108:109], v78
	v_cvt_f64_f32_e32 v[78:79], v79
	;; [unrolled: 1-line block ×4, first 2 shown]
	v_fmac_f64_e32 v[104:105], v[118:119], v[70:71]
	v_fmac_f64_e32 v[0:1], v[120:121], v[70:71]
	;; [unrolled: 1-line block ×8, first 2 shown]
	s_clause 0x1
	global_load_b128 v[64:67], v[18:19], off offset:1632
	global_load_b128 v[68:71], v[18:19], off offset:1648
	s_wait_xcnt 0x0
	v_add_nc_u64_e32 v[18:19], 0x800, v[18:19]
	v_fma_f64 v[104:105], -v[120:121], v[72:73], v[104:105]
	v_fmac_f64_e32 v[0:1], v[118:119], v[72:73]
	v_fma_f64 v[24:25], -v[124:125], v[72:73], v[24:25]
	v_fmac_f64_e32 v[10:11], v[122:123], v[72:73]
	;; [unrolled: 2-line block ×4, first 2 shown]
	s_wait_loadcnt 0xf
	v_fmac_f64_e32 v[104:105], v[102:103], v[82:83]
	v_fmac_f64_e32 v[0:1], v[74:75], v[82:83]
	;; [unrolled: 1-line block ×8, first 2 shown]
	s_wait_loadcnt 0xe
	v_cvt_f64_f32_e32 v[72:73], v28
	v_cvt_f64_f32_e32 v[28:29], v29
	;; [unrolled: 1-line block ×4, first 2 shown]
	s_wait_loadcnt 0xd
	v_cvt_f64_f32_e32 v[112:113], v86
	v_cvt_f64_f32_e32 v[86:87], v87
	;; [unrolled: 1-line block ×4, first 2 shown]
	v_fma_f64 v[74:75], -v[74:75], v[84:85], v[104:105]
	v_fmac_f64_e32 v[0:1], v[102:103], v[84:85]
	v_fma_f64 v[24:25], -v[76:77], v[84:85], v[24:25]
	v_fmac_f64_e32 v[10:11], v[106:107], v[84:85]
	;; [unrolled: 2-line block ×4, first 2 shown]
	s_wait_loadcnt 0xb
	v_cvt_f64_f32_e32 v[80:81], v91
	v_cvt_f64_f32_e32 v[84:85], v92
	s_wait_loadcnt 0xa
	v_cvt_f64_f32_e32 v[98:99], v96
	v_cvt_f64_f32_e32 v[96:97], v97
	v_fmac_f64_e32 v[74:75], v[72:73], v[32:33]
	v_fmac_f64_e32 v[0:1], v[28:29], v[32:33]
	;; [unrolled: 1-line block ×8, first 2 shown]
	v_cvt_f64_f32_e32 v[32:33], v90
	v_cvt_f64_f32_e32 v[90:91], v93
	;; [unrolled: 1-line block ×4, first 2 shown]
	v_fma_f64 v[28:29], -v[28:29], v[34:35], v[74:75]
	v_fmac_f64_e32 v[0:1], v[72:73], v[34:35]
	v_fma_f64 v[24:25], -v[30:31], v[34:35], v[24:25]
	v_fmac_f64_e32 v[10:11], v[82:83], v[34:35]
	;; [unrolled: 2-line block ×4, first 2 shown]
	s_wait_loadcnt 0x8
	v_fmac_f64_e32 v[28:29], v[32:33], v[36:37]
	v_fmac_f64_e32 v[0:1], v[80:81], v[36:37]
	;; [unrolled: 1-line block ×8, first 2 shown]
	s_wait_loadcnt 0x6
	v_cvt_f64_f32_e32 v[34:35], v44
	v_cvt_f64_f32_e32 v[36:37], v45
	;; [unrolled: 1-line block ×8, first 2 shown]
	v_fma_f64 v[28:29], -v[80:81], v[38:39], v[28:29]
	v_fmac_f64_e32 v[0:1], v[32:33], v[38:39]
	v_fma_f64 v[24:25], -v[90:91], v[38:39], v[24:25]
	v_fmac_f64_e32 v[10:11], v[84:85], v[38:39]
	v_fma_f64 v[30:31], -v[94:95], v[38:39], v[30:31]
	v_fmac_f64_e32 v[12:13], v[92:93], v[38:39]
	v_fma_f64 v[32:33], -v[96:97], v[38:39], v[72:73]
	v_fmac_f64_e32 v[14:15], v[98:99], v[38:39]
	s_wait_loadcnt 0x4
	v_cvt_f64_f32_e32 v[38:39], v53
	v_cvt_f64_f32_e32 v[72:73], v48
	v_cvt_f64_f32_e32 v[48:49], v49
	v_cvt_f64_f32_e32 v[78:79], v50
	v_cvt_f64_f32_e32 v[50:51], v51
	v_fmac_f64_e32 v[28:29], v[34:35], v[20:21]
	v_fmac_f64_e32 v[0:1], v[36:37], v[20:21]
	;; [unrolled: 1-line block ×8, first 2 shown]
	v_cvt_f64_f32_e32 v[20:21], v52
	v_cvt_f64_f32_e32 v[52:53], v54
	;; [unrolled: 1-line block ×3, first 2 shown]
	v_fma_f64 v[28:29], -v[36:37], v[22:23], v[28:29]
	v_fmac_f64_e32 v[0:1], v[34:35], v[22:23]
	v_fma_f64 v[24:25], -v[46:47], v[22:23], v[24:25]
	v_fmac_f64_e32 v[10:11], v[44:45], v[22:23]
	;; [unrolled: 2-line block ×4, first 2 shown]
	s_wait_loadcnt 0x2
	v_fmac_f64_e32 v[28:29], v[20:21], v[60:61]
	v_fmac_f64_e32 v[0:1], v[38:39], v[60:61]
	;; [unrolled: 1-line block ×8, first 2 shown]
	s_wait_loadcnt 0x1
	v_cvt_f64_f32_e32 v[34:35], v64
	v_cvt_f64_f32_e32 v[22:23], v65
	;; [unrolled: 1-line block ×4, first 2 shown]
	s_wait_loadcnt 0x0
	v_cvt_f64_f32_e32 v[42:43], v68
	v_cvt_f64_f32_e32 v[44:45], v69
	;; [unrolled: 1-line block ×4, first 2 shown]
	v_fma_f64 v[28:29], -v[38:39], v[62:63], v[28:29]
	v_fmac_f64_e32 v[0:1], v[20:21], v[62:63]
	v_fma_f64 v[20:21], -v[54:55], v[62:63], v[24:25]
	v_fmac_f64_e32 v[10:11], v[52:53], v[62:63]
	;; [unrolled: 2-line block ×4, first 2 shown]
	v_fmac_f64_e32 v[28:29], v[34:35], v[56:57]
	v_fmac_f64_e32 v[0:1], v[22:23], v[56:57]
	;; [unrolled: 1-line block ×8, first 2 shown]
	v_fma_f64 v[22:23], -v[22:23], v[58:59], v[28:29]
	v_fmac_f64_e32 v[0:1], v[34:35], v[58:59]
	v_fma_f64 v[24:25], -v[40:41], v[58:59], v[20:21]
	v_fmac_f64_e32 v[10:11], v[36:37], v[58:59]
	;; [unrolled: 2-line block ×4, first 2 shown]
	s_and_not1_b32 exec_lo, exec_lo, s6
	s_cbranch_execnz .LBB165_31
; %bb.32:
	s_or_b32 exec_lo, exec_lo, s6
.LBB165_33:
	s_delay_alu instid0(SALU_CYCLE_1)
	s_or_b32 exec_lo, exec_lo, s2
.LBB165_34:
	s_delay_alu instid0(SALU_CYCLE_1)
	s_or_b32 exec_lo, exec_lo, s3
.LBB165_35:
	v_mbcnt_lo_u32_b32 v44, -1, 0
	s_delay_alu instid0(VALU_DEP_1) | instskip(NEXT) | instid1(VALU_DEP_1)
	v_xor_b32_e32 v16, 2, v44
	v_cmp_gt_i32_e32 vcc_lo, 32, v16
	v_cndmask_b32_e32 v16, v44, v16, vcc_lo
	s_delay_alu instid0(VALU_DEP_1)
	v_lshlrev_b32_e32 v30, 2, v16
	ds_bpermute_b32 v16, v30, v22
	ds_bpermute_b32 v17, v30, v23
	;; [unrolled: 1-line block ×16, first 2 shown]
	s_wait_dscnt 0xe
	v_add_f64_e32 v[16:17], v[22:23], v[16:17]
	s_wait_dscnt 0xc
	v_add_f64_e32 v[30:31], v[0:1], v[18:19]
	;; [unrolled: 2-line block ×7, first 2 shown]
	s_wait_dscnt 0x0
	v_dual_add_f64 v[14:15], v[14:15], v[42:43] :: v_dual_bitop2_b32 v20, 1, v44 bitop3:0x14
	s_delay_alu instid0(VALU_DEP_1) | instskip(SKIP_2) | instid1(VALU_DEP_2)
	v_cmp_gt_i32_e32 vcc_lo, 32, v20
	v_cndmask_b32_e32 v20, v44, v20, vcc_lo
	v_cmp_eq_u32_e32 vcc_lo, 3, v27
	v_lshlrev_b32_e32 v35, 2, v20
	ds_bpermute_b32 v20, v35, v16
	ds_bpermute_b32 v21, v35, v17
	;; [unrolled: 1-line block ×16, first 2 shown]
	s_and_b32 exec_lo, exec_lo, vcc_lo
	s_cbranch_execz .LBB165_8
; %bb.36:
	s_wait_dscnt 0x8
	v_add_f64_e32 v[38:39], v[22:23], v[38:39]
	v_add_f64_e32 v[30:31], v[30:31], v[40:41]
	s_wait_dscnt 0x4
	v_add_f64_e32 v[36:37], v[18:19], v[36:37]
	s_wait_dscnt 0x0
	v_add_f64_e32 v[34:35], v[14:15], v[34:35]
	v_add_f64_e32 v[40:41], v[16:17], v[20:21]
	;; [unrolled: 1-line block ×5, first 2 shown]
	v_cmp_eq_f64_e32 vcc_lo, 0, v[2:3]
	v_cmp_eq_f64_e64 s2, 0, v[4:5]
	s_load_b64 s[0:1], s[0:1], 0x60
	v_mul_f64_e64 v[18:19], v[38:39], -v[8:9]
	v_mul_f64_e32 v[20:21], v[6:7], v[38:39]
	v_mul_f64_e64 v[14:15], v[36:37], -v[8:9]
	v_mul_f64_e32 v[16:17], v[6:7], v[36:37]
	;; [unrolled: 2-line block ×3, first 2 shown]
	s_and_b32 s2, vcc_lo, s2
	v_fmac_f64_e32 v[18:19], v[6:7], v[0:1]
	v_fmac_f64_e32 v[20:21], v[8:9], v[0:1]
	v_dual_mul_f64 v[22:23], v[30:31], -v[8:9] :: v_dual_lshlrev_b32 v0, 2, v26
	v_mul_f64_e32 v[24:25], v[6:7], v[30:31]
	v_fmac_f64_e32 v[14:15], v[6:7], v[28:29]
	v_fmac_f64_e32 v[16:17], v[8:9], v[28:29]
	;; [unrolled: 1-line block ×6, first 2 shown]
	s_and_saveexec_b32 s3, s2
	s_delay_alu instid0(SALU_CYCLE_1)
	s_xor_b32 s2, exec_lo, s3
	s_cbranch_execz .LBB165_38
; %bb.37:
	s_wait_kmcnt 0x0
	s_clause 0x3
	global_store_b128 v0, v[22:25], s[0:1] scale_offset
	global_store_b128 v0, v[18:21], s[0:1] offset:16 scale_offset
	global_store_b128 v0, v[14:17], s[0:1] offset:32 scale_offset
	;; [unrolled: 1-line block ×3, first 2 shown]
                                        ; implicit-def: $vgpr4_vgpr5
                                        ; implicit-def: $vgpr22_vgpr23
                                        ; implicit-def: $vgpr0
                                        ; implicit-def: $vgpr18_vgpr19
                                        ; implicit-def: $vgpr14_vgpr15
                                        ; implicit-def: $vgpr10_vgpr11
.LBB165_38:
	s_wait_xcnt 0x0
	s_and_not1_saveexec_b32 s2, s2
	s_cbranch_execz .LBB165_8
; %bb.39:
	s_wait_kmcnt 0x0
	s_clause 0x3
	global_load_b128 v[6:9], v0, s[0:1] scale_offset
	global_load_b128 v[26:29], v0, s[0:1] offset:16 scale_offset
	global_load_b128 v[30:33], v0, s[0:1] offset:32 scale_offset
	;; [unrolled: 1-line block ×3, first 2 shown]
	s_wait_loadcnt 0x3
	v_fmac_f64_e32 v[22:23], v[2:3], v[6:7]
	v_fmac_f64_e32 v[24:25], v[4:5], v[6:7]
	s_wait_loadcnt 0x2
	v_fmac_f64_e32 v[18:19], v[2:3], v[26:27]
	v_fmac_f64_e32 v[20:21], v[4:5], v[26:27]
	s_wait_loadcnt 0x1
	v_fmac_f64_e32 v[14:15], v[2:3], v[30:31]
	v_fmac_f64_e32 v[16:17], v[4:5], v[30:31]
	s_wait_loadcnt 0x0
	v_fmac_f64_e32 v[10:11], v[2:3], v[34:35]
	v_fmac_f64_e32 v[12:13], v[4:5], v[34:35]
	v_fma_f64 v[22:23], -v[4:5], v[8:9], v[22:23]
	v_fmac_f64_e32 v[24:25], v[2:3], v[8:9]
	v_fma_f64 v[18:19], -v[4:5], v[28:29], v[18:19]
	v_fmac_f64_e32 v[20:21], v[2:3], v[28:29]
	;; [unrolled: 2-line block ×4, first 2 shown]
	s_clause 0x3
	global_store_b128 v0, v[22:25], s[0:1] scale_offset
	global_store_b128 v0, v[18:21], s[0:1] offset:16 scale_offset
	global_store_b128 v0, v[14:17], s[0:1] offset:32 scale_offset
	;; [unrolled: 1-line block ×3, first 2 shown]
	s_sendmsg sendmsg(MSG_DEALLOC_VGPRS)
	s_endpgm
	.section	.rodata,"a",@progbits
	.p2align	6, 0x0
	.amdhsa_kernel _ZN9rocsparseL18bsrxmvn_4x4_kernelILj128ELj4E21rocsparse_complex_numIdEiiS1_IfES2_S2_EEvT3_20rocsparse_direction_NS_24const_host_device_scalarIT1_EES4_PKS4_PKT2_SD_SA_PKT4_PKT5_S8_PT6_21rocsparse_index_base_b
		.amdhsa_group_segment_fixed_size 0
		.amdhsa_private_segment_fixed_size 0
		.amdhsa_kernarg_size 112
		.amdhsa_user_sgpr_count 2
		.amdhsa_user_sgpr_dispatch_ptr 0
		.amdhsa_user_sgpr_queue_ptr 0
		.amdhsa_user_sgpr_kernarg_segment_ptr 1
		.amdhsa_user_sgpr_dispatch_id 0
		.amdhsa_user_sgpr_kernarg_preload_length 0
		.amdhsa_user_sgpr_kernarg_preload_offset 0
		.amdhsa_user_sgpr_private_segment_size 0
		.amdhsa_wavefront_size32 1
		.amdhsa_uses_dynamic_stack 0
		.amdhsa_enable_private_segment 0
		.amdhsa_system_sgpr_workgroup_id_x 1
		.amdhsa_system_sgpr_workgroup_id_y 0
		.amdhsa_system_sgpr_workgroup_id_z 0
		.amdhsa_system_sgpr_workgroup_info 0
		.amdhsa_system_vgpr_workitem_id 0
		.amdhsa_next_free_vgpr 140
		.amdhsa_next_free_sgpr 14
		.amdhsa_named_barrier_count 0
		.amdhsa_reserve_vcc 1
		.amdhsa_float_round_mode_32 0
		.amdhsa_float_round_mode_16_64 0
		.amdhsa_float_denorm_mode_32 3
		.amdhsa_float_denorm_mode_16_64 3
		.amdhsa_fp16_overflow 0
		.amdhsa_memory_ordered 1
		.amdhsa_forward_progress 1
		.amdhsa_inst_pref_size 69
		.amdhsa_round_robin_scheduling 0
		.amdhsa_exception_fp_ieee_invalid_op 0
		.amdhsa_exception_fp_denorm_src 0
		.amdhsa_exception_fp_ieee_div_zero 0
		.amdhsa_exception_fp_ieee_overflow 0
		.amdhsa_exception_fp_ieee_underflow 0
		.amdhsa_exception_fp_ieee_inexact 0
		.amdhsa_exception_int_div_zero 0
	.end_amdhsa_kernel
	.section	.text._ZN9rocsparseL18bsrxmvn_4x4_kernelILj128ELj4E21rocsparse_complex_numIdEiiS1_IfES2_S2_EEvT3_20rocsparse_direction_NS_24const_host_device_scalarIT1_EES4_PKS4_PKT2_SD_SA_PKT4_PKT5_S8_PT6_21rocsparse_index_base_b,"axG",@progbits,_ZN9rocsparseL18bsrxmvn_4x4_kernelILj128ELj4E21rocsparse_complex_numIdEiiS1_IfES2_S2_EEvT3_20rocsparse_direction_NS_24const_host_device_scalarIT1_EES4_PKS4_PKT2_SD_SA_PKT4_PKT5_S8_PT6_21rocsparse_index_base_b,comdat
.Lfunc_end165:
	.size	_ZN9rocsparseL18bsrxmvn_4x4_kernelILj128ELj4E21rocsparse_complex_numIdEiiS1_IfES2_S2_EEvT3_20rocsparse_direction_NS_24const_host_device_scalarIT1_EES4_PKS4_PKT2_SD_SA_PKT4_PKT5_S8_PT6_21rocsparse_index_base_b, .Lfunc_end165-_ZN9rocsparseL18bsrxmvn_4x4_kernelILj128ELj4E21rocsparse_complex_numIdEiiS1_IfES2_S2_EEvT3_20rocsparse_direction_NS_24const_host_device_scalarIT1_EES4_PKS4_PKT2_SD_SA_PKT4_PKT5_S8_PT6_21rocsparse_index_base_b
                                        ; -- End function
	.set _ZN9rocsparseL18bsrxmvn_4x4_kernelILj128ELj4E21rocsparse_complex_numIdEiiS1_IfES2_S2_EEvT3_20rocsparse_direction_NS_24const_host_device_scalarIT1_EES4_PKS4_PKT2_SD_SA_PKT4_PKT5_S8_PT6_21rocsparse_index_base_b.num_vgpr, 140
	.set _ZN9rocsparseL18bsrxmvn_4x4_kernelILj128ELj4E21rocsparse_complex_numIdEiiS1_IfES2_S2_EEvT3_20rocsparse_direction_NS_24const_host_device_scalarIT1_EES4_PKS4_PKT2_SD_SA_PKT4_PKT5_S8_PT6_21rocsparse_index_base_b.num_agpr, 0
	.set _ZN9rocsparseL18bsrxmvn_4x4_kernelILj128ELj4E21rocsparse_complex_numIdEiiS1_IfES2_S2_EEvT3_20rocsparse_direction_NS_24const_host_device_scalarIT1_EES4_PKS4_PKT2_SD_SA_PKT4_PKT5_S8_PT6_21rocsparse_index_base_b.numbered_sgpr, 14
	.set _ZN9rocsparseL18bsrxmvn_4x4_kernelILj128ELj4E21rocsparse_complex_numIdEiiS1_IfES2_S2_EEvT3_20rocsparse_direction_NS_24const_host_device_scalarIT1_EES4_PKS4_PKT2_SD_SA_PKT4_PKT5_S8_PT6_21rocsparse_index_base_b.num_named_barrier, 0
	.set _ZN9rocsparseL18bsrxmvn_4x4_kernelILj128ELj4E21rocsparse_complex_numIdEiiS1_IfES2_S2_EEvT3_20rocsparse_direction_NS_24const_host_device_scalarIT1_EES4_PKS4_PKT2_SD_SA_PKT4_PKT5_S8_PT6_21rocsparse_index_base_b.private_seg_size, 0
	.set _ZN9rocsparseL18bsrxmvn_4x4_kernelILj128ELj4E21rocsparse_complex_numIdEiiS1_IfES2_S2_EEvT3_20rocsparse_direction_NS_24const_host_device_scalarIT1_EES4_PKS4_PKT2_SD_SA_PKT4_PKT5_S8_PT6_21rocsparse_index_base_b.uses_vcc, 1
	.set _ZN9rocsparseL18bsrxmvn_4x4_kernelILj128ELj4E21rocsparse_complex_numIdEiiS1_IfES2_S2_EEvT3_20rocsparse_direction_NS_24const_host_device_scalarIT1_EES4_PKS4_PKT2_SD_SA_PKT4_PKT5_S8_PT6_21rocsparse_index_base_b.uses_flat_scratch, 0
	.set _ZN9rocsparseL18bsrxmvn_4x4_kernelILj128ELj4E21rocsparse_complex_numIdEiiS1_IfES2_S2_EEvT3_20rocsparse_direction_NS_24const_host_device_scalarIT1_EES4_PKS4_PKT2_SD_SA_PKT4_PKT5_S8_PT6_21rocsparse_index_base_b.has_dyn_sized_stack, 0
	.set _ZN9rocsparseL18bsrxmvn_4x4_kernelILj128ELj4E21rocsparse_complex_numIdEiiS1_IfES2_S2_EEvT3_20rocsparse_direction_NS_24const_host_device_scalarIT1_EES4_PKS4_PKT2_SD_SA_PKT4_PKT5_S8_PT6_21rocsparse_index_base_b.has_recursion, 0
	.set _ZN9rocsparseL18bsrxmvn_4x4_kernelILj128ELj4E21rocsparse_complex_numIdEiiS1_IfES2_S2_EEvT3_20rocsparse_direction_NS_24const_host_device_scalarIT1_EES4_PKS4_PKT2_SD_SA_PKT4_PKT5_S8_PT6_21rocsparse_index_base_b.has_indirect_call, 0
	.section	.AMDGPU.csdata,"",@progbits
; Kernel info:
; codeLenInByte = 8740
; TotalNumSgprs: 16
; NumVgprs: 140
; ScratchSize: 0
; MemoryBound: 0
; FloatMode: 240
; IeeeMode: 1
; LDSByteSize: 0 bytes/workgroup (compile time only)
; SGPRBlocks: 0
; VGPRBlocks: 8
; NumSGPRsForWavesPerEU: 16
; NumVGPRsForWavesPerEU: 140
; NamedBarCnt: 0
; Occupancy: 7
; WaveLimiterHint : 1
; COMPUTE_PGM_RSRC2:SCRATCH_EN: 0
; COMPUTE_PGM_RSRC2:USER_SGPR: 2
; COMPUTE_PGM_RSRC2:TRAP_HANDLER: 0
; COMPUTE_PGM_RSRC2:TGID_X_EN: 1
; COMPUTE_PGM_RSRC2:TGID_Y_EN: 0
; COMPUTE_PGM_RSRC2:TGID_Z_EN: 0
; COMPUTE_PGM_RSRC2:TIDIG_COMP_CNT: 0
	.section	.text._ZN9rocsparseL18bsrxmvn_4x4_kernelILj128ELj8E21rocsparse_complex_numIdEiiS1_IfES2_S2_EEvT3_20rocsparse_direction_NS_24const_host_device_scalarIT1_EES4_PKS4_PKT2_SD_SA_PKT4_PKT5_S8_PT6_21rocsparse_index_base_b,"axG",@progbits,_ZN9rocsparseL18bsrxmvn_4x4_kernelILj128ELj8E21rocsparse_complex_numIdEiiS1_IfES2_S2_EEvT3_20rocsparse_direction_NS_24const_host_device_scalarIT1_EES4_PKS4_PKT2_SD_SA_PKT4_PKT5_S8_PT6_21rocsparse_index_base_b,comdat
	.globl	_ZN9rocsparseL18bsrxmvn_4x4_kernelILj128ELj8E21rocsparse_complex_numIdEiiS1_IfES2_S2_EEvT3_20rocsparse_direction_NS_24const_host_device_scalarIT1_EES4_PKS4_PKT2_SD_SA_PKT4_PKT5_S8_PT6_21rocsparse_index_base_b ; -- Begin function _ZN9rocsparseL18bsrxmvn_4x4_kernelILj128ELj8E21rocsparse_complex_numIdEiiS1_IfES2_S2_EEvT3_20rocsparse_direction_NS_24const_host_device_scalarIT1_EES4_PKS4_PKT2_SD_SA_PKT4_PKT5_S8_PT6_21rocsparse_index_base_b
	.p2align	8
	.type	_ZN9rocsparseL18bsrxmvn_4x4_kernelILj128ELj8E21rocsparse_complex_numIdEiiS1_IfES2_S2_EEvT3_20rocsparse_direction_NS_24const_host_device_scalarIT1_EES4_PKS4_PKT2_SD_SA_PKT4_PKT5_S8_PT6_21rocsparse_index_base_b,@function
_ZN9rocsparseL18bsrxmvn_4x4_kernelILj128ELj8E21rocsparse_complex_numIdEiiS1_IfES2_S2_EEvT3_20rocsparse_direction_NS_24const_host_device_scalarIT1_EES4_PKS4_PKT2_SD_SA_PKT4_PKT5_S8_PT6_21rocsparse_index_base_b: ; @_ZN9rocsparseL18bsrxmvn_4x4_kernelILj128ELj8E21rocsparse_complex_numIdEiiS1_IfES2_S2_EEvT3_20rocsparse_direction_NS_24const_host_device_scalarIT1_EES4_PKS4_PKT2_SD_SA_PKT4_PKT5_S8_PT6_21rocsparse_index_base_b
; %bb.0:
	s_clause 0x1
	s_load_b64 s[12:13], s[0:1], 0x68
	s_load_b64 s[2:3], s[0:1], 0x8
	v_mov_b32_e32 v1, 0
	s_add_nc_u64 s[4:5], s[0:1], 8
	s_load_b64 s[6:7], s[0:1], 0x50
	s_wait_kmcnt 0x0
	s_bitcmp1_b32 s13, 0
	s_cselect_b32 s3, s5, s3
	s_cselect_b32 s2, s4, s2
	flat_load_b128 v[6:9], v1, s[2:3]
	s_wait_xcnt 0x0
	s_add_nc_u64 s[2:3], s[0:1], 0x50
	s_delay_alu instid0(SALU_CYCLE_1)
	s_cselect_b32 s3, s3, s7
	s_cselect_b32 s2, s2, s6
	flat_load_b128 v[2:5], v1, s[2:3]
	s_wait_loadcnt_dscnt 0x101
	v_cmp_eq_f64_e32 vcc_lo, 0, v[6:7]
	s_wait_xcnt 0x0
	v_cmp_eq_f64_e64 s2, 0, v[8:9]
	s_and_b32 s4, vcc_lo, s2
	s_mov_b32 s2, -1
	s_and_saveexec_b32 s3, s4
	s_cbranch_execz .LBB166_2
; %bb.1:
	s_wait_loadcnt_dscnt 0x0
	v_cmp_neq_f64_e32 vcc_lo, 1.0, v[2:3]
	v_cmp_neq_f64_e64 s2, 0, v[4:5]
	s_or_b32 s2, vcc_lo, s2
	s_delay_alu instid0(SALU_CYCLE_1)
	s_or_not1_b32 s2, s2, exec_lo
.LBB166_2:
	s_or_b32 exec_lo, exec_lo, s3
	s_and_saveexec_b32 s3, s2
	s_cbranch_execz .LBB166_8
; %bb.3:
	s_clause 0x1
	s_load_b64 s[4:5], s[0:1], 0x20
	s_load_b64 s[2:3], s[0:1], 0x0
	s_bfe_u32 s6, ttmp6, 0x4000c
	s_and_b32 s7, ttmp6, 15
	s_add_co_i32 s6, s6, 1
	s_getreg_b32 s8, hwreg(HW_REG_IB_STS2, 6, 4)
	s_mul_i32 s6, ttmp9, s6
	v_lshrrev_b32_e32 v1, 3, v0
	s_add_co_i32 s7, s7, s6
	s_cmp_eq_u32 s8, 0
	s_cselect_b32 s6, ttmp9, s7
	s_delay_alu instid0(VALU_DEP_1) | instid1(SALU_CYCLE_1)
	v_lshl_or_b32 v26, s6, 4, v1
	s_mov_b32 s6, 0
	s_wait_kmcnt 0x0
	s_cmp_lg_u64 s[4:5], 0
	s_cbranch_scc0 .LBB166_9
; %bb.4:
	s_load_b32 s6, s[0:1], 0x18
	s_mov_b32 s7, 0
                                        ; implicit-def: $vgpr1
	s_wait_kmcnt 0x0
	v_cmp_gt_i32_e32 vcc_lo, s6, v26
	s_mov_b32 s6, 0
	s_and_saveexec_b32 s8, vcc_lo
	s_delay_alu instid0(SALU_CYCLE_1)
	s_xor_b32 s8, exec_lo, s8
	s_cbranch_execz .LBB166_6
; %bb.5:
	global_load_b32 v1, v26, s[4:5] scale_offset
	s_mov_b32 s6, exec_lo
	s_wait_loadcnt 0x0
	v_subrev_nc_u32_e32 v1, s12, v1
.LBB166_6:
	s_or_b32 exec_lo, exec_lo, s8
	s_delay_alu instid0(SALU_CYCLE_1)
	s_and_b32 vcc_lo, exec_lo, s7
	s_cbranch_vccz .LBB166_10
.LBB166_7:
	v_cmp_gt_i32_e32 vcc_lo, s2, v26
	s_and_not1_b32 s2, s6, exec_lo
	s_and_b32 s4, vcc_lo, exec_lo
	s_delay_alu instid0(SALU_CYCLE_1) | instskip(NEXT) | instid1(SALU_CYCLE_1)
	s_or_b32 s6, s2, s4
	s_and_b32 exec_lo, exec_lo, s6
	s_cbranch_execnz .LBB166_11
.LBB166_8:
	s_sendmsg sendmsg(MSG_DEALLOC_VGPRS)
	s_endpgm
.LBB166_9:
                                        ; implicit-def: $vgpr1
	s_cbranch_execnz .LBB166_7
.LBB166_10:
	s_delay_alu instid0(VALU_DEP_1)
	v_mov_b32_e32 v26, v1
	s_and_b32 exec_lo, exec_lo, s6
	s_cbranch_execz .LBB166_8
.LBB166_11:
	s_load_b256 s[4:11], s[0:1], 0x28
	s_wait_kmcnt 0x0
	global_load_b32 v32, v26, s[4:5] scale_offset
	s_cmp_eq_u64 s[6:7], 0
	s_cselect_b32 vcc_lo, -1, 0
	v_ashrrev_i32_e32 v27, 31, v26
	s_cmp_eq_u32 s3, 1
	s_delay_alu instid0(VALU_DEP_1) | instskip(SKIP_1) | instid1(VALU_DEP_2)
	v_lshlrev_b64_e32 v[10:11], 2, v[26:27]
	v_and_b32_e32 v27, 7, v0
	v_add_nc_u64_e32 v[12:13], s[4:5], v[10:11]
	v_add_nc_u64_e32 v[10:11], s[6:7], v[10:11]
	s_wait_xcnt 0x0
	s_load_b64 s[4:5], s[0:1], 0x48
	s_delay_alu instid0(VALU_DEP_2) | instskip(NEXT) | instid1(VALU_DEP_1)
	v_add_nc_u64_e32 v[12:13], 4, v[12:13]
	v_cndmask_b32_e32 v11, v11, v13, vcc_lo
	s_wait_loadcnt 0x0
	v_subrev_nc_u32_e32 v0, s12, v32
	s_delay_alu instid0(VALU_DEP_1) | instskip(SKIP_2) | instid1(VALU_DEP_1)
	v_dual_cndmask_b32 v10, v10, v12, vcc_lo :: v_dual_add_nc_u32 v16, v0, v27
	global_load_b32 v10, v[10:11], off
	v_ashrrev_i32_e32 v17, 31, v16
	v_lshlrev_b64_e32 v[0:1], 7, v[16:17]
	s_delay_alu instid0(VALU_DEP_1) | instskip(SKIP_2) | instid1(VALU_DEP_1)
	v_add_nc_u64_e32 v[18:19], s[10:11], v[0:1]
	s_wait_loadcnt 0x0
	v_subrev_nc_u32_e32 v17, s12, v10
	v_cmp_lt_i32_e64 s2, v16, v17
	s_cbranch_scc1 .LBB166_23
; %bb.12:
	v_mov_b64_e32 v[0:1], 0
	v_mov_b64_e32 v[22:23], 0
	;; [unrolled: 1-line block ×8, first 2 shown]
	s_and_saveexec_b32 s3, s2
	s_cbranch_execz .LBB166_22
; %bb.13:
	v_add_nc_u32_e32 v0, v32, v27
	v_not_b32_e32 v1, v32
	v_mov_b64_e32 v[20:21], 0
	v_mov_b64_e32 v[14:15], 0
	;; [unrolled: 1-line block ×3, first 2 shown]
	v_subrev_nc_u32_e32 v0, s12, v0
	v_mov_b64_e32 v[12:13], 0
	v_mov_b64_e32 v[24:25], 0
	;; [unrolled: 1-line block ×4, first 2 shown]
	v_add_max_i32_e64 v0, v0, 8, v17
	v_mov_b64_e32 v[30:31], v[18:19]
	s_delay_alu instid0(VALU_DEP_2) | instskip(NEXT) | instid1(VALU_DEP_1)
	v_add3_u32 v0, s12, v0, v1
	v_sub_nc_u32_e32 v34, v0, v27
	v_mov_b64_e32 v[0:1], 0
	s_delay_alu instid0(VALU_DEP_2) | instskip(NEXT) | instid1(VALU_DEP_1)
	v_and_b32_e32 v33, 24, v34
	v_cmp_ne_u32_e32 vcc_lo, 24, v33
	v_mov_b32_e32 v33, v16
	s_and_saveexec_b32 s6, vcc_lo
	s_cbranch_execz .LBB166_17
; %bb.14:
	v_dual_mov_b32 v33, v16 :: v_dual_lshrrev_b32 v10, 3, v34
	v_mov_b64_e32 v[0:1], 0
	v_mov_b64_e32 v[22:23], 0
	;; [unrolled: 1-line block ×3, first 2 shown]
	s_delay_alu instid0(VALU_DEP_4)
	v_add_nc_u32_e32 v12, 1, v10
	v_mov_b64_e32 v[10:11], 0
	v_mov_b64_e32 v[28:29], 0
	;; [unrolled: 1-line block ×4, first 2 shown]
	v_and_b32_e32 v30, 3, v12
	v_mov_b64_e32 v[12:13], 0
	s_mov_b32 s7, 0
	s_delay_alu instid0(VALU_DEP_2)
	v_sub_nc_u32_e32 v35, 0, v30
	v_mov_b64_e32 v[30:31], v[18:19]
.LBB166_15:                             ; =>This Inner Loop Header: Depth=1
	global_load_b32 v52, v33, s[8:9] scale_offset
	s_clause 0x3
	global_load_b128 v[36:39], v[30:31], off
	global_load_b128 v[40:43], v[30:31], off offset:32
	global_load_b128 v[44:47], v[30:31], off offset:64
	;; [unrolled: 1-line block ×3, first 2 shown]
	v_add_co_u32 v35, s10, v35, 1
	s_or_b32 s7, s10, s7
	s_wait_xcnt 0x4
	v_add_nc_u32_e32 v33, 8, v33
	s_wait_loadcnt 0x4
	v_subrev_nc_u32_e32 v52, s12, v52
	s_wait_loadcnt 0x2
	v_cvt_f64_f32_e32 v[86:87], v40
	v_cvt_f64_f32_e32 v[40:41], v41
	s_wait_loadcnt 0x1
	v_cvt_f64_f32_e32 v[88:89], v44
	v_lshlrev_b32_e32 v84, 2, v52
	s_wait_kmcnt 0x0
	s_clause 0x1
	global_load_b128 v[52:55], v84, s[4:5] scale_offset
	global_load_b128 v[56:59], v84, s[4:5] offset:16 scale_offset
	s_clause 0x3
	global_load_b128 v[60:63], v[30:31], off offset:16
	global_load_b128 v[64:67], v[30:31], off offset:48
	;; [unrolled: 1-line block ×4, first 2 shown]
	s_clause 0x1
	global_load_b128 v[76:79], v84, s[4:5] offset:32 scale_offset
	global_load_b128 v[80:83], v84, s[4:5] offset:48 scale_offset
	s_wait_xcnt 0x0
	v_cvt_f64_f32_e32 v[84:85], v36
	v_cvt_f64_f32_e32 v[36:37], v37
	;; [unrolled: 1-line block ×3, first 2 shown]
	s_wait_loadcnt 0x8
	v_cvt_f64_f32_e32 v[90:91], v48
	v_cvt_f64_f32_e32 v[48:49], v49
	;; [unrolled: 1-line block ×8, first 2 shown]
	v_add_nc_u64_e32 v[30:31], 0x400, v[30:31]
	s_wait_loadcnt 0x7
	v_fmac_f64_e32 v[22:23], v[84:85], v[52:53]
	v_fmac_f64_e32 v[0:1], v[36:37], v[52:53]
	;; [unrolled: 1-line block ×8, first 2 shown]
	v_cvt_f64_f32_e32 v[52:53], v38
	v_cvt_f64_f32_e32 v[38:39], v39
	v_fma_f64 v[22:23], -v[36:37], v[54:55], v[22:23]
	v_fmac_f64_e32 v[0:1], v[84:85], v[54:55]
	v_fma_f64 v[24:25], -v[40:41], v[54:55], v[24:25]
	v_fmac_f64_e32 v[10:11], v[86:87], v[54:55]
	;; [unrolled: 2-line block ×4, first 2 shown]
	s_wait_loadcnt 0x5
	v_cvt_f64_f32_e32 v[36:37], v60
	v_cvt_f64_f32_e32 v[40:41], v61
	s_wait_loadcnt 0x4
	v_cvt_f64_f32_e32 v[44:45], v64
	v_cvt_f64_f32_e32 v[48:49], v65
	s_wait_loadcnt 0x3
	v_cvt_f64_f32_e32 v[54:55], v68
	s_wait_loadcnt 0x2
	v_cvt_f64_f32_e32 v[60:61], v72
	v_cvt_f64_f32_e32 v[64:65], v73
	v_fmac_f64_e32 v[22:23], v[52:53], v[56:57]
	v_fmac_f64_e32 v[0:1], v[38:39], v[56:57]
	;; [unrolled: 1-line block ×8, first 2 shown]
	v_cvt_f64_f32_e32 v[56:57], v69
	v_fma_f64 v[22:23], -v[38:39], v[58:59], v[22:23]
	v_fmac_f64_e32 v[0:1], v[52:53], v[58:59]
	v_fma_f64 v[24:25], -v[42:43], v[58:59], v[24:25]
	v_fmac_f64_e32 v[10:11], v[92:93], v[58:59]
	;; [unrolled: 2-line block ×4, first 2 shown]
	v_cvt_f64_f32_e32 v[38:39], v62
	v_cvt_f64_f32_e32 v[42:43], v63
	;; [unrolled: 1-line block ×8, first 2 shown]
	s_wait_loadcnt 0x1
	v_fmac_f64_e32 v[22:23], v[36:37], v[76:77]
	v_fmac_f64_e32 v[0:1], v[40:41], v[76:77]
	;; [unrolled: 1-line block ×8, first 2 shown]
	v_fma_f64 v[22:23], -v[40:41], v[78:79], v[22:23]
	v_fmac_f64_e32 v[0:1], v[36:37], v[78:79]
	v_fma_f64 v[24:25], -v[48:49], v[78:79], v[24:25]
	v_fmac_f64_e32 v[10:11], v[44:45], v[78:79]
	;; [unrolled: 2-line block ×4, first 2 shown]
	s_wait_loadcnt 0x0
	v_fmac_f64_e32 v[22:23], v[38:39], v[80:81]
	v_fmac_f64_e32 v[0:1], v[42:43], v[80:81]
	;; [unrolled: 1-line block ×8, first 2 shown]
	v_fma_f64 v[22:23], -v[42:43], v[82:83], v[22:23]
	v_fmac_f64_e32 v[0:1], v[38:39], v[82:83]
	v_fma_f64 v[24:25], -v[50:51], v[82:83], v[24:25]
	v_fmac_f64_e32 v[10:11], v[46:47], v[82:83]
	;; [unrolled: 2-line block ×4, first 2 shown]
	s_and_not1_b32 exec_lo, exec_lo, s7
	s_cbranch_execnz .LBB166_15
; %bb.16:
	s_or_b32 exec_lo, exec_lo, s7
.LBB166_17:
	s_delay_alu instid0(SALU_CYCLE_1) | instskip(NEXT) | instid1(SALU_CYCLE_1)
	s_or_b32 exec_lo, exec_lo, s6
	s_mov_b32 s6, exec_lo
	v_cmpx_lt_u32_e32 23, v34
	s_cbranch_execz .LBB166_21
; %bb.18:
	s_mov_b32 s7, 0
.LBB166_19:                             ; =>This Inner Loop Header: Depth=1
	s_clause 0x1
	global_load_b32 v50, v33, s[8:9] scale_offset
	global_load_b32 v98, v33, s[8:9] offset:32 scale_offset
	s_clause 0x3
	global_load_b128 v[34:37], v[30:31], off
	global_load_b128 v[38:41], v[30:31], off offset:32
	global_load_b128 v[42:45], v[30:31], off offset:64
	;; [unrolled: 1-line block ×3, first 2 shown]
	s_clause 0x1
	global_load_b32 v138, v33, s[8:9] offset:64 scale_offset
	global_load_b32 v139, v33, s[8:9] offset:96 scale_offset
	s_wait_xcnt 0x0
	v_add_nc_u32_e32 v33, 32, v33
	s_delay_alu instid0(VALU_DEP_1)
	v_cmp_ge_i32_e32 vcc_lo, v33, v17
	s_or_b32 s7, vcc_lo, s7
	s_wait_loadcnt 0x7
	v_subrev_nc_u32_e32 v50, s12, v50
	s_wait_loadcnt 0x6
	v_subrev_nc_u32_e32 v98, s12, v98
	s_wait_loadcnt 0x5
	v_cvt_f64_f32_e32 v[122:123], v34
	v_cvt_f64_f32_e32 v[34:35], v35
	s_wait_loadcnt 0x4
	v_cvt_f64_f32_e32 v[124:125], v38
	v_lshlrev_b32_e32 v99, 2, v50
	s_wait_kmcnt 0x0
	s_clause 0x1
	global_load_b128 v[50:53], v99, s[4:5] scale_offset
	global_load_b128 v[54:57], v99, s[4:5] offset:16 scale_offset
	s_clause 0x3
	global_load_b128 v[58:61], v[30:31], off offset:16
	global_load_b128 v[62:65], v[30:31], off offset:48
	;; [unrolled: 1-line block ×4, first 2 shown]
	s_clause 0x1
	global_load_b128 v[74:77], v99, s[4:5] offset:32 scale_offset
	global_load_b128 v[78:81], v99, s[4:5] offset:48 scale_offset
	s_clause 0x3
	global_load_b128 v[82:85], v[30:31], off offset:1024
	global_load_b128 v[86:89], v[30:31], off offset:1056
	;; [unrolled: 1-line block ×4, first 2 shown]
	v_cvt_f64_f32_e32 v[38:39], v39
	s_wait_loadcnt 0xf
	v_cvt_f64_f32_e32 v[126:127], v42
	v_cvt_f64_f32_e32 v[42:43], v43
	s_wait_loadcnt 0xe
	v_cvt_f64_f32_e32 v[128:129], v46
	v_cvt_f64_f32_e32 v[46:47], v47
	;; [unrolled: 1-line block ×8, first 2 shown]
	s_wait_loadcnt 0xb
	v_fmac_f64_e32 v[24:25], v[124:125], v[50:51]
	v_lshlrev_b32_e32 v136, 2, v98
	v_fmac_f64_e32 v[22:23], v[122:123], v[50:51]
	v_fmac_f64_e32 v[0:1], v[34:35], v[50:51]
	;; [unrolled: 1-line block ×7, first 2 shown]
	v_cvt_f64_f32_e32 v[50:51], v36
	v_cvt_f64_f32_e32 v[36:37], v37
	v_fma_f64 v[24:25], -v[38:39], v[52:53], v[24:25]
	s_clause 0x1
	global_load_b128 v[98:101], v136, s[4:5] scale_offset
	global_load_b128 v[102:105], v136, s[4:5] offset:16 scale_offset
	s_clause 0x3
	global_load_b128 v[106:109], v[30:31], off offset:1040
	global_load_b128 v[110:113], v[30:31], off offset:1072
	;; [unrolled: 1-line block ×4, first 2 shown]
	v_fma_f64 v[34:35], -v[34:35], v[52:53], v[22:23]
	v_fmac_f64_e32 v[0:1], v[122:123], v[52:53]
	v_fmac_f64_e32 v[10:11], v[124:125], v[52:53]
	v_fma_f64 v[28:29], -v[42:43], v[52:53], v[28:29]
	v_fmac_f64_e32 v[12:13], v[126:127], v[52:53]
	v_fma_f64 v[38:39], -v[46:47], v[52:53], v[20:21]
	v_fmac_f64_e32 v[14:15], v[128:129], v[52:53]
	global_load_b128 v[20:23], v136, s[4:5] offset:32 scale_offset
	s_wait_loadcnt 0xf
	v_cvt_f64_f32_e32 v[122:123], v62
	v_cvt_f64_f32_e32 v[62:63], v63
	s_wait_loadcnt 0xe
	v_cvt_f64_f32_e32 v[124:125], v66
	v_cvt_f64_f32_e32 v[66:67], v67
	;; [unrolled: 3-line block ×3, first 2 shown]
	v_fmac_f64_e32 v[24:25], v[130:131], v[54:55]
	v_fmac_f64_e32 v[34:35], v[50:51], v[54:55]
	;; [unrolled: 1-line block ×8, first 2 shown]
	v_cvt_f64_f32_e32 v[54:55], v58
	v_cvt_f64_f32_e32 v[58:59], v59
	v_fma_f64 v[24:25], -v[40:41], v[56:57], v[24:25]
	v_fma_f64 v[128:129], -v[36:37], v[56:57], v[34:35]
	v_fmac_f64_e32 v[0:1], v[50:51], v[56:57]
	v_fmac_f64_e32 v[10:11], v[130:131], v[56:57]
	v_fma_f64 v[28:29], -v[44:45], v[56:57], v[28:29]
	v_fmac_f64_e32 v[12:13], v[132:133], v[56:57]
	v_fma_f64 v[130:131], -v[48:49], v[56:57], v[38:39]
	v_fmac_f64_e32 v[14:15], v[134:135], v[56:57]
	global_load_b128 v[34:37], v136, s[4:5] offset:48 scale_offset
	s_clause 0x3
	global_load_b128 v[38:41], v[30:31], off offset:2048
	global_load_b128 v[42:45], v[30:31], off offset:2080
	global_load_b128 v[46:49], v[30:31], off offset:2112
	global_load_b128 v[50:53], v[30:31], off offset:2144
	v_cvt_f64_f32_e32 v[132:133], v64
	v_cvt_f64_f32_e32 v[64:65], v65
	v_cvt_f64_f32_e32 v[134:135], v68
	v_cvt_f64_f32_e32 v[68:69], v69
	s_wait_xcnt 0x4
	v_cvt_f64_f32_e32 v[136:137], v72
	v_cvt_f64_f32_e32 v[72:73], v73
	s_wait_loadcnt 0x11
	v_fmac_f64_e32 v[24:25], v[122:123], v[74:75]
	v_fmac_f64_e32 v[128:129], v[54:55], v[74:75]
	;; [unrolled: 1-line block ×8, first 2 shown]
	v_cvt_f64_f32_e32 v[74:75], v60
	v_cvt_f64_f32_e32 v[60:61], v61
	v_fma_f64 v[24:25], -v[62:63], v[76:77], v[24:25]
	v_fma_f64 v[58:59], -v[58:59], v[76:77], v[128:129]
	v_fmac_f64_e32 v[0:1], v[54:55], v[76:77]
	v_fmac_f64_e32 v[10:11], v[122:123], v[76:77]
	v_fma_f64 v[28:29], -v[66:67], v[76:77], v[28:29]
	v_fmac_f64_e32 v[12:13], v[124:125], v[76:77]
	v_fma_f64 v[62:63], -v[70:71], v[76:77], v[130:131]
	v_fmac_f64_e32 v[14:15], v[126:127], v[76:77]
	v_subrev_nc_u32_e32 v54, s12, v138
	s_wait_loadcnt 0xe
	v_cvt_f64_f32_e32 v[122:123], v86
	v_cvt_f64_f32_e32 v[86:87], v87
	s_wait_loadcnt 0xd
	v_cvt_f64_f32_e32 v[124:125], v90
	v_cvt_f64_f32_e32 v[90:91], v91
	v_lshlrev_b32_e32 v138, 2, v54
	s_wait_loadcnt 0xc
	v_cvt_f64_f32_e32 v[126:127], v94
	v_cvt_f64_f32_e32 v[94:95], v95
	global_load_b128 v[54:57], v138, s[4:5] scale_offset
	v_fmac_f64_e32 v[24:25], v[132:133], v[78:79]
	v_fmac_f64_e32 v[58:59], v[74:75], v[78:79]
	;; [unrolled: 1-line block ×8, first 2 shown]
	v_cvt_f64_f32_e32 v[78:79], v82
	v_cvt_f64_f32_e32 v[82:83], v83
	v_fma_f64 v[24:25], -v[64:65], v[80:81], v[24:25]
	v_fma_f64 v[128:129], -v[60:61], v[80:81], v[58:59]
	v_fmac_f64_e32 v[0:1], v[74:75], v[80:81]
	v_fmac_f64_e32 v[10:11], v[132:133], v[80:81]
	v_fma_f64 v[28:29], -v[68:69], v[80:81], v[28:29]
	v_fmac_f64_e32 v[12:13], v[134:135], v[80:81]
	v_fma_f64 v[130:131], -v[72:73], v[80:81], v[62:63]
	v_fmac_f64_e32 v[14:15], v[136:137], v[80:81]
	global_load_b128 v[58:61], v138, s[4:5] offset:16 scale_offset
	s_clause 0x3
	global_load_b128 v[62:65], v[30:31], off offset:2064
	global_load_b128 v[66:69], v[30:31], off offset:2096
	;; [unrolled: 1-line block ×4, first 2 shown]
	v_cvt_f64_f32_e32 v[132:133], v88
	v_cvt_f64_f32_e32 v[88:89], v89
	;; [unrolled: 1-line block ×6, first 2 shown]
	s_wait_loadcnt 0x11
	v_fmac_f64_e32 v[128:129], v[78:79], v[98:99]
	v_fmac_f64_e32 v[0:1], v[82:83], v[98:99]
	;; [unrolled: 1-line block ×8, first 2 shown]
	v_cvt_f64_f32_e32 v[98:99], v84
	v_cvt_f64_f32_e32 v[84:85], v85
	v_fma_f64 v[82:83], -v[82:83], v[100:101], v[128:129]
	v_fmac_f64_e32 v[0:1], v[78:79], v[100:101]
	v_fma_f64 v[24:25], -v[86:87], v[100:101], v[24:25]
	v_fmac_f64_e32 v[10:11], v[122:123], v[100:101]
	;; [unrolled: 2-line block ×4, first 2 shown]
	global_load_b128 v[78:81], v138, s[4:5] offset:32 scale_offset
	s_wait_loadcnt 0xf
	v_cvt_f64_f32_e32 v[122:123], v110
	v_cvt_f64_f32_e32 v[110:111], v111
	s_wait_loadcnt 0xe
	v_cvt_f64_f32_e32 v[124:125], v114
	v_cvt_f64_f32_e32 v[114:115], v115
	s_wait_loadcnt 0xd
	v_cvt_f64_f32_e32 v[126:127], v118
	v_cvt_f64_f32_e32 v[118:119], v119
	v_fmac_f64_e32 v[82:83], v[98:99], v[102:103]
	v_fmac_f64_e32 v[0:1], v[84:85], v[102:103]
	;; [unrolled: 1-line block ×8, first 2 shown]
	v_cvt_f64_f32_e32 v[102:103], v106
	v_cvt_f64_f32_e32 v[106:107], v107
	v_fma_f64 v[128:129], -v[84:85], v[104:105], v[82:83]
	v_fmac_f64_e32 v[0:1], v[98:99], v[104:105]
	v_fma_f64 v[24:25], -v[88:89], v[104:105], v[24:25]
	v_fmac_f64_e32 v[10:11], v[132:133], v[104:105]
	;; [unrolled: 2-line block ×4, first 2 shown]
	global_load_b128 v[82:85], v138, s[4:5] offset:48 scale_offset
	s_clause 0x3
	global_load_b128 v[86:89], v[30:31], off offset:3104
	global_load_b128 v[90:93], v[30:31], off offset:3072
	;; [unrolled: 1-line block ×4, first 2 shown]
	v_cvt_f64_f32_e32 v[104:105], v108
	v_cvt_f64_f32_e32 v[108:109], v109
	;; [unrolled: 1-line block ×8, first 2 shown]
	s_wait_loadcnt 0x11
	v_fmac_f64_e32 v[128:129], v[102:103], v[20:21]
	v_fmac_f64_e32 v[0:1], v[106:107], v[20:21]
	;; [unrolled: 1-line block ×8, first 2 shown]
	v_subrev_nc_u32_e32 v20, s12, v139
	s_wait_xcnt 0x4
	s_delay_alu instid0(VALU_DEP_1)
	v_dual_fma_f64 v[106:107], -v[106:107], v[22:23], v[128:129] :: v_dual_lshlrev_b32 v138, 2, v20
	v_fmac_f64_e32 v[0:1], v[102:103], v[22:23]
	v_fma_f64 v[24:25], -v[110:111], v[22:23], v[24:25]
	v_fmac_f64_e32 v[10:11], v[122:123], v[22:23]
	v_fma_f64 v[28:29], -v[114:115], v[22:23], v[28:29]
	;; [unrolled: 2-line block ×3, first 2 shown]
	v_fmac_f64_e32 v[14:15], v[126:127], v[22:23]
	global_load_b128 v[20:23], v138, s[4:5] scale_offset
	s_wait_loadcnt 0x10
	v_cvt_f64_f32_e32 v[118:119], v38
	v_cvt_f64_f32_e32 v[38:39], v39
	s_wait_loadcnt 0xf
	v_cvt_f64_f32_e32 v[122:123], v42
	v_cvt_f64_f32_e32 v[42:43], v43
	;; [unrolled: 3-line block ×4, first 2 shown]
	v_cvt_f64_f32_e32 v[130:131], v41
	v_fmac_f64_e32 v[106:107], v[104:105], v[34:35]
	v_fmac_f64_e32 v[0:1], v[108:109], v[34:35]
	;; [unrolled: 1-line block ×8, first 2 shown]
	v_fma_f64 v[128:129], -v[108:109], v[36:37], v[106:107]
	v_fmac_f64_e32 v[0:1], v[104:105], v[36:37]
	v_fma_f64 v[24:25], -v[112:113], v[36:37], v[24:25]
	v_fmac_f64_e32 v[10:11], v[132:133], v[36:37]
	;; [unrolled: 2-line block ×4, first 2 shown]
	global_load_b128 v[34:37], v138, s[4:5] offset:16 scale_offset
	s_clause 0x3
	global_load_b128 v[102:105], v[30:31], off offset:3120
	global_load_b128 v[106:109], v[30:31], off offset:3088
	;; [unrolled: 1-line block ×4, first 2 shown]
	v_cvt_f64_f32_e32 v[132:133], v44
	v_cvt_f64_f32_e32 v[44:45], v45
	;; [unrolled: 1-line block ×6, first 2 shown]
	s_wait_xcnt 0x0
	v_add_nc_u64_e32 v[30:31], 0x1000, v[30:31]
	s_wait_loadcnt 0x11
	v_fmac_f64_e32 v[128:129], v[118:119], v[54:55]
	v_fmac_f64_e32 v[0:1], v[38:39], v[54:55]
	;; [unrolled: 1-line block ×8, first 2 shown]
	v_cvt_f64_f32_e32 v[54:55], v40
	v_fma_f64 v[128:129], -v[38:39], v[56:57], v[128:129]
	v_fmac_f64_e32 v[0:1], v[118:119], v[56:57]
	v_fma_f64 v[24:25], -v[42:43], v[56:57], v[24:25]
	v_fmac_f64_e32 v[10:11], v[122:123], v[56:57]
	;; [unrolled: 2-line block ×4, first 2 shown]
	global_load_b128 v[38:41], v138, s[4:5] offset:32 scale_offset
	s_wait_loadcnt 0x10
	v_cvt_f64_f32_e32 v[46:47], v62
	v_cvt_f64_f32_e32 v[50:51], v63
	s_wait_loadcnt 0xf
	v_cvt_f64_f32_e32 v[56:57], v66
	s_wait_loadcnt 0xe
	v_cvt_f64_f32_e32 v[62:63], v70
	v_fmac_f64_e32 v[128:129], v[54:55], v[58:59]
	v_fmac_f64_e32 v[0:1], v[130:131], v[58:59]
	;; [unrolled: 1-line block ×8, first 2 shown]
	v_cvt_f64_f32_e32 v[58:59], v67
	v_cvt_f64_f32_e32 v[66:67], v71
	s_wait_loadcnt 0xd
	v_cvt_f64_f32_e32 v[70:71], v74
	v_cvt_f64_f32_e32 v[74:75], v75
	v_fma_f64 v[118:119], -v[130:131], v[60:61], v[128:129]
	v_fmac_f64_e32 v[0:1], v[54:55], v[60:61]
	v_fma_f64 v[24:25], -v[44:45], v[60:61], v[24:25]
	v_fmac_f64_e32 v[10:11], v[132:133], v[60:61]
	;; [unrolled: 2-line block ×4, first 2 shown]
	global_load_b128 v[42:45], v138, s[4:5] offset:48 scale_offset
	v_cvt_f64_f32_e32 v[52:53], v64
	v_cvt_f64_f32_e32 v[54:55], v65
	;; [unrolled: 1-line block ×6, first 2 shown]
	s_wait_loadcnt 0xd
	v_fmac_f64_e32 v[118:119], v[46:47], v[78:79]
	v_fmac_f64_e32 v[0:1], v[50:51], v[78:79]
	;; [unrolled: 1-line block ×8, first 2 shown]
	v_cvt_f64_f32_e32 v[78:79], v76
	v_cvt_f64_f32_e32 v[76:77], v77
	v_fma_f64 v[50:51], -v[50:51], v[80:81], v[118:119]
	v_fmac_f64_e32 v[0:1], v[46:47], v[80:81]
	v_fma_f64 v[24:25], -v[58:59], v[80:81], v[24:25]
	v_fmac_f64_e32 v[10:11], v[56:57], v[80:81]
	;; [unrolled: 2-line block ×4, first 2 shown]
	s_wait_loadcnt 0xa
	v_cvt_f64_f32_e32 v[48:49], v90
	v_cvt_f64_f32_e32 v[56:57], v91
	;; [unrolled: 1-line block ×4, first 2 shown]
	s_wait_loadcnt 0x9
	v_cvt_f64_f32_e32 v[66:67], v94
	v_cvt_f64_f32_e32 v[70:71], v95
	s_wait_loadcnt 0x8
	v_cvt_f64_f32_e32 v[74:75], v98
	v_cvt_f64_f32_e32 v[80:81], v99
	v_fmac_f64_e32 v[50:51], v[52:53], v[82:83]
	v_fmac_f64_e32 v[0:1], v[54:55], v[82:83]
	;; [unrolled: 1-line block ×8, first 2 shown]
	v_fma_f64 v[50:51], -v[54:55], v[84:85], v[50:51]
	v_fmac_f64_e32 v[0:1], v[52:53], v[84:85]
	v_fma_f64 v[24:25], -v[64:65], v[84:85], v[24:25]
	v_fmac_f64_e32 v[10:11], v[60:61], v[84:85]
	v_fma_f64 v[28:29], -v[72:73], v[84:85], v[28:29]
	v_fmac_f64_e32 v[12:13], v[68:69], v[84:85]
	v_fma_f64 v[46:47], -v[76:77], v[84:85], v[46:47]
	v_fmac_f64_e32 v[14:15], v[78:79], v[84:85]
	v_cvt_f64_f32_e32 v[52:53], v93
	v_cvt_f64_f32_e32 v[54:55], v88
	;; [unrolled: 1-line block ×7, first 2 shown]
	s_wait_loadcnt 0x7
	v_fmac_f64_e32 v[50:51], v[48:49], v[20:21]
	v_fmac_f64_e32 v[0:1], v[56:57], v[20:21]
	;; [unrolled: 1-line block ×8, first 2 shown]
	v_cvt_f64_f32_e32 v[20:21], v92
	v_fma_f64 v[50:51], -v[56:57], v[22:23], v[50:51]
	v_fmac_f64_e32 v[0:1], v[48:49], v[22:23]
	v_fma_f64 v[24:25], -v[62:63], v[22:23], v[24:25]
	v_fmac_f64_e32 v[10:11], v[58:59], v[22:23]
	;; [unrolled: 2-line block ×4, first 2 shown]
	s_wait_loadcnt 0x4
	v_cvt_f64_f32_e32 v[22:23], v106
	v_cvt_f64_f32_e32 v[48:49], v102
	;; [unrolled: 1-line block ×3, first 2 shown]
	s_wait_loadcnt 0x3
	v_cvt_f64_f32_e32 v[58:59], v110
	v_cvt_f64_f32_e32 v[62:63], v111
	s_wait_loadcnt 0x2
	v_cvt_f64_f32_e32 v[66:67], v114
	v_cvt_f64_f32_e32 v[70:71], v115
	v_fmac_f64_e32 v[50:51], v[20:21], v[34:35]
	v_fmac_f64_e32 v[0:1], v[52:53], v[34:35]
	;; [unrolled: 1-line block ×8, first 2 shown]
	v_cvt_f64_f32_e32 v[34:35], v107
	v_fma_f64 v[50:51], -v[52:53], v[36:37], v[50:51]
	v_fmac_f64_e32 v[0:1], v[20:21], v[36:37]
	v_fma_f64 v[20:21], -v[60:61], v[36:37], v[24:25]
	v_fmac_f64_e32 v[10:11], v[54:55], v[36:37]
	;; [unrolled: 2-line block ×4, first 2 shown]
	v_cvt_f64_f32_e32 v[36:37], v108
	v_cvt_f64_f32_e32 v[46:47], v104
	;; [unrolled: 1-line block ×7, first 2 shown]
	s_wait_loadcnt 0x1
	v_fmac_f64_e32 v[50:51], v[22:23], v[38:39]
	v_fmac_f64_e32 v[0:1], v[34:35], v[38:39]
	;; [unrolled: 1-line block ×8, first 2 shown]
	v_cvt_f64_f32_e32 v[38:39], v109
	v_fma_f64 v[34:35], -v[34:35], v[40:41], v[50:51]
	v_fmac_f64_e32 v[0:1], v[22:23], v[40:41]
	v_fma_f64 v[20:21], -v[56:57], v[40:41], v[20:21]
	v_fmac_f64_e32 v[10:11], v[48:49], v[40:41]
	;; [unrolled: 2-line block ×4, first 2 shown]
	s_wait_loadcnt 0x0
	v_fmac_f64_e32 v[34:35], v[36:37], v[42:43]
	v_fmac_f64_e32 v[0:1], v[38:39], v[42:43]
	;; [unrolled: 1-line block ×8, first 2 shown]
	v_fma_f64 v[22:23], -v[38:39], v[44:45], v[34:35]
	v_fmac_f64_e32 v[0:1], v[36:37], v[44:45]
	v_fma_f64 v[24:25], -v[52:53], v[44:45], v[20:21]
	v_fmac_f64_e32 v[10:11], v[46:47], v[44:45]
	;; [unrolled: 2-line block ×4, first 2 shown]
	s_and_not1_b32 exec_lo, exec_lo, s7
	s_cbranch_execnz .LBB166_19
; %bb.20:
	s_or_b32 exec_lo, exec_lo, s7
.LBB166_21:
	s_delay_alu instid0(SALU_CYCLE_1)
	s_or_b32 exec_lo, exec_lo, s6
.LBB166_22:
	s_delay_alu instid0(SALU_CYCLE_1)
	s_or_b32 exec_lo, exec_lo, s3
	s_cbranch_execz .LBB166_24
	s_branch .LBB166_35
.LBB166_23:
                                        ; implicit-def: $vgpr0_vgpr1
                                        ; implicit-def: $vgpr22_vgpr23
                                        ; implicit-def: $vgpr10_vgpr11
                                        ; implicit-def: $vgpr24_vgpr25
                                        ; implicit-def: $vgpr12_vgpr13
                                        ; implicit-def: $vgpr28_vgpr29
                                        ; implicit-def: $vgpr14_vgpr15
                                        ; implicit-def: $vgpr20_vgpr21
.LBB166_24:
	v_mov_b64_e32 v[0:1], 0
	v_mov_b64_e32 v[22:23], 0
	;; [unrolled: 1-line block ×8, first 2 shown]
	s_and_saveexec_b32 s3, s2
	s_cbranch_execz .LBB166_34
; %bb.25:
	v_add_nc_u32_e32 v0, v32, v27
	v_not_b32_e32 v1, v32
	v_mov_b64_e32 v[20:21], 0
	v_mov_b64_e32 v[14:15], 0
	;; [unrolled: 1-line block ×3, first 2 shown]
	v_subrev_nc_u32_e32 v0, s12, v0
	v_mov_b64_e32 v[12:13], 0
	v_mov_b64_e32 v[24:25], 0
	;; [unrolled: 1-line block ×4, first 2 shown]
	v_add_max_i32_e64 v0, v0, 8, v17
	s_mov_b32 s2, exec_lo
	s_delay_alu instid0(VALU_DEP_1) | instskip(NEXT) | instid1(VALU_DEP_1)
	v_add3_u32 v0, s12, v0, v1
	v_sub_nc_u32_e32 v30, v0, v27
	v_mov_b64_e32 v[0:1], 0
	s_delay_alu instid0(VALU_DEP_2) | instskip(NEXT) | instid1(VALU_DEP_1)
	v_and_b32_e32 v31, 24, v30
	v_cmpx_ne_u32_e32 24, v31
	s_cbranch_execz .LBB166_29
; %bb.26:
	v_lshrrev_b32_e32 v0, 3, v30
	v_mov_b64_e32 v[22:23], 0
	v_mov_b64_e32 v[10:11], 0
	;; [unrolled: 1-line block ×4, first 2 shown]
	v_add_nc_u32_e32 v12, 1, v0
	v_mov_b64_e32 v[0:1], 0
	v_mov_b64_e32 v[14:15], 0
	;; [unrolled: 1-line block ×3, first 2 shown]
	s_mov_b32 s6, 0
	v_and_b32_e32 v31, 3, v12
	v_mov_b64_e32 v[12:13], 0
	s_delay_alu instid0(VALU_DEP_2)
	v_sub_nc_u32_e32 v31, 0, v31
.LBB166_27:                             ; =>This Inner Loop Header: Depth=1
	global_load_b32 v40, v16, s[8:9] scale_offset
	s_clause 0x1
	global_load_b128 v[32:35], v[18:19], off
	global_load_b128 v[36:39], v[18:19], off offset:16
	v_add_co_u32 v31, s7, v31, 1
	s_or_b32 s6, s7, s6
	s_wait_xcnt 0x2
	v_add_nc_u32_e32 v16, 8, v16
	s_wait_loadcnt 0x2
	v_subrev_nc_u32_e32 v40, s12, v40
	s_wait_loadcnt 0x1
	v_cvt_f64_f32_e32 v[82:83], v34
	v_cvt_f64_f32_e32 v[34:35], v35
	s_wait_loadcnt 0x0
	v_cvt_f64_f32_e32 v[84:85], v36
	v_cvt_f64_f32_e32 v[36:37], v37
	v_lshlrev_b32_e32 v80, 2, v40
	s_wait_kmcnt 0x0
	s_clause 0x1
	global_load_b128 v[40:43], v80, s[4:5] scale_offset
	global_load_b128 v[44:47], v80, s[4:5] offset:16 scale_offset
	s_clause 0x3
	global_load_b128 v[48:51], v[18:19], off offset:32
	global_load_b128 v[52:55], v[18:19], off offset:48
	;; [unrolled: 1-line block ×4, first 2 shown]
	s_clause 0x1
	global_load_b128 v[64:67], v80, s[4:5] offset:32 scale_offset
	global_load_b128 v[68:71], v80, s[4:5] offset:48 scale_offset
	s_clause 0x1
	global_load_b128 v[72:75], v[18:19], off offset:96
	global_load_b128 v[76:79], v[18:19], off offset:112
	s_wait_xcnt 0x2
	v_cvt_f64_f32_e32 v[80:81], v32
	v_cvt_f64_f32_e32 v[32:33], v33
	v_cvt_f64_f32_e32 v[86:87], v38
	v_cvt_f64_f32_e32 v[38:39], v39
	s_wait_xcnt 0x0
	v_add_nc_u64_e32 v[18:19], 0x400, v[18:19]
	s_wait_loadcnt 0x9
	v_fmac_f64_e32 v[22:23], v[80:81], v[40:41]
	v_fmac_f64_e32 v[0:1], v[32:33], v[40:41]
	;; [unrolled: 1-line block ×8, first 2 shown]
	s_wait_loadcnt 0x7
	v_cvt_f64_f32_e32 v[40:41], v48
	v_cvt_f64_f32_e32 v[48:49], v49
	;; [unrolled: 1-line block ×4, first 2 shown]
	s_wait_loadcnt 0x6
	v_cvt_f64_f32_e32 v[90:91], v52
	v_cvt_f64_f32_e32 v[52:53], v53
	;; [unrolled: 1-line block ×4, first 2 shown]
	v_fma_f64 v[22:23], -v[32:33], v[42:43], v[22:23]
	v_fmac_f64_e32 v[0:1], v[80:81], v[42:43]
	v_fma_f64 v[24:25], -v[34:35], v[42:43], v[24:25]
	v_fmac_f64_e32 v[10:11], v[82:83], v[42:43]
	;; [unrolled: 2-line block ×4, first 2 shown]
	s_wait_loadcnt 0x5
	v_cvt_f64_f32_e32 v[32:33], v56
	v_cvt_f64_f32_e32 v[34:35], v57
	v_cvt_f64_f32_e32 v[36:37], v58
	v_cvt_f64_f32_e32 v[38:39], v59
	s_wait_loadcnt 0x4
	v_cvt_f64_f32_e32 v[42:43], v60
	v_cvt_f64_f32_e32 v[56:57], v62
	;; [unrolled: 1-line block ×3, first 2 shown]
	s_wait_loadcnt 0x0
	v_cvt_f64_f32_e32 v[62:63], v79
	v_fmac_f64_e32 v[22:23], v[40:41], v[44:45]
	v_fmac_f64_e32 v[0:1], v[48:49], v[44:45]
	;; [unrolled: 1-line block ×8, first 2 shown]
	v_cvt_f64_f32_e32 v[44:45], v61
	v_cvt_f64_f32_e32 v[60:61], v78
	v_fma_f64 v[22:23], -v[48:49], v[46:47], v[22:23]
	v_fmac_f64_e32 v[0:1], v[40:41], v[46:47]
	v_fma_f64 v[24:25], -v[50:51], v[46:47], v[24:25]
	v_fmac_f64_e32 v[10:11], v[88:89], v[46:47]
	;; [unrolled: 2-line block ×4, first 2 shown]
	v_cvt_f64_f32_e32 v[40:41], v72
	v_cvt_f64_f32_e32 v[46:47], v73
	v_cvt_f64_f32_e32 v[48:49], v74
	v_cvt_f64_f32_e32 v[50:51], v75
	v_cvt_f64_f32_e32 v[52:53], v76
	v_cvt_f64_f32_e32 v[54:55], v77
	v_fmac_f64_e32 v[22:23], v[32:33], v[64:65]
	v_fmac_f64_e32 v[0:1], v[34:35], v[64:65]
	;; [unrolled: 1-line block ×8, first 2 shown]
	v_fma_f64 v[22:23], -v[34:35], v[66:67], v[22:23]
	v_fmac_f64_e32 v[0:1], v[32:33], v[66:67]
	v_fma_f64 v[24:25], -v[38:39], v[66:67], v[24:25]
	v_fmac_f64_e32 v[10:11], v[36:37], v[66:67]
	;; [unrolled: 2-line block ×4, first 2 shown]
	v_fmac_f64_e32 v[22:23], v[40:41], v[68:69]
	v_fmac_f64_e32 v[0:1], v[46:47], v[68:69]
	;; [unrolled: 1-line block ×8, first 2 shown]
	v_fma_f64 v[22:23], -v[46:47], v[70:71], v[22:23]
	v_fmac_f64_e32 v[0:1], v[40:41], v[70:71]
	v_fma_f64 v[24:25], -v[50:51], v[70:71], v[24:25]
	v_fmac_f64_e32 v[10:11], v[48:49], v[70:71]
	;; [unrolled: 2-line block ×4, first 2 shown]
	s_and_not1_b32 exec_lo, exec_lo, s6
	s_cbranch_execnz .LBB166_27
; %bb.28:
	s_or_b32 exec_lo, exec_lo, s6
.LBB166_29:
	s_delay_alu instid0(SALU_CYCLE_1) | instskip(NEXT) | instid1(SALU_CYCLE_1)
	s_or_b32 exec_lo, exec_lo, s2
	s_mov_b32 s2, exec_lo
	v_cmpx_lt_u32_e32 23, v30
	s_cbranch_execz .LBB166_33
; %bb.30:
	s_mov_b32 s6, 0
.LBB166_31:                             ; =>This Inner Loop Header: Depth=1
	s_clause 0x1
	global_load_b32 v38, v16, s[8:9] scale_offset
	global_load_b32 v86, v16, s[8:9] offset:32 scale_offset
	s_clause 0x1
	global_load_b128 v[30:33], v[18:19], off
	global_load_b128 v[34:37], v[18:19], off offset:16
	s_clause 0x1
	global_load_b32 v130, v16, s[8:9] offset:64 scale_offset
	global_load_b32 v134, v16, s[8:9] offset:96 scale_offset
	s_wait_xcnt 0x0
	v_add_nc_u32_e32 v16, 32, v16
	s_delay_alu instid0(VALU_DEP_1)
	v_cmp_ge_i32_e32 vcc_lo, v16, v17
	s_or_b32 s6, vcc_lo, s6
	s_wait_loadcnt 0x5
	v_subrev_nc_u32_e32 v38, s12, v38
	s_wait_loadcnt 0x4
	v_subrev_nc_u32_e32 v86, s12, v86
	s_wait_loadcnt 0x3
	v_cvt_f64_f32_e32 v[104:105], v31
	v_cvt_f64_f32_e32 v[106:107], v32
	;; [unrolled: 1-line block ×3, first 2 shown]
	v_lshlrev_b32_e32 v87, 2, v38
	s_wait_kmcnt 0x0
	global_load_b128 v[38:41], v87, s[4:5] scale_offset
	s_clause 0x1
	global_load_b128 v[42:45], v[18:19], off offset:32
	global_load_b128 v[46:49], v[18:19], off offset:48
	global_load_b128 v[50:53], v87, s[4:5] offset:16 scale_offset
	s_clause 0x1
	global_load_b128 v[54:57], v[18:19], off offset:64
	global_load_b128 v[58:61], v[18:19], off offset:80
	global_load_b128 v[62:65], v87, s[4:5] offset:32 scale_offset
	;; [unrolled: 4-line block ×3, first 2 shown]
	s_clause 0x1
	global_load_b128 v[78:81], v[18:19], off offset:1024
	global_load_b128 v[82:85], v[18:19], off offset:1040
	v_cvt_f64_f32_e32 v[102:103], v30
	s_wait_loadcnt 0xe
	v_cvt_f64_f32_e32 v[110:111], v34
	v_cvt_f64_f32_e32 v[112:113], v35
	;; [unrolled: 1-line block ×4, first 2 shown]
	s_wait_loadcnt 0xb
	v_fmac_f64_e32 v[24:25], v[106:107], v[38:39]
	v_lshlrev_b32_e32 v131, 2, v86
	v_fmac_f64_e32 v[22:23], v[102:103], v[38:39]
	v_fmac_f64_e32 v[0:1], v[104:105], v[38:39]
	;; [unrolled: 1-line block ×7, first 2 shown]
	s_wait_loadcnt 0xa
	v_cvt_f64_f32_e32 v[118:119], v42
	v_cvt_f64_f32_e32 v[120:121], v43
	;; [unrolled: 1-line block ×4, first 2 shown]
	s_wait_loadcnt 0x9
	v_cvt_f64_f32_e32 v[126:127], v46
	v_cvt_f64_f32_e32 v[46:47], v47
	;; [unrolled: 1-line block ×4, first 2 shown]
	v_fma_f64 v[24:25], -v[108:109], v[40:41], v[24:25]
	global_load_b128 v[86:89], v131, s[4:5] scale_offset
	s_clause 0x1
	global_load_b128 v[90:93], v[18:19], off offset:1056
	global_load_b128 v[94:97], v[18:19], off offset:1072
	global_load_b128 v[30:33], v131, s[4:5] offset:16 scale_offset
	s_clause 0x1
	global_load_b128 v[34:37], v[18:19], off offset:1088
	global_load_b128 v[98:101], v[18:19], off offset:1104
	v_fma_f64 v[104:105], -v[104:105], v[40:41], v[22:23]
	v_fmac_f64_e32 v[0:1], v[102:103], v[40:41]
	v_fmac_f64_e32 v[10:11], v[106:107], v[40:41]
	v_fma_f64 v[28:29], -v[112:113], v[40:41], v[28:29]
	v_fmac_f64_e32 v[12:13], v[110:111], v[40:41]
	v_fma_f64 v[102:103], -v[116:117], v[40:41], v[20:21]
	v_fmac_f64_e32 v[14:15], v[114:115], v[40:41]
	global_load_b128 v[20:23], v131, s[4:5] offset:32 scale_offset
	s_clause 0x1
	global_load_b128 v[38:41], v[18:19], off offset:1120
	global_load_b128 v[42:45], v[18:19], off offset:1136
	s_wait_loadcnt 0x10
	v_cvt_f64_f32_e32 v[106:107], v54
	v_cvt_f64_f32_e32 v[108:109], v55
	;; [unrolled: 1-line block ×4, first 2 shown]
	s_wait_loadcnt 0xf
	v_cvt_f64_f32_e32 v[114:115], v58
	v_cvt_f64_f32_e32 v[58:59], v59
	;; [unrolled: 1-line block ×4, first 2 shown]
	v_fmac_f64_e32 v[24:25], v[122:123], v[50:51]
	v_fmac_f64_e32 v[104:105], v[118:119], v[50:51]
	;; [unrolled: 1-line block ×8, first 2 shown]
	v_fma_f64 v[24:25], -v[124:125], v[52:53], v[24:25]
	s_wait_loadcnt 0xd
	v_cvt_f64_f32_e32 v[124:125], v69
	v_fma_f64 v[104:105], -v[120:121], v[52:53], v[104:105]
	v_fmac_f64_e32 v[0:1], v[118:119], v[52:53]
	v_fmac_f64_e32 v[10:11], v[122:123], v[52:53]
	v_fma_f64 v[28:29], -v[46:47], v[52:53], v[28:29]
	v_fmac_f64_e32 v[12:13], v[126:127], v[52:53]
	v_fma_f64 v[102:103], -v[48:49], v[52:53], v[102:103]
	v_fmac_f64_e32 v[14:15], v[128:129], v[52:53]
	global_load_b128 v[46:49], v131, s[4:5] offset:48 scale_offset
	s_clause 0x1
	global_load_b128 v[50:53], v[18:19], off offset:2048
	global_load_b128 v[54:57], v[18:19], off offset:2064
	v_cvt_f64_f32_e32 v[118:119], v66
	v_cvt_f64_f32_e32 v[120:121], v67
	;; [unrolled: 1-line block ×3, first 2 shown]
	s_wait_loadcnt 0xf
	v_cvt_f64_f32_e32 v[126:127], v70
	v_cvt_f64_f32_e32 v[70:71], v71
	v_cvt_f64_f32_e32 v[128:129], v72
	v_cvt_f64_f32_e32 v[72:73], v73
	v_fmac_f64_e32 v[24:25], v[110:111], v[62:63]
	v_fmac_f64_e32 v[104:105], v[106:107], v[62:63]
	;; [unrolled: 1-line block ×8, first 2 shown]
	v_fma_f64 v[24:25], -v[112:113], v[64:65], v[24:25]
	s_wait_loadcnt 0xd
	v_cvt_f64_f32_e32 v[112:113], v81
	v_fma_f64 v[104:105], -v[108:109], v[64:65], v[104:105]
	v_fmac_f64_e32 v[0:1], v[106:107], v[64:65]
	v_fmac_f64_e32 v[10:11], v[110:111], v[64:65]
	v_fma_f64 v[28:29], -v[58:59], v[64:65], v[28:29]
	v_fmac_f64_e32 v[12:13], v[114:115], v[64:65]
	v_fma_f64 v[102:103], -v[60:61], v[64:65], v[102:103]
	v_fmac_f64_e32 v[14:15], v[116:117], v[64:65]
	v_subrev_nc_u32_e32 v58, s12, v130
	v_cvt_f64_f32_e32 v[106:107], v78
	v_cvt_f64_f32_e32 v[108:109], v79
	;; [unrolled: 1-line block ×3, first 2 shown]
	s_wait_loadcnt 0xc
	v_cvt_f64_f32_e32 v[114:115], v82
	v_lshlrev_b32_e32 v130, 2, v58
	v_cvt_f64_f32_e32 v[82:83], v83
	v_cvt_f64_f32_e32 v[116:117], v84
	;; [unrolled: 1-line block ×3, first 2 shown]
	global_load_b128 v[58:61], v130, s[4:5] scale_offset
	s_clause 0x1
	global_load_b128 v[62:65], v[18:19], off offset:2080
	global_load_b128 v[66:69], v[18:19], off offset:2096
	v_fmac_f64_e32 v[24:25], v[122:123], v[74:75]
	v_fmac_f64_e32 v[104:105], v[118:119], v[74:75]
	v_fmac_f64_e32 v[0:1], v[120:121], v[74:75]
	v_fmac_f64_e32 v[10:11], v[124:125], v[74:75]
	v_fmac_f64_e32 v[28:29], v[126:127], v[74:75]
	v_fmac_f64_e32 v[12:13], v[70:71], v[74:75]
	v_fmac_f64_e32 v[102:103], v[128:129], v[74:75]
	v_fmac_f64_e32 v[14:15], v[72:73], v[74:75]
	v_fma_f64 v[24:25], -v[124:125], v[76:77], v[24:25]
	v_fma_f64 v[104:105], -v[120:121], v[76:77], v[104:105]
	v_fmac_f64_e32 v[0:1], v[118:119], v[76:77]
	v_fmac_f64_e32 v[10:11], v[122:123], v[76:77]
	v_fma_f64 v[28:29], -v[70:71], v[76:77], v[28:29]
	v_fmac_f64_e32 v[12:13], v[126:127], v[76:77]
	v_fma_f64 v[102:103], -v[72:73], v[76:77], v[102:103]
	v_fmac_f64_e32 v[14:15], v[128:129], v[76:77]
	global_load_b128 v[70:73], v130, s[4:5] offset:16 scale_offset
	s_clause 0x1
	global_load_b128 v[74:77], v[18:19], off offset:2112
	global_load_b128 v[78:81], v[18:19], off offset:2128
	s_wait_loadcnt 0x11
	v_fmac_f64_e32 v[104:105], v[106:107], v[86:87]
	v_fmac_f64_e32 v[0:1], v[108:109], v[86:87]
	;; [unrolled: 1-line block ×8, first 2 shown]
	s_wait_loadcnt 0x10
	v_cvt_f64_f32_e32 v[118:119], v90
	v_cvt_f64_f32_e32 v[90:91], v91
	;; [unrolled: 1-line block ×4, first 2 shown]
	s_wait_loadcnt 0xf
	v_cvt_f64_f32_e32 v[122:123], v94
	v_cvt_f64_f32_e32 v[94:95], v95
	;; [unrolled: 1-line block ×4, first 2 shown]
	s_wait_loadcnt 0x9
	v_cvt_f64_f32_e32 v[126:127], v42
	v_cvt_f64_f32_e32 v[128:129], v43
	v_cvt_f64_f32_e32 v[132:133], v45
	v_fma_f64 v[104:105], -v[108:109], v[88:89], v[104:105]
	v_fmac_f64_e32 v[0:1], v[106:107], v[88:89]
	v_fma_f64 v[24:25], -v[112:113], v[88:89], v[24:25]
	v_fmac_f64_e32 v[10:11], v[110:111], v[88:89]
	;; [unrolled: 2-line block ×4, first 2 shown]
	global_load_b128 v[82:85], v130, s[4:5] offset:32 scale_offset
	v_cvt_f64_f32_e32 v[108:109], v34
	v_cvt_f64_f32_e32 v[110:111], v35
	;; [unrolled: 1-line block ×8, first 2 shown]
	v_fmac_f64_e32 v[104:105], v[118:119], v[30:31]
	v_fmac_f64_e32 v[0:1], v[90:91], v[30:31]
	;; [unrolled: 1-line block ×8, first 2 shown]
	s_clause 0x1
	global_load_b128 v[28:31], v[18:19], off offset:2144
	global_load_b128 v[86:89], v[18:19], off offset:2160
	v_fma_f64 v[104:105], -v[90:91], v[32:33], v[104:105]
	v_fmac_f64_e32 v[0:1], v[118:119], v[32:33]
	v_fma_f64 v[24:25], -v[92:93], v[32:33], v[24:25]
	v_fmac_f64_e32 v[10:11], v[120:121], v[32:33]
	;; [unrolled: 2-line block ×4, first 2 shown]
	global_load_b128 v[32:35], v130, s[4:5] offset:48 scale_offset
	s_clause 0x1
	global_load_b128 v[90:93], v[18:19], off offset:3072
	global_load_b128 v[94:97], v[18:19], off offset:3088
	v_cvt_f64_f32_e32 v[118:119], v38
	v_cvt_f64_f32_e32 v[120:121], v39
	;; [unrolled: 1-line block ×4, first 2 shown]
	s_wait_xcnt 0x2
	v_cvt_f64_f32_e32 v[130:131], v44
	v_fmac_f64_e32 v[104:105], v[108:109], v[20:21]
	v_fmac_f64_e32 v[0:1], v[110:111], v[20:21]
	;; [unrolled: 1-line block ×8, first 2 shown]
	v_subrev_nc_u32_e32 v20, s12, v134
	s_delay_alu instid0(VALU_DEP_1)
	v_dual_fma_f64 v[104:105], -v[110:111], v[22:23], v[104:105] :: v_dual_lshlrev_b32 v134, 2, v20
	v_fmac_f64_e32 v[0:1], v[108:109], v[22:23]
	v_fma_f64 v[24:25], -v[36:37], v[22:23], v[24:25]
	v_fmac_f64_e32 v[10:11], v[112:113], v[22:23]
	v_fma_f64 v[98:99], -v[98:99], v[22:23], v[106:107]
	;; [unrolled: 2-line block ×3, first 2 shown]
	v_fmac_f64_e32 v[14:15], v[116:117], v[22:23]
	s_clause 0x1
	global_load_b128 v[20:23], v134, s[4:5] offset:16 scale_offset
	global_load_b128 v[36:39], v134, s[4:5] scale_offset
	s_wait_loadcnt 0xf
	v_cvt_f64_f32_e32 v[102:103], v50
	v_cvt_f64_f32_e32 v[106:107], v51
	;; [unrolled: 1-line block ×4, first 2 shown]
	s_wait_loadcnt 0xe
	v_cvt_f64_f32_e32 v[112:113], v54
	v_cvt_f64_f32_e32 v[114:115], v55
	v_cvt_f64_f32_e32 v[116:117], v56
	v_cvt_f64_f32_e32 v[56:57], v57
	v_fmac_f64_e32 v[104:105], v[118:119], v[46:47]
	v_fmac_f64_e32 v[0:1], v[120:121], v[46:47]
	;; [unrolled: 1-line block ×8, first 2 shown]
	s_clause 0x1
	global_load_b128 v[40:43], v[18:19], off offset:3120
	global_load_b128 v[44:47], v[18:19], off offset:3104
	v_fma_f64 v[104:105], -v[120:121], v[48:49], v[104:105]
	v_fmac_f64_e32 v[0:1], v[118:119], v[48:49]
	v_fma_f64 v[24:25], -v[124:125], v[48:49], v[24:25]
	v_fmac_f64_e32 v[10:11], v[122:123], v[48:49]
	;; [unrolled: 2-line block ×4, first 2 shown]
	s_clause 0x1
	global_load_b128 v[48:51], v[18:19], off offset:3152
	global_load_b128 v[52:55], v[18:19], off offset:3136
	s_wait_loadcnt 0x10
	v_cvt_f64_f32_e32 v[118:119], v62
	v_cvt_f64_f32_e32 v[120:121], v63
	;; [unrolled: 1-line block ×4, first 2 shown]
	s_wait_loadcnt 0xf
	v_cvt_f64_f32_e32 v[126:127], v66
	v_cvt_f64_f32_e32 v[128:129], v67
	;; [unrolled: 1-line block ×4, first 2 shown]
	v_fmac_f64_e32 v[104:105], v[102:103], v[58:59]
	v_fmac_f64_e32 v[0:1], v[106:107], v[58:59]
	;; [unrolled: 1-line block ×8, first 2 shown]
	v_fma_f64 v[104:105], -v[106:107], v[60:61], v[104:105]
	v_fmac_f64_e32 v[0:1], v[102:103], v[60:61]
	v_fma_f64 v[24:25], -v[110:111], v[60:61], v[24:25]
	v_fmac_f64_e32 v[10:11], v[108:109], v[60:61]
	;; [unrolled: 2-line block ×4, first 2 shown]
	s_clause 0x1
	global_load_b128 v[56:59], v134, s[4:5] offset:48 scale_offset
	global_load_b128 v[60:63], v134, s[4:5] offset:32 scale_offset
	s_wait_loadcnt 0xf
	v_cvt_f64_f32_e32 v[102:103], v74
	v_cvt_f64_f32_e32 v[74:75], v75
	;; [unrolled: 1-line block ×4, first 2 shown]
	s_wait_loadcnt 0xe
	v_cvt_f64_f32_e32 v[108:109], v78
	v_cvt_f64_f32_e32 v[78:79], v79
	;; [unrolled: 1-line block ×4, first 2 shown]
	v_fmac_f64_e32 v[104:105], v[118:119], v[70:71]
	v_fmac_f64_e32 v[0:1], v[120:121], v[70:71]
	v_fmac_f64_e32 v[24:25], v[122:123], v[70:71]
	v_fmac_f64_e32 v[10:11], v[124:125], v[70:71]
	v_fmac_f64_e32 v[98:99], v[126:127], v[70:71]
	v_fmac_f64_e32 v[12:13], v[128:129], v[70:71]
	v_fmac_f64_e32 v[100:101], v[130:131], v[70:71]
	v_fmac_f64_e32 v[14:15], v[132:133], v[70:71]
	s_clause 0x1
	global_load_b128 v[64:67], v[18:19], off offset:3168
	global_load_b128 v[68:71], v[18:19], off offset:3184
	s_wait_xcnt 0x0
	v_add_nc_u64_e32 v[18:19], 0x1000, v[18:19]
	v_fma_f64 v[104:105], -v[120:121], v[72:73], v[104:105]
	v_fmac_f64_e32 v[0:1], v[118:119], v[72:73]
	v_fma_f64 v[24:25], -v[124:125], v[72:73], v[24:25]
	v_fmac_f64_e32 v[10:11], v[122:123], v[72:73]
	;; [unrolled: 2-line block ×4, first 2 shown]
	s_wait_loadcnt 0xf
	v_fmac_f64_e32 v[104:105], v[102:103], v[82:83]
	v_fmac_f64_e32 v[0:1], v[74:75], v[82:83]
	;; [unrolled: 1-line block ×8, first 2 shown]
	s_wait_loadcnt 0xe
	v_cvt_f64_f32_e32 v[72:73], v28
	v_cvt_f64_f32_e32 v[28:29], v29
	;; [unrolled: 1-line block ×4, first 2 shown]
	s_wait_loadcnt 0xd
	v_cvt_f64_f32_e32 v[112:113], v86
	v_cvt_f64_f32_e32 v[86:87], v87
	;; [unrolled: 1-line block ×4, first 2 shown]
	v_fma_f64 v[74:75], -v[74:75], v[84:85], v[104:105]
	v_fmac_f64_e32 v[0:1], v[102:103], v[84:85]
	v_fma_f64 v[24:25], -v[76:77], v[84:85], v[24:25]
	v_fmac_f64_e32 v[10:11], v[106:107], v[84:85]
	;; [unrolled: 2-line block ×4, first 2 shown]
	s_wait_loadcnt 0xb
	v_cvt_f64_f32_e32 v[80:81], v91
	v_cvt_f64_f32_e32 v[84:85], v92
	s_wait_loadcnt 0xa
	v_cvt_f64_f32_e32 v[98:99], v96
	v_cvt_f64_f32_e32 v[96:97], v97
	v_fmac_f64_e32 v[74:75], v[72:73], v[32:33]
	v_fmac_f64_e32 v[0:1], v[28:29], v[32:33]
	;; [unrolled: 1-line block ×8, first 2 shown]
	v_cvt_f64_f32_e32 v[32:33], v90
	v_cvt_f64_f32_e32 v[90:91], v93
	;; [unrolled: 1-line block ×4, first 2 shown]
	v_fma_f64 v[28:29], -v[28:29], v[34:35], v[74:75]
	v_fmac_f64_e32 v[0:1], v[72:73], v[34:35]
	v_fma_f64 v[24:25], -v[30:31], v[34:35], v[24:25]
	v_fmac_f64_e32 v[10:11], v[82:83], v[34:35]
	;; [unrolled: 2-line block ×4, first 2 shown]
	s_wait_loadcnt 0x8
	v_fmac_f64_e32 v[28:29], v[32:33], v[36:37]
	v_fmac_f64_e32 v[0:1], v[80:81], v[36:37]
	;; [unrolled: 1-line block ×8, first 2 shown]
	s_wait_loadcnt 0x6
	v_cvt_f64_f32_e32 v[34:35], v44
	v_cvt_f64_f32_e32 v[36:37], v45
	;; [unrolled: 1-line block ×8, first 2 shown]
	v_fma_f64 v[28:29], -v[80:81], v[38:39], v[28:29]
	v_fmac_f64_e32 v[0:1], v[32:33], v[38:39]
	v_fma_f64 v[24:25], -v[90:91], v[38:39], v[24:25]
	v_fmac_f64_e32 v[10:11], v[84:85], v[38:39]
	;; [unrolled: 2-line block ×4, first 2 shown]
	s_wait_loadcnt 0x4
	v_cvt_f64_f32_e32 v[38:39], v53
	v_cvt_f64_f32_e32 v[72:73], v48
	;; [unrolled: 1-line block ×5, first 2 shown]
	v_fmac_f64_e32 v[28:29], v[34:35], v[20:21]
	v_fmac_f64_e32 v[0:1], v[36:37], v[20:21]
	;; [unrolled: 1-line block ×8, first 2 shown]
	v_cvt_f64_f32_e32 v[20:21], v52
	v_cvt_f64_f32_e32 v[52:53], v54
	;; [unrolled: 1-line block ×3, first 2 shown]
	v_fma_f64 v[28:29], -v[36:37], v[22:23], v[28:29]
	v_fmac_f64_e32 v[0:1], v[34:35], v[22:23]
	v_fma_f64 v[24:25], -v[46:47], v[22:23], v[24:25]
	v_fmac_f64_e32 v[10:11], v[44:45], v[22:23]
	;; [unrolled: 2-line block ×4, first 2 shown]
	s_wait_loadcnt 0x2
	v_fmac_f64_e32 v[28:29], v[20:21], v[60:61]
	v_fmac_f64_e32 v[0:1], v[38:39], v[60:61]
	;; [unrolled: 1-line block ×8, first 2 shown]
	s_wait_loadcnt 0x1
	v_cvt_f64_f32_e32 v[34:35], v64
	v_cvt_f64_f32_e32 v[22:23], v65
	;; [unrolled: 1-line block ×4, first 2 shown]
	s_wait_loadcnt 0x0
	v_cvt_f64_f32_e32 v[42:43], v68
	v_cvt_f64_f32_e32 v[44:45], v69
	;; [unrolled: 1-line block ×4, first 2 shown]
	v_fma_f64 v[28:29], -v[38:39], v[62:63], v[28:29]
	v_fmac_f64_e32 v[0:1], v[20:21], v[62:63]
	v_fma_f64 v[20:21], -v[54:55], v[62:63], v[24:25]
	v_fmac_f64_e32 v[10:11], v[52:53], v[62:63]
	;; [unrolled: 2-line block ×4, first 2 shown]
	v_fmac_f64_e32 v[28:29], v[34:35], v[56:57]
	v_fmac_f64_e32 v[0:1], v[22:23], v[56:57]
	;; [unrolled: 1-line block ×8, first 2 shown]
	v_fma_f64 v[22:23], -v[22:23], v[58:59], v[28:29]
	v_fmac_f64_e32 v[0:1], v[34:35], v[58:59]
	v_fma_f64 v[24:25], -v[40:41], v[58:59], v[20:21]
	v_fmac_f64_e32 v[10:11], v[36:37], v[58:59]
	;; [unrolled: 2-line block ×4, first 2 shown]
	s_and_not1_b32 exec_lo, exec_lo, s6
	s_cbranch_execnz .LBB166_31
; %bb.32:
	s_or_b32 exec_lo, exec_lo, s6
.LBB166_33:
	s_delay_alu instid0(SALU_CYCLE_1)
	s_or_b32 exec_lo, exec_lo, s2
.LBB166_34:
	s_delay_alu instid0(SALU_CYCLE_1)
	s_or_b32 exec_lo, exec_lo, s3
.LBB166_35:
	v_mbcnt_lo_u32_b32 v44, -1, 0
	s_delay_alu instid0(VALU_DEP_1) | instskip(NEXT) | instid1(VALU_DEP_1)
	v_xor_b32_e32 v16, 4, v44
	v_cmp_gt_i32_e32 vcc_lo, 32, v16
	v_cndmask_b32_e32 v16, v44, v16, vcc_lo
	s_delay_alu instid0(VALU_DEP_1)
	v_lshlrev_b32_e32 v41, 2, v16
	ds_bpermute_b32 v16, v41, v22
	ds_bpermute_b32 v17, v41, v23
	;; [unrolled: 1-line block ×4, first 2 shown]
	s_wait_dscnt 0x2
	v_add_f64_e32 v[16:17], v[22:23], v[16:17]
	s_wait_dscnt 0x0
	v_add_f64_e32 v[22:23], v[24:25], v[30:31]
	ds_bpermute_b32 v18, v41, v0
	ds_bpermute_b32 v19, v41, v1
	;; [unrolled: 1-line block ×12, first 2 shown]
	s_wait_dscnt 0xa
	v_dual_add_f64 v[18:19], v[0:1], v[18:19] :: v_dual_bitop2_b32 v0, 2, v44 bitop3:0x14
	s_wait_dscnt 0x8
	v_add_f64_e32 v[30:31], v[28:29], v[34:35]
	s_wait_dscnt 0x6
	v_add_f64_e32 v[24:25], v[10:11], v[32:33]
	v_cmp_gt_i32_e32 vcc_lo, 32, v0
	s_wait_dscnt 0x4
	v_add_f64_e32 v[32:33], v[12:13], v[36:37]
	s_wait_dscnt 0x0
	v_add_f64_e32 v[34:35], v[14:15], v[40:41]
	v_cndmask_b32_e32 v0, v44, v0, vcc_lo
	s_delay_alu instid0(VALU_DEP_1)
	v_dual_add_f64 v[20:21], v[20:21], v[38:39] :: v_dual_lshlrev_b32 v28, 2, v0
	ds_bpermute_b32 v12, v28, v22
	ds_bpermute_b32 v13, v28, v23
	;; [unrolled: 1-line block ×16, first 2 shown]
	s_wait_dscnt 0xc
	v_add_f64_e32 v[0:1], v[16:17], v[0:1]
	s_wait_dscnt 0xa
	v_add_f64_e32 v[28:29], v[18:19], v[10:11]
	v_add_f64_e32 v[10:11], v[22:23], v[12:13]
	s_wait_dscnt 0x8
	v_add_f64_e32 v[12:13], v[30:31], v[36:37]
	s_wait_dscnt 0x6
	;; [unrolled: 2-line block ×4, first 2 shown]
	v_add_f64_e32 v[14:15], v[20:21], v[40:41]
	v_xor_b32_e32 v20, 1, v44
	s_delay_alu instid0(VALU_DEP_1) | instskip(SKIP_3) | instid1(VALU_DEP_3)
	v_cmp_gt_i32_e32 vcc_lo, 32, v20
	v_cndmask_b32_e32 v20, v44, v20, vcc_lo
	v_add_f64_e32 v[18:19], v[32:33], v[38:39]
	v_cmp_eq_u32_e32 vcc_lo, 7, v27
	v_lshlrev_b32_e32 v35, 2, v20
	ds_bpermute_b32 v20, v35, v0
	ds_bpermute_b32 v21, v35, v1
	;; [unrolled: 1-line block ×16, first 2 shown]
	s_and_b32 exec_lo, exec_lo, vcc_lo
	s_cbranch_execz .LBB166_8
; %bb.36:
	s_wait_dscnt 0xc
	v_add_f64_e32 v[28:29], v[28:29], v[40:41]
	s_wait_dscnt 0x8
	v_add_f64_e32 v[38:39], v[22:23], v[38:39]
	;; [unrolled: 2-line block ×4, first 2 shown]
	v_add_f64_e32 v[0:1], v[0:1], v[20:21]
	v_add_f64_e32 v[40:41], v[10:11], v[24:25]
	;; [unrolled: 1-line block ×4, first 2 shown]
	v_cmp_eq_f64_e32 vcc_lo, 0, v[2:3]
	v_cmp_eq_f64_e64 s2, 0, v[4:5]
	s_load_b64 s[0:1], s[0:1], 0x60
	v_mul_f64_e64 v[22:23], v[28:29], -v[8:9]
	v_mul_f64_e32 v[24:25], v[6:7], v[28:29]
	v_mul_f64_e64 v[18:19], v[38:39], -v[8:9]
	v_mul_f64_e32 v[20:21], v[6:7], v[38:39]
	;; [unrolled: 2-line block ×4, first 2 shown]
	s_and_b32 s2, vcc_lo, s2
	v_fmac_f64_e32 v[22:23], v[6:7], v[0:1]
	v_fmac_f64_e32 v[24:25], v[8:9], v[0:1]
	;; [unrolled: 1-line block ×8, first 2 shown]
	v_lshlrev_b32_e32 v0, 2, v26
	s_and_saveexec_b32 s3, s2
	s_delay_alu instid0(SALU_CYCLE_1)
	s_xor_b32 s2, exec_lo, s3
	s_cbranch_execz .LBB166_38
; %bb.37:
	s_wait_kmcnt 0x0
	s_clause 0x3
	global_store_b128 v0, v[22:25], s[0:1] scale_offset
	global_store_b128 v0, v[18:21], s[0:1] offset:16 scale_offset
	global_store_b128 v0, v[14:17], s[0:1] offset:32 scale_offset
	;; [unrolled: 1-line block ×3, first 2 shown]
                                        ; implicit-def: $vgpr4_vgpr5
                                        ; implicit-def: $vgpr22_vgpr23
                                        ; implicit-def: $vgpr0
                                        ; implicit-def: $vgpr18_vgpr19
                                        ; implicit-def: $vgpr14_vgpr15
                                        ; implicit-def: $vgpr10_vgpr11
.LBB166_38:
	s_wait_xcnt 0x0
	s_and_not1_saveexec_b32 s2, s2
	s_cbranch_execz .LBB166_8
; %bb.39:
	s_wait_kmcnt 0x0
	s_clause 0x3
	global_load_b128 v[6:9], v0, s[0:1] scale_offset
	global_load_b128 v[26:29], v0, s[0:1] offset:16 scale_offset
	global_load_b128 v[30:33], v0, s[0:1] offset:32 scale_offset
	;; [unrolled: 1-line block ×3, first 2 shown]
	s_wait_loadcnt 0x3
	v_fmac_f64_e32 v[22:23], v[2:3], v[6:7]
	v_fmac_f64_e32 v[24:25], v[4:5], v[6:7]
	s_wait_loadcnt 0x2
	v_fmac_f64_e32 v[18:19], v[2:3], v[26:27]
	v_fmac_f64_e32 v[20:21], v[4:5], v[26:27]
	;; [unrolled: 3-line block ×4, first 2 shown]
	v_fma_f64 v[22:23], -v[4:5], v[8:9], v[22:23]
	v_fmac_f64_e32 v[24:25], v[2:3], v[8:9]
	v_fma_f64 v[18:19], -v[4:5], v[28:29], v[18:19]
	v_fmac_f64_e32 v[20:21], v[2:3], v[28:29]
	;; [unrolled: 2-line block ×4, first 2 shown]
	s_clause 0x3
	global_store_b128 v0, v[22:25], s[0:1] scale_offset
	global_store_b128 v0, v[18:21], s[0:1] offset:16 scale_offset
	global_store_b128 v0, v[14:17], s[0:1] offset:32 scale_offset
	;; [unrolled: 1-line block ×3, first 2 shown]
	s_sendmsg sendmsg(MSG_DEALLOC_VGPRS)
	s_endpgm
	.section	.rodata,"a",@progbits
	.p2align	6, 0x0
	.amdhsa_kernel _ZN9rocsparseL18bsrxmvn_4x4_kernelILj128ELj8E21rocsparse_complex_numIdEiiS1_IfES2_S2_EEvT3_20rocsparse_direction_NS_24const_host_device_scalarIT1_EES4_PKS4_PKT2_SD_SA_PKT4_PKT5_S8_PT6_21rocsparse_index_base_b
		.amdhsa_group_segment_fixed_size 0
		.amdhsa_private_segment_fixed_size 0
		.amdhsa_kernarg_size 112
		.amdhsa_user_sgpr_count 2
		.amdhsa_user_sgpr_dispatch_ptr 0
		.amdhsa_user_sgpr_queue_ptr 0
		.amdhsa_user_sgpr_kernarg_segment_ptr 1
		.amdhsa_user_sgpr_dispatch_id 0
		.amdhsa_user_sgpr_kernarg_preload_length 0
		.amdhsa_user_sgpr_kernarg_preload_offset 0
		.amdhsa_user_sgpr_private_segment_size 0
		.amdhsa_wavefront_size32 1
		.amdhsa_uses_dynamic_stack 0
		.amdhsa_enable_private_segment 0
		.amdhsa_system_sgpr_workgroup_id_x 1
		.amdhsa_system_sgpr_workgroup_id_y 0
		.amdhsa_system_sgpr_workgroup_id_z 0
		.amdhsa_system_sgpr_workgroup_info 0
		.amdhsa_system_vgpr_workitem_id 0
		.amdhsa_next_free_vgpr 140
		.amdhsa_next_free_sgpr 14
		.amdhsa_named_barrier_count 0
		.amdhsa_reserve_vcc 1
		.amdhsa_float_round_mode_32 0
		.amdhsa_float_round_mode_16_64 0
		.amdhsa_float_denorm_mode_32 3
		.amdhsa_float_denorm_mode_16_64 3
		.amdhsa_fp16_overflow 0
		.amdhsa_memory_ordered 1
		.amdhsa_forward_progress 1
		.amdhsa_inst_pref_size 70
		.amdhsa_round_robin_scheduling 0
		.amdhsa_exception_fp_ieee_invalid_op 0
		.amdhsa_exception_fp_denorm_src 0
		.amdhsa_exception_fp_ieee_div_zero 0
		.amdhsa_exception_fp_ieee_overflow 0
		.amdhsa_exception_fp_ieee_underflow 0
		.amdhsa_exception_fp_ieee_inexact 0
		.amdhsa_exception_int_div_zero 0
	.end_amdhsa_kernel
	.section	.text._ZN9rocsparseL18bsrxmvn_4x4_kernelILj128ELj8E21rocsparse_complex_numIdEiiS1_IfES2_S2_EEvT3_20rocsparse_direction_NS_24const_host_device_scalarIT1_EES4_PKS4_PKT2_SD_SA_PKT4_PKT5_S8_PT6_21rocsparse_index_base_b,"axG",@progbits,_ZN9rocsparseL18bsrxmvn_4x4_kernelILj128ELj8E21rocsparse_complex_numIdEiiS1_IfES2_S2_EEvT3_20rocsparse_direction_NS_24const_host_device_scalarIT1_EES4_PKS4_PKT2_SD_SA_PKT4_PKT5_S8_PT6_21rocsparse_index_base_b,comdat
.Lfunc_end166:
	.size	_ZN9rocsparseL18bsrxmvn_4x4_kernelILj128ELj8E21rocsparse_complex_numIdEiiS1_IfES2_S2_EEvT3_20rocsparse_direction_NS_24const_host_device_scalarIT1_EES4_PKS4_PKT2_SD_SA_PKT4_PKT5_S8_PT6_21rocsparse_index_base_b, .Lfunc_end166-_ZN9rocsparseL18bsrxmvn_4x4_kernelILj128ELj8E21rocsparse_complex_numIdEiiS1_IfES2_S2_EEvT3_20rocsparse_direction_NS_24const_host_device_scalarIT1_EES4_PKS4_PKT2_SD_SA_PKT4_PKT5_S8_PT6_21rocsparse_index_base_b
                                        ; -- End function
	.set _ZN9rocsparseL18bsrxmvn_4x4_kernelILj128ELj8E21rocsparse_complex_numIdEiiS1_IfES2_S2_EEvT3_20rocsparse_direction_NS_24const_host_device_scalarIT1_EES4_PKS4_PKT2_SD_SA_PKT4_PKT5_S8_PT6_21rocsparse_index_base_b.num_vgpr, 140
	.set _ZN9rocsparseL18bsrxmvn_4x4_kernelILj128ELj8E21rocsparse_complex_numIdEiiS1_IfES2_S2_EEvT3_20rocsparse_direction_NS_24const_host_device_scalarIT1_EES4_PKS4_PKT2_SD_SA_PKT4_PKT5_S8_PT6_21rocsparse_index_base_b.num_agpr, 0
	.set _ZN9rocsparseL18bsrxmvn_4x4_kernelILj128ELj8E21rocsparse_complex_numIdEiiS1_IfES2_S2_EEvT3_20rocsparse_direction_NS_24const_host_device_scalarIT1_EES4_PKS4_PKT2_SD_SA_PKT4_PKT5_S8_PT6_21rocsparse_index_base_b.numbered_sgpr, 14
	.set _ZN9rocsparseL18bsrxmvn_4x4_kernelILj128ELj8E21rocsparse_complex_numIdEiiS1_IfES2_S2_EEvT3_20rocsparse_direction_NS_24const_host_device_scalarIT1_EES4_PKS4_PKT2_SD_SA_PKT4_PKT5_S8_PT6_21rocsparse_index_base_b.num_named_barrier, 0
	.set _ZN9rocsparseL18bsrxmvn_4x4_kernelILj128ELj8E21rocsparse_complex_numIdEiiS1_IfES2_S2_EEvT3_20rocsparse_direction_NS_24const_host_device_scalarIT1_EES4_PKS4_PKT2_SD_SA_PKT4_PKT5_S8_PT6_21rocsparse_index_base_b.private_seg_size, 0
	.set _ZN9rocsparseL18bsrxmvn_4x4_kernelILj128ELj8E21rocsparse_complex_numIdEiiS1_IfES2_S2_EEvT3_20rocsparse_direction_NS_24const_host_device_scalarIT1_EES4_PKS4_PKT2_SD_SA_PKT4_PKT5_S8_PT6_21rocsparse_index_base_b.uses_vcc, 1
	.set _ZN9rocsparseL18bsrxmvn_4x4_kernelILj128ELj8E21rocsparse_complex_numIdEiiS1_IfES2_S2_EEvT3_20rocsparse_direction_NS_24const_host_device_scalarIT1_EES4_PKS4_PKT2_SD_SA_PKT4_PKT5_S8_PT6_21rocsparse_index_base_b.uses_flat_scratch, 0
	.set _ZN9rocsparseL18bsrxmvn_4x4_kernelILj128ELj8E21rocsparse_complex_numIdEiiS1_IfES2_S2_EEvT3_20rocsparse_direction_NS_24const_host_device_scalarIT1_EES4_PKS4_PKT2_SD_SA_PKT4_PKT5_S8_PT6_21rocsparse_index_base_b.has_dyn_sized_stack, 0
	.set _ZN9rocsparseL18bsrxmvn_4x4_kernelILj128ELj8E21rocsparse_complex_numIdEiiS1_IfES2_S2_EEvT3_20rocsparse_direction_NS_24const_host_device_scalarIT1_EES4_PKS4_PKT2_SD_SA_PKT4_PKT5_S8_PT6_21rocsparse_index_base_b.has_recursion, 0
	.set _ZN9rocsparseL18bsrxmvn_4x4_kernelILj128ELj8E21rocsparse_complex_numIdEiiS1_IfES2_S2_EEvT3_20rocsparse_direction_NS_24const_host_device_scalarIT1_EES4_PKS4_PKT2_SD_SA_PKT4_PKT5_S8_PT6_21rocsparse_index_base_b.has_indirect_call, 0
	.section	.AMDGPU.csdata,"",@progbits
; Kernel info:
; codeLenInByte = 8948
; TotalNumSgprs: 16
; NumVgprs: 140
; ScratchSize: 0
; MemoryBound: 0
; FloatMode: 240
; IeeeMode: 1
; LDSByteSize: 0 bytes/workgroup (compile time only)
; SGPRBlocks: 0
; VGPRBlocks: 8
; NumSGPRsForWavesPerEU: 16
; NumVGPRsForWavesPerEU: 140
; NamedBarCnt: 0
; Occupancy: 7
; WaveLimiterHint : 1
; COMPUTE_PGM_RSRC2:SCRATCH_EN: 0
; COMPUTE_PGM_RSRC2:USER_SGPR: 2
; COMPUTE_PGM_RSRC2:TRAP_HANDLER: 0
; COMPUTE_PGM_RSRC2:TGID_X_EN: 1
; COMPUTE_PGM_RSRC2:TGID_Y_EN: 0
; COMPUTE_PGM_RSRC2:TGID_Z_EN: 0
; COMPUTE_PGM_RSRC2:TIDIG_COMP_CNT: 0
	.section	.text._ZN9rocsparseL18bsrxmvn_4x4_kernelILj128ELj16E21rocsparse_complex_numIdEiiS1_IfES2_S2_EEvT3_20rocsparse_direction_NS_24const_host_device_scalarIT1_EES4_PKS4_PKT2_SD_SA_PKT4_PKT5_S8_PT6_21rocsparse_index_base_b,"axG",@progbits,_ZN9rocsparseL18bsrxmvn_4x4_kernelILj128ELj16E21rocsparse_complex_numIdEiiS1_IfES2_S2_EEvT3_20rocsparse_direction_NS_24const_host_device_scalarIT1_EES4_PKS4_PKT2_SD_SA_PKT4_PKT5_S8_PT6_21rocsparse_index_base_b,comdat
	.globl	_ZN9rocsparseL18bsrxmvn_4x4_kernelILj128ELj16E21rocsparse_complex_numIdEiiS1_IfES2_S2_EEvT3_20rocsparse_direction_NS_24const_host_device_scalarIT1_EES4_PKS4_PKT2_SD_SA_PKT4_PKT5_S8_PT6_21rocsparse_index_base_b ; -- Begin function _ZN9rocsparseL18bsrxmvn_4x4_kernelILj128ELj16E21rocsparse_complex_numIdEiiS1_IfES2_S2_EEvT3_20rocsparse_direction_NS_24const_host_device_scalarIT1_EES4_PKS4_PKT2_SD_SA_PKT4_PKT5_S8_PT6_21rocsparse_index_base_b
	.p2align	8
	.type	_ZN9rocsparseL18bsrxmvn_4x4_kernelILj128ELj16E21rocsparse_complex_numIdEiiS1_IfES2_S2_EEvT3_20rocsparse_direction_NS_24const_host_device_scalarIT1_EES4_PKS4_PKT2_SD_SA_PKT4_PKT5_S8_PT6_21rocsparse_index_base_b,@function
_ZN9rocsparseL18bsrxmvn_4x4_kernelILj128ELj16E21rocsparse_complex_numIdEiiS1_IfES2_S2_EEvT3_20rocsparse_direction_NS_24const_host_device_scalarIT1_EES4_PKS4_PKT2_SD_SA_PKT4_PKT5_S8_PT6_21rocsparse_index_base_b: ; @_ZN9rocsparseL18bsrxmvn_4x4_kernelILj128ELj16E21rocsparse_complex_numIdEiiS1_IfES2_S2_EEvT3_20rocsparse_direction_NS_24const_host_device_scalarIT1_EES4_PKS4_PKT2_SD_SA_PKT4_PKT5_S8_PT6_21rocsparse_index_base_b
; %bb.0:
	s_clause 0x1
	s_load_b64 s[12:13], s[0:1], 0x68
	s_load_b64 s[2:3], s[0:1], 0x8
	v_mov_b32_e32 v1, 0
	s_add_nc_u64 s[4:5], s[0:1], 8
	s_load_b64 s[6:7], s[0:1], 0x50
	s_wait_kmcnt 0x0
	s_bitcmp1_b32 s13, 0
	s_cselect_b32 s3, s5, s3
	s_cselect_b32 s2, s4, s2
	flat_load_b128 v[6:9], v1, s[2:3]
	s_wait_xcnt 0x0
	s_add_nc_u64 s[2:3], s[0:1], 0x50
	s_delay_alu instid0(SALU_CYCLE_1)
	s_cselect_b32 s3, s3, s7
	s_cselect_b32 s2, s2, s6
	flat_load_b128 v[2:5], v1, s[2:3]
	s_wait_loadcnt_dscnt 0x101
	v_cmp_eq_f64_e32 vcc_lo, 0, v[6:7]
	s_wait_xcnt 0x0
	v_cmp_eq_f64_e64 s2, 0, v[8:9]
	s_and_b32 s4, vcc_lo, s2
	s_mov_b32 s2, -1
	s_and_saveexec_b32 s3, s4
	s_cbranch_execz .LBB167_2
; %bb.1:
	s_wait_loadcnt_dscnt 0x0
	v_cmp_neq_f64_e32 vcc_lo, 1.0, v[2:3]
	v_cmp_neq_f64_e64 s2, 0, v[4:5]
	s_or_b32 s2, vcc_lo, s2
	s_delay_alu instid0(SALU_CYCLE_1)
	s_or_not1_b32 s2, s2, exec_lo
.LBB167_2:
	s_or_b32 exec_lo, exec_lo, s3
	s_and_saveexec_b32 s3, s2
	s_cbranch_execz .LBB167_8
; %bb.3:
	s_clause 0x1
	s_load_b64 s[4:5], s[0:1], 0x20
	s_load_b64 s[2:3], s[0:1], 0x0
	s_bfe_u32 s6, ttmp6, 0x4000c
	s_and_b32 s7, ttmp6, 15
	s_add_co_i32 s6, s6, 1
	s_getreg_b32 s8, hwreg(HW_REG_IB_STS2, 6, 4)
	s_mul_i32 s6, ttmp9, s6
	v_lshrrev_b32_e32 v1, 4, v0
	s_add_co_i32 s7, s7, s6
	s_cmp_eq_u32 s8, 0
	s_cselect_b32 s6, ttmp9, s7
	s_delay_alu instid0(VALU_DEP_1) | instid1(SALU_CYCLE_1)
	v_lshl_or_b32 v26, s6, 3, v1
	s_mov_b32 s6, 0
	s_wait_kmcnt 0x0
	s_cmp_lg_u64 s[4:5], 0
	s_cbranch_scc0 .LBB167_9
; %bb.4:
	s_load_b32 s6, s[0:1], 0x18
	s_mov_b32 s7, 0
                                        ; implicit-def: $vgpr1
	s_wait_kmcnt 0x0
	v_cmp_gt_i32_e32 vcc_lo, s6, v26
	s_mov_b32 s6, 0
	s_and_saveexec_b32 s8, vcc_lo
	s_delay_alu instid0(SALU_CYCLE_1)
	s_xor_b32 s8, exec_lo, s8
	s_cbranch_execz .LBB167_6
; %bb.5:
	global_load_b32 v1, v26, s[4:5] scale_offset
	s_mov_b32 s6, exec_lo
	s_wait_loadcnt 0x0
	v_subrev_nc_u32_e32 v1, s12, v1
.LBB167_6:
	s_or_b32 exec_lo, exec_lo, s8
	s_delay_alu instid0(SALU_CYCLE_1)
	s_and_b32 vcc_lo, exec_lo, s7
	s_cbranch_vccz .LBB167_10
.LBB167_7:
	v_cmp_gt_i32_e32 vcc_lo, s2, v26
	s_and_not1_b32 s2, s6, exec_lo
	s_and_b32 s4, vcc_lo, exec_lo
	s_delay_alu instid0(SALU_CYCLE_1) | instskip(NEXT) | instid1(SALU_CYCLE_1)
	s_or_b32 s6, s2, s4
	s_and_b32 exec_lo, exec_lo, s6
	s_cbranch_execnz .LBB167_11
.LBB167_8:
	s_sendmsg sendmsg(MSG_DEALLOC_VGPRS)
	s_endpgm
.LBB167_9:
                                        ; implicit-def: $vgpr1
	s_cbranch_execnz .LBB167_7
.LBB167_10:
	s_delay_alu instid0(VALU_DEP_1)
	v_mov_b32_e32 v26, v1
	s_and_b32 exec_lo, exec_lo, s6
	s_cbranch_execz .LBB167_8
.LBB167_11:
	s_load_b256 s[4:11], s[0:1], 0x28
	s_wait_kmcnt 0x0
	global_load_b32 v32, v26, s[4:5] scale_offset
	s_cmp_eq_u64 s[6:7], 0
	s_cselect_b32 vcc_lo, -1, 0
	v_ashrrev_i32_e32 v27, 31, v26
	s_cmp_eq_u32 s3, 1
	s_delay_alu instid0(VALU_DEP_1) | instskip(SKIP_1) | instid1(VALU_DEP_2)
	v_lshlrev_b64_e32 v[10:11], 2, v[26:27]
	v_and_b32_e32 v27, 15, v0
	v_add_nc_u64_e32 v[12:13], s[4:5], v[10:11]
	v_add_nc_u64_e32 v[10:11], s[6:7], v[10:11]
	s_wait_xcnt 0x0
	s_load_b64 s[4:5], s[0:1], 0x48
	s_delay_alu instid0(VALU_DEP_2) | instskip(NEXT) | instid1(VALU_DEP_1)
	v_add_nc_u64_e32 v[12:13], 4, v[12:13]
	v_cndmask_b32_e32 v11, v11, v13, vcc_lo
	s_wait_loadcnt 0x0
	v_subrev_nc_u32_e32 v0, s12, v32
	s_delay_alu instid0(VALU_DEP_1) | instskip(SKIP_2) | instid1(VALU_DEP_1)
	v_dual_cndmask_b32 v10, v10, v12, vcc_lo :: v_dual_add_nc_u32 v16, v0, v27
	global_load_b32 v10, v[10:11], off
	v_ashrrev_i32_e32 v17, 31, v16
	v_lshlrev_b64_e32 v[0:1], 7, v[16:17]
	s_delay_alu instid0(VALU_DEP_1) | instskip(SKIP_2) | instid1(VALU_DEP_1)
	v_add_nc_u64_e32 v[18:19], s[10:11], v[0:1]
	s_wait_loadcnt 0x0
	v_subrev_nc_u32_e32 v17, s12, v10
	v_cmp_lt_i32_e64 s2, v16, v17
	s_cbranch_scc1 .LBB167_23
; %bb.12:
	v_mov_b64_e32 v[0:1], 0
	v_mov_b64_e32 v[22:23], 0
	;; [unrolled: 1-line block ×8, first 2 shown]
	s_and_saveexec_b32 s3, s2
	s_cbranch_execz .LBB167_22
; %bb.13:
	v_add_nc_u32_e32 v0, v32, v27
	v_not_b32_e32 v1, v32
	v_mov_b64_e32 v[20:21], 0
	v_mov_b64_e32 v[14:15], 0
	;; [unrolled: 1-line block ×3, first 2 shown]
	v_subrev_nc_u32_e32 v0, s12, v0
	v_mov_b64_e32 v[12:13], 0
	v_mov_b64_e32 v[24:25], 0
	;; [unrolled: 1-line block ×4, first 2 shown]
	v_add_max_i32_e64 v0, v0, 16, v17
	v_mov_b64_e32 v[30:31], v[18:19]
	s_delay_alu instid0(VALU_DEP_2) | instskip(NEXT) | instid1(VALU_DEP_1)
	v_add3_u32 v0, s12, v0, v1
	v_sub_nc_u32_e32 v34, v0, v27
	v_mov_b64_e32 v[0:1], 0
	s_delay_alu instid0(VALU_DEP_2) | instskip(NEXT) | instid1(VALU_DEP_1)
	v_and_b32_e32 v33, 48, v34
	v_cmp_ne_u32_e32 vcc_lo, 48, v33
	v_mov_b32_e32 v33, v16
	s_and_saveexec_b32 s6, vcc_lo
	s_cbranch_execz .LBB167_17
; %bb.14:
	v_dual_mov_b32 v33, v16 :: v_dual_lshrrev_b32 v10, 4, v34
	v_mov_b64_e32 v[0:1], 0
	v_mov_b64_e32 v[22:23], 0
	;; [unrolled: 1-line block ×3, first 2 shown]
	s_delay_alu instid0(VALU_DEP_4)
	v_add_nc_u32_e32 v12, 1, v10
	v_mov_b64_e32 v[10:11], 0
	v_mov_b64_e32 v[28:29], 0
	;; [unrolled: 1-line block ×4, first 2 shown]
	v_and_b32_e32 v30, 3, v12
	v_mov_b64_e32 v[12:13], 0
	s_mov_b32 s7, 0
	s_delay_alu instid0(VALU_DEP_2)
	v_sub_nc_u32_e32 v35, 0, v30
	v_mov_b64_e32 v[30:31], v[18:19]
.LBB167_15:                             ; =>This Inner Loop Header: Depth=1
	global_load_b32 v52, v33, s[8:9] scale_offset
	s_clause 0x3
	global_load_b128 v[36:39], v[30:31], off
	global_load_b128 v[40:43], v[30:31], off offset:32
	global_load_b128 v[44:47], v[30:31], off offset:64
	;; [unrolled: 1-line block ×3, first 2 shown]
	v_add_co_u32 v35, s10, v35, 1
	s_or_b32 s7, s10, s7
	s_wait_xcnt 0x4
	v_add_nc_u32_e32 v33, 16, v33
	s_wait_loadcnt 0x4
	v_subrev_nc_u32_e32 v52, s12, v52
	s_wait_loadcnt 0x2
	v_cvt_f64_f32_e32 v[86:87], v40
	v_cvt_f64_f32_e32 v[40:41], v41
	s_wait_loadcnt 0x1
	v_cvt_f64_f32_e32 v[88:89], v44
	v_lshlrev_b32_e32 v84, 2, v52
	s_wait_kmcnt 0x0
	s_clause 0x1
	global_load_b128 v[52:55], v84, s[4:5] scale_offset
	global_load_b128 v[56:59], v84, s[4:5] offset:16 scale_offset
	s_clause 0x3
	global_load_b128 v[60:63], v[30:31], off offset:16
	global_load_b128 v[64:67], v[30:31], off offset:48
	;; [unrolled: 1-line block ×4, first 2 shown]
	s_clause 0x1
	global_load_b128 v[76:79], v84, s[4:5] offset:32 scale_offset
	global_load_b128 v[80:83], v84, s[4:5] offset:48 scale_offset
	s_wait_xcnt 0x0
	v_cvt_f64_f32_e32 v[84:85], v36
	v_cvt_f64_f32_e32 v[36:37], v37
	;; [unrolled: 1-line block ×3, first 2 shown]
	s_wait_loadcnt 0x8
	v_cvt_f64_f32_e32 v[90:91], v48
	v_cvt_f64_f32_e32 v[48:49], v49
	v_cvt_f64_f32_e32 v[92:93], v42
	v_cvt_f64_f32_e32 v[42:43], v43
	v_cvt_f64_f32_e32 v[94:95], v46
	v_cvt_f64_f32_e32 v[46:47], v47
	v_cvt_f64_f32_e32 v[96:97], v50
	v_cvt_f64_f32_e32 v[50:51], v51
	v_add_nc_u64_e32 v[30:31], 0x800, v[30:31]
	s_wait_loadcnt 0x7
	v_fmac_f64_e32 v[22:23], v[84:85], v[52:53]
	v_fmac_f64_e32 v[0:1], v[36:37], v[52:53]
	v_fmac_f64_e32 v[24:25], v[86:87], v[52:53]
	v_fmac_f64_e32 v[10:11], v[40:41], v[52:53]
	v_fmac_f64_e32 v[28:29], v[88:89], v[52:53]
	v_fmac_f64_e32 v[12:13], v[44:45], v[52:53]
	v_fmac_f64_e32 v[20:21], v[90:91], v[52:53]
	v_fmac_f64_e32 v[14:15], v[48:49], v[52:53]
	v_cvt_f64_f32_e32 v[52:53], v38
	v_cvt_f64_f32_e32 v[38:39], v39
	v_fma_f64 v[22:23], -v[36:37], v[54:55], v[22:23]
	v_fmac_f64_e32 v[0:1], v[84:85], v[54:55]
	v_fma_f64 v[24:25], -v[40:41], v[54:55], v[24:25]
	v_fmac_f64_e32 v[10:11], v[86:87], v[54:55]
	;; [unrolled: 2-line block ×4, first 2 shown]
	s_wait_loadcnt 0x5
	v_cvt_f64_f32_e32 v[36:37], v60
	v_cvt_f64_f32_e32 v[40:41], v61
	s_wait_loadcnt 0x4
	v_cvt_f64_f32_e32 v[44:45], v64
	v_cvt_f64_f32_e32 v[48:49], v65
	s_wait_loadcnt 0x3
	v_cvt_f64_f32_e32 v[54:55], v68
	s_wait_loadcnt 0x2
	v_cvt_f64_f32_e32 v[60:61], v72
	v_cvt_f64_f32_e32 v[64:65], v73
	v_fmac_f64_e32 v[22:23], v[52:53], v[56:57]
	v_fmac_f64_e32 v[0:1], v[38:39], v[56:57]
	;; [unrolled: 1-line block ×8, first 2 shown]
	v_cvt_f64_f32_e32 v[56:57], v69
	v_fma_f64 v[22:23], -v[38:39], v[58:59], v[22:23]
	v_fmac_f64_e32 v[0:1], v[52:53], v[58:59]
	v_fma_f64 v[24:25], -v[42:43], v[58:59], v[24:25]
	v_fmac_f64_e32 v[10:11], v[92:93], v[58:59]
	;; [unrolled: 2-line block ×4, first 2 shown]
	v_cvt_f64_f32_e32 v[38:39], v62
	v_cvt_f64_f32_e32 v[42:43], v63
	;; [unrolled: 1-line block ×8, first 2 shown]
	s_wait_loadcnt 0x1
	v_fmac_f64_e32 v[22:23], v[36:37], v[76:77]
	v_fmac_f64_e32 v[0:1], v[40:41], v[76:77]
	;; [unrolled: 1-line block ×8, first 2 shown]
	v_fma_f64 v[22:23], -v[40:41], v[78:79], v[22:23]
	v_fmac_f64_e32 v[0:1], v[36:37], v[78:79]
	v_fma_f64 v[24:25], -v[48:49], v[78:79], v[24:25]
	v_fmac_f64_e32 v[10:11], v[44:45], v[78:79]
	;; [unrolled: 2-line block ×4, first 2 shown]
	s_wait_loadcnt 0x0
	v_fmac_f64_e32 v[22:23], v[38:39], v[80:81]
	v_fmac_f64_e32 v[0:1], v[42:43], v[80:81]
	v_fmac_f64_e32 v[24:25], v[46:47], v[80:81]
	v_fmac_f64_e32 v[10:11], v[50:51], v[80:81]
	v_fmac_f64_e32 v[28:29], v[52:53], v[80:81]
	v_fmac_f64_e32 v[12:13], v[58:59], v[80:81]
	v_fmac_f64_e32 v[20:21], v[62:63], v[80:81]
	v_fmac_f64_e32 v[14:15], v[66:67], v[80:81]
	v_fma_f64 v[22:23], -v[42:43], v[82:83], v[22:23]
	v_fmac_f64_e32 v[0:1], v[38:39], v[82:83]
	v_fma_f64 v[24:25], -v[50:51], v[82:83], v[24:25]
	v_fmac_f64_e32 v[10:11], v[46:47], v[82:83]
	;; [unrolled: 2-line block ×4, first 2 shown]
	s_and_not1_b32 exec_lo, exec_lo, s7
	s_cbranch_execnz .LBB167_15
; %bb.16:
	s_or_b32 exec_lo, exec_lo, s7
.LBB167_17:
	s_delay_alu instid0(SALU_CYCLE_1) | instskip(NEXT) | instid1(SALU_CYCLE_1)
	s_or_b32 exec_lo, exec_lo, s6
	s_mov_b32 s6, exec_lo
	v_cmpx_lt_u32_e32 47, v34
	s_cbranch_execz .LBB167_21
; %bb.18:
	s_mov_b32 s7, 0
.LBB167_19:                             ; =>This Inner Loop Header: Depth=1
	s_clause 0x1
	global_load_b32 v50, v33, s[8:9] scale_offset
	global_load_b32 v98, v33, s[8:9] offset:64 scale_offset
	s_clause 0x3
	global_load_b128 v[34:37], v[30:31], off
	global_load_b128 v[38:41], v[30:31], off offset:32
	global_load_b128 v[42:45], v[30:31], off offset:64
	global_load_b128 v[46:49], v[30:31], off offset:96
	s_clause 0x1
	global_load_b32 v138, v33, s[8:9] offset:128 scale_offset
	global_load_b32 v139, v33, s[8:9] offset:192 scale_offset
	s_wait_xcnt 0x0
	v_add_nc_u32_e32 v33, 64, v33
	s_delay_alu instid0(VALU_DEP_1)
	v_cmp_ge_i32_e32 vcc_lo, v33, v17
	s_or_b32 s7, vcc_lo, s7
	s_wait_loadcnt 0x7
	v_subrev_nc_u32_e32 v50, s12, v50
	s_wait_loadcnt 0x6
	v_subrev_nc_u32_e32 v98, s12, v98
	s_wait_loadcnt 0x5
	v_cvt_f64_f32_e32 v[122:123], v34
	v_cvt_f64_f32_e32 v[34:35], v35
	s_wait_loadcnt 0x4
	v_cvt_f64_f32_e32 v[124:125], v38
	v_lshlrev_b32_e32 v99, 2, v50
	s_wait_kmcnt 0x0
	s_clause 0x1
	global_load_b128 v[50:53], v99, s[4:5] scale_offset
	global_load_b128 v[54:57], v99, s[4:5] offset:16 scale_offset
	s_clause 0x3
	global_load_b128 v[58:61], v[30:31], off offset:16
	global_load_b128 v[62:65], v[30:31], off offset:48
	;; [unrolled: 1-line block ×4, first 2 shown]
	s_clause 0x1
	global_load_b128 v[74:77], v99, s[4:5] offset:32 scale_offset
	global_load_b128 v[78:81], v99, s[4:5] offset:48 scale_offset
	s_clause 0x3
	global_load_b128 v[82:85], v[30:31], off offset:2048
	global_load_b128 v[86:89], v[30:31], off offset:2080
	;; [unrolled: 1-line block ×4, first 2 shown]
	v_cvt_f64_f32_e32 v[38:39], v39
	s_wait_loadcnt 0xf
	v_cvt_f64_f32_e32 v[126:127], v42
	v_cvt_f64_f32_e32 v[42:43], v43
	s_wait_loadcnt 0xe
	v_cvt_f64_f32_e32 v[128:129], v46
	v_cvt_f64_f32_e32 v[46:47], v47
	;; [unrolled: 1-line block ×8, first 2 shown]
	s_wait_loadcnt 0xb
	v_fmac_f64_e32 v[24:25], v[124:125], v[50:51]
	v_lshlrev_b32_e32 v136, 2, v98
	v_fmac_f64_e32 v[22:23], v[122:123], v[50:51]
	v_fmac_f64_e32 v[0:1], v[34:35], v[50:51]
	;; [unrolled: 1-line block ×7, first 2 shown]
	v_cvt_f64_f32_e32 v[50:51], v36
	v_cvt_f64_f32_e32 v[36:37], v37
	v_fma_f64 v[24:25], -v[38:39], v[52:53], v[24:25]
	s_clause 0x1
	global_load_b128 v[98:101], v136, s[4:5] scale_offset
	global_load_b128 v[102:105], v136, s[4:5] offset:16 scale_offset
	s_clause 0x3
	global_load_b128 v[106:109], v[30:31], off offset:2064
	global_load_b128 v[110:113], v[30:31], off offset:2096
	;; [unrolled: 1-line block ×4, first 2 shown]
	v_fma_f64 v[34:35], -v[34:35], v[52:53], v[22:23]
	v_fmac_f64_e32 v[0:1], v[122:123], v[52:53]
	v_fmac_f64_e32 v[10:11], v[124:125], v[52:53]
	v_fma_f64 v[28:29], -v[42:43], v[52:53], v[28:29]
	v_fmac_f64_e32 v[12:13], v[126:127], v[52:53]
	v_fma_f64 v[38:39], -v[46:47], v[52:53], v[20:21]
	v_fmac_f64_e32 v[14:15], v[128:129], v[52:53]
	global_load_b128 v[20:23], v136, s[4:5] offset:32 scale_offset
	s_wait_loadcnt 0xf
	v_cvt_f64_f32_e32 v[122:123], v62
	v_cvt_f64_f32_e32 v[62:63], v63
	s_wait_loadcnt 0xe
	v_cvt_f64_f32_e32 v[124:125], v66
	v_cvt_f64_f32_e32 v[66:67], v67
	;; [unrolled: 3-line block ×3, first 2 shown]
	v_fmac_f64_e32 v[24:25], v[130:131], v[54:55]
	v_fmac_f64_e32 v[34:35], v[50:51], v[54:55]
	;; [unrolled: 1-line block ×8, first 2 shown]
	v_cvt_f64_f32_e32 v[54:55], v58
	v_cvt_f64_f32_e32 v[58:59], v59
	v_fma_f64 v[24:25], -v[40:41], v[56:57], v[24:25]
	v_fma_f64 v[128:129], -v[36:37], v[56:57], v[34:35]
	v_fmac_f64_e32 v[0:1], v[50:51], v[56:57]
	v_fmac_f64_e32 v[10:11], v[130:131], v[56:57]
	v_fma_f64 v[28:29], -v[44:45], v[56:57], v[28:29]
	v_fmac_f64_e32 v[12:13], v[132:133], v[56:57]
	v_fma_f64 v[130:131], -v[48:49], v[56:57], v[38:39]
	v_fmac_f64_e32 v[14:15], v[134:135], v[56:57]
	global_load_b128 v[34:37], v136, s[4:5] offset:48 scale_offset
	s_clause 0x3
	global_load_b128 v[38:41], v[30:31], off offset:4096
	global_load_b128 v[42:45], v[30:31], off offset:4128
	;; [unrolled: 1-line block ×4, first 2 shown]
	v_cvt_f64_f32_e32 v[132:133], v64
	v_cvt_f64_f32_e32 v[64:65], v65
	;; [unrolled: 1-line block ×4, first 2 shown]
	s_wait_xcnt 0x4
	v_cvt_f64_f32_e32 v[136:137], v72
	v_cvt_f64_f32_e32 v[72:73], v73
	s_wait_loadcnt 0x11
	v_fmac_f64_e32 v[24:25], v[122:123], v[74:75]
	v_fmac_f64_e32 v[128:129], v[54:55], v[74:75]
	;; [unrolled: 1-line block ×8, first 2 shown]
	v_cvt_f64_f32_e32 v[74:75], v60
	v_cvt_f64_f32_e32 v[60:61], v61
	v_fma_f64 v[24:25], -v[62:63], v[76:77], v[24:25]
	v_fma_f64 v[58:59], -v[58:59], v[76:77], v[128:129]
	v_fmac_f64_e32 v[0:1], v[54:55], v[76:77]
	v_fmac_f64_e32 v[10:11], v[122:123], v[76:77]
	v_fma_f64 v[28:29], -v[66:67], v[76:77], v[28:29]
	v_fmac_f64_e32 v[12:13], v[124:125], v[76:77]
	v_fma_f64 v[62:63], -v[70:71], v[76:77], v[130:131]
	v_fmac_f64_e32 v[14:15], v[126:127], v[76:77]
	v_subrev_nc_u32_e32 v54, s12, v138
	s_wait_loadcnt 0xe
	v_cvt_f64_f32_e32 v[122:123], v86
	v_cvt_f64_f32_e32 v[86:87], v87
	s_wait_loadcnt 0xd
	v_cvt_f64_f32_e32 v[124:125], v90
	v_cvt_f64_f32_e32 v[90:91], v91
	v_lshlrev_b32_e32 v138, 2, v54
	s_wait_loadcnt 0xc
	v_cvt_f64_f32_e32 v[126:127], v94
	v_cvt_f64_f32_e32 v[94:95], v95
	global_load_b128 v[54:57], v138, s[4:5] scale_offset
	v_fmac_f64_e32 v[24:25], v[132:133], v[78:79]
	v_fmac_f64_e32 v[58:59], v[74:75], v[78:79]
	;; [unrolled: 1-line block ×8, first 2 shown]
	v_cvt_f64_f32_e32 v[78:79], v82
	v_cvt_f64_f32_e32 v[82:83], v83
	v_fma_f64 v[24:25], -v[64:65], v[80:81], v[24:25]
	v_fma_f64 v[128:129], -v[60:61], v[80:81], v[58:59]
	v_fmac_f64_e32 v[0:1], v[74:75], v[80:81]
	v_fmac_f64_e32 v[10:11], v[132:133], v[80:81]
	v_fma_f64 v[28:29], -v[68:69], v[80:81], v[28:29]
	v_fmac_f64_e32 v[12:13], v[134:135], v[80:81]
	v_fma_f64 v[130:131], -v[72:73], v[80:81], v[62:63]
	v_fmac_f64_e32 v[14:15], v[136:137], v[80:81]
	global_load_b128 v[58:61], v138, s[4:5] offset:16 scale_offset
	s_clause 0x3
	global_load_b128 v[62:65], v[30:31], off offset:4112
	global_load_b128 v[66:69], v[30:31], off offset:4144
	;; [unrolled: 1-line block ×4, first 2 shown]
	v_cvt_f64_f32_e32 v[132:133], v88
	v_cvt_f64_f32_e32 v[88:89], v89
	;; [unrolled: 1-line block ×6, first 2 shown]
	s_wait_loadcnt 0x11
	v_fmac_f64_e32 v[128:129], v[78:79], v[98:99]
	v_fmac_f64_e32 v[0:1], v[82:83], v[98:99]
	;; [unrolled: 1-line block ×8, first 2 shown]
	v_cvt_f64_f32_e32 v[98:99], v84
	v_cvt_f64_f32_e32 v[84:85], v85
	v_fma_f64 v[82:83], -v[82:83], v[100:101], v[128:129]
	v_fmac_f64_e32 v[0:1], v[78:79], v[100:101]
	v_fma_f64 v[24:25], -v[86:87], v[100:101], v[24:25]
	v_fmac_f64_e32 v[10:11], v[122:123], v[100:101]
	v_fma_f64 v[28:29], -v[90:91], v[100:101], v[28:29]
	v_fmac_f64_e32 v[12:13], v[124:125], v[100:101]
	v_fma_f64 v[86:87], -v[94:95], v[100:101], v[130:131]
	v_fmac_f64_e32 v[14:15], v[126:127], v[100:101]
	global_load_b128 v[78:81], v138, s[4:5] offset:32 scale_offset
	s_wait_loadcnt 0xf
	v_cvt_f64_f32_e32 v[122:123], v110
	v_cvt_f64_f32_e32 v[110:111], v111
	s_wait_loadcnt 0xe
	v_cvt_f64_f32_e32 v[124:125], v114
	v_cvt_f64_f32_e32 v[114:115], v115
	;; [unrolled: 3-line block ×3, first 2 shown]
	v_fmac_f64_e32 v[82:83], v[98:99], v[102:103]
	v_fmac_f64_e32 v[0:1], v[84:85], v[102:103]
	;; [unrolled: 1-line block ×8, first 2 shown]
	v_cvt_f64_f32_e32 v[102:103], v106
	v_cvt_f64_f32_e32 v[106:107], v107
	v_fma_f64 v[128:129], -v[84:85], v[104:105], v[82:83]
	v_fmac_f64_e32 v[0:1], v[98:99], v[104:105]
	v_fma_f64 v[24:25], -v[88:89], v[104:105], v[24:25]
	v_fmac_f64_e32 v[10:11], v[132:133], v[104:105]
	;; [unrolled: 2-line block ×4, first 2 shown]
	global_load_b128 v[82:85], v138, s[4:5] offset:48 scale_offset
	s_clause 0x3
	global_load_b128 v[86:89], v[30:31], off offset:6176
	global_load_b128 v[90:93], v[30:31], off offset:6144
	;; [unrolled: 1-line block ×4, first 2 shown]
	v_cvt_f64_f32_e32 v[104:105], v108
	v_cvt_f64_f32_e32 v[108:109], v109
	;; [unrolled: 1-line block ×8, first 2 shown]
	s_wait_loadcnt 0x11
	v_fmac_f64_e32 v[128:129], v[102:103], v[20:21]
	v_fmac_f64_e32 v[0:1], v[106:107], v[20:21]
	;; [unrolled: 1-line block ×8, first 2 shown]
	v_subrev_nc_u32_e32 v20, s12, v139
	s_wait_xcnt 0x4
	s_delay_alu instid0(VALU_DEP_1)
	v_dual_fma_f64 v[106:107], -v[106:107], v[22:23], v[128:129] :: v_dual_lshlrev_b32 v138, 2, v20
	v_fmac_f64_e32 v[0:1], v[102:103], v[22:23]
	v_fma_f64 v[24:25], -v[110:111], v[22:23], v[24:25]
	v_fmac_f64_e32 v[10:11], v[122:123], v[22:23]
	v_fma_f64 v[28:29], -v[114:115], v[22:23], v[28:29]
	;; [unrolled: 2-line block ×3, first 2 shown]
	v_fmac_f64_e32 v[14:15], v[126:127], v[22:23]
	global_load_b128 v[20:23], v138, s[4:5] scale_offset
	s_wait_loadcnt 0x10
	v_cvt_f64_f32_e32 v[118:119], v38
	v_cvt_f64_f32_e32 v[38:39], v39
	s_wait_loadcnt 0xf
	v_cvt_f64_f32_e32 v[122:123], v42
	v_cvt_f64_f32_e32 v[42:43], v43
	;; [unrolled: 3-line block ×4, first 2 shown]
	v_cvt_f64_f32_e32 v[130:131], v41
	v_fmac_f64_e32 v[106:107], v[104:105], v[34:35]
	v_fmac_f64_e32 v[0:1], v[108:109], v[34:35]
	;; [unrolled: 1-line block ×8, first 2 shown]
	v_fma_f64 v[128:129], -v[108:109], v[36:37], v[106:107]
	v_fmac_f64_e32 v[0:1], v[104:105], v[36:37]
	v_fma_f64 v[24:25], -v[112:113], v[36:37], v[24:25]
	v_fmac_f64_e32 v[10:11], v[132:133], v[36:37]
	;; [unrolled: 2-line block ×4, first 2 shown]
	global_load_b128 v[34:37], v138, s[4:5] offset:16 scale_offset
	s_clause 0x3
	global_load_b128 v[102:105], v[30:31], off offset:6192
	global_load_b128 v[106:109], v[30:31], off offset:6160
	;; [unrolled: 1-line block ×4, first 2 shown]
	v_cvt_f64_f32_e32 v[132:133], v44
	v_cvt_f64_f32_e32 v[44:45], v45
	;; [unrolled: 1-line block ×6, first 2 shown]
	s_wait_xcnt 0x0
	v_add_nc_u64_e32 v[30:31], 0x2000, v[30:31]
	s_wait_loadcnt 0x11
	v_fmac_f64_e32 v[128:129], v[118:119], v[54:55]
	v_fmac_f64_e32 v[0:1], v[38:39], v[54:55]
	;; [unrolled: 1-line block ×8, first 2 shown]
	v_cvt_f64_f32_e32 v[54:55], v40
	v_fma_f64 v[128:129], -v[38:39], v[56:57], v[128:129]
	v_fmac_f64_e32 v[0:1], v[118:119], v[56:57]
	v_fma_f64 v[24:25], -v[42:43], v[56:57], v[24:25]
	v_fmac_f64_e32 v[10:11], v[122:123], v[56:57]
	;; [unrolled: 2-line block ×4, first 2 shown]
	global_load_b128 v[38:41], v138, s[4:5] offset:32 scale_offset
	s_wait_loadcnt 0x10
	v_cvt_f64_f32_e32 v[46:47], v62
	v_cvt_f64_f32_e32 v[50:51], v63
	s_wait_loadcnt 0xf
	v_cvt_f64_f32_e32 v[56:57], v66
	s_wait_loadcnt 0xe
	v_cvt_f64_f32_e32 v[62:63], v70
	v_fmac_f64_e32 v[128:129], v[54:55], v[58:59]
	v_fmac_f64_e32 v[0:1], v[130:131], v[58:59]
	;; [unrolled: 1-line block ×8, first 2 shown]
	v_cvt_f64_f32_e32 v[58:59], v67
	v_cvt_f64_f32_e32 v[66:67], v71
	s_wait_loadcnt 0xd
	v_cvt_f64_f32_e32 v[70:71], v74
	v_cvt_f64_f32_e32 v[74:75], v75
	v_fma_f64 v[118:119], -v[130:131], v[60:61], v[128:129]
	v_fmac_f64_e32 v[0:1], v[54:55], v[60:61]
	v_fma_f64 v[24:25], -v[44:45], v[60:61], v[24:25]
	v_fmac_f64_e32 v[10:11], v[132:133], v[60:61]
	;; [unrolled: 2-line block ×4, first 2 shown]
	global_load_b128 v[42:45], v138, s[4:5] offset:48 scale_offset
	v_cvt_f64_f32_e32 v[52:53], v64
	v_cvt_f64_f32_e32 v[54:55], v65
	;; [unrolled: 1-line block ×6, first 2 shown]
	s_wait_loadcnt 0xd
	v_fmac_f64_e32 v[118:119], v[46:47], v[78:79]
	v_fmac_f64_e32 v[0:1], v[50:51], v[78:79]
	v_fmac_f64_e32 v[24:25], v[56:57], v[78:79]
	v_fmac_f64_e32 v[10:11], v[58:59], v[78:79]
	v_fmac_f64_e32 v[28:29], v[62:63], v[78:79]
	v_fmac_f64_e32 v[12:13], v[66:67], v[78:79]
	v_fmac_f64_e32 v[48:49], v[70:71], v[78:79]
	v_fmac_f64_e32 v[14:15], v[74:75], v[78:79]
	v_cvt_f64_f32_e32 v[78:79], v76
	v_cvt_f64_f32_e32 v[76:77], v77
	v_fma_f64 v[50:51], -v[50:51], v[80:81], v[118:119]
	v_fmac_f64_e32 v[0:1], v[46:47], v[80:81]
	v_fma_f64 v[24:25], -v[58:59], v[80:81], v[24:25]
	v_fmac_f64_e32 v[10:11], v[56:57], v[80:81]
	v_fma_f64 v[28:29], -v[66:67], v[80:81], v[28:29]
	v_fmac_f64_e32 v[12:13], v[62:63], v[80:81]
	v_fma_f64 v[46:47], -v[74:75], v[80:81], v[48:49]
	v_fmac_f64_e32 v[14:15], v[70:71], v[80:81]
	s_wait_loadcnt 0xa
	v_cvt_f64_f32_e32 v[48:49], v90
	v_cvt_f64_f32_e32 v[56:57], v91
	;; [unrolled: 1-line block ×4, first 2 shown]
	s_wait_loadcnt 0x9
	v_cvt_f64_f32_e32 v[66:67], v94
	v_cvt_f64_f32_e32 v[70:71], v95
	s_wait_loadcnt 0x8
	v_cvt_f64_f32_e32 v[74:75], v98
	v_cvt_f64_f32_e32 v[80:81], v99
	v_fmac_f64_e32 v[50:51], v[52:53], v[82:83]
	v_fmac_f64_e32 v[0:1], v[54:55], v[82:83]
	;; [unrolled: 1-line block ×8, first 2 shown]
	v_fma_f64 v[50:51], -v[54:55], v[84:85], v[50:51]
	v_fmac_f64_e32 v[0:1], v[52:53], v[84:85]
	v_fma_f64 v[24:25], -v[64:65], v[84:85], v[24:25]
	v_fmac_f64_e32 v[10:11], v[60:61], v[84:85]
	;; [unrolled: 2-line block ×4, first 2 shown]
	v_cvt_f64_f32_e32 v[52:53], v93
	v_cvt_f64_f32_e32 v[54:55], v88
	;; [unrolled: 1-line block ×7, first 2 shown]
	s_wait_loadcnt 0x7
	v_fmac_f64_e32 v[50:51], v[48:49], v[20:21]
	v_fmac_f64_e32 v[0:1], v[56:57], v[20:21]
	v_fmac_f64_e32 v[24:25], v[58:59], v[20:21]
	v_fmac_f64_e32 v[10:11], v[62:63], v[20:21]
	v_fmac_f64_e32 v[28:29], v[66:67], v[20:21]
	v_fmac_f64_e32 v[12:13], v[70:71], v[20:21]
	v_fmac_f64_e32 v[46:47], v[74:75], v[20:21]
	v_fmac_f64_e32 v[14:15], v[80:81], v[20:21]
	v_cvt_f64_f32_e32 v[20:21], v92
	v_fma_f64 v[50:51], -v[56:57], v[22:23], v[50:51]
	v_fmac_f64_e32 v[0:1], v[48:49], v[22:23]
	v_fma_f64 v[24:25], -v[62:63], v[22:23], v[24:25]
	v_fmac_f64_e32 v[10:11], v[58:59], v[22:23]
	;; [unrolled: 2-line block ×4, first 2 shown]
	s_wait_loadcnt 0x4
	v_cvt_f64_f32_e32 v[22:23], v106
	v_cvt_f64_f32_e32 v[48:49], v102
	;; [unrolled: 1-line block ×3, first 2 shown]
	s_wait_loadcnt 0x3
	v_cvt_f64_f32_e32 v[58:59], v110
	v_cvt_f64_f32_e32 v[62:63], v111
	s_wait_loadcnt 0x2
	v_cvt_f64_f32_e32 v[66:67], v114
	v_cvt_f64_f32_e32 v[70:71], v115
	v_fmac_f64_e32 v[50:51], v[20:21], v[34:35]
	v_fmac_f64_e32 v[0:1], v[52:53], v[34:35]
	v_fmac_f64_e32 v[24:25], v[54:55], v[34:35]
	v_fmac_f64_e32 v[10:11], v[60:61], v[34:35]
	v_fmac_f64_e32 v[28:29], v[64:65], v[34:35]
	v_fmac_f64_e32 v[12:13], v[68:69], v[34:35]
	v_fmac_f64_e32 v[46:47], v[72:73], v[34:35]
	v_fmac_f64_e32 v[14:15], v[76:77], v[34:35]
	v_cvt_f64_f32_e32 v[34:35], v107
	v_fma_f64 v[50:51], -v[52:53], v[36:37], v[50:51]
	v_fmac_f64_e32 v[0:1], v[20:21], v[36:37]
	v_fma_f64 v[20:21], -v[60:61], v[36:37], v[24:25]
	v_fmac_f64_e32 v[10:11], v[54:55], v[36:37]
	;; [unrolled: 2-line block ×4, first 2 shown]
	v_cvt_f64_f32_e32 v[36:37], v108
	v_cvt_f64_f32_e32 v[46:47], v104
	;; [unrolled: 1-line block ×7, first 2 shown]
	s_wait_loadcnt 0x1
	v_fmac_f64_e32 v[50:51], v[22:23], v[38:39]
	v_fmac_f64_e32 v[0:1], v[34:35], v[38:39]
	;; [unrolled: 1-line block ×8, first 2 shown]
	v_cvt_f64_f32_e32 v[38:39], v109
	v_fma_f64 v[34:35], -v[34:35], v[40:41], v[50:51]
	v_fmac_f64_e32 v[0:1], v[22:23], v[40:41]
	v_fma_f64 v[20:21], -v[56:57], v[40:41], v[20:21]
	v_fmac_f64_e32 v[10:11], v[48:49], v[40:41]
	;; [unrolled: 2-line block ×4, first 2 shown]
	s_wait_loadcnt 0x0
	v_fmac_f64_e32 v[34:35], v[36:37], v[42:43]
	v_fmac_f64_e32 v[0:1], v[38:39], v[42:43]
	;; [unrolled: 1-line block ×8, first 2 shown]
	v_fma_f64 v[22:23], -v[38:39], v[44:45], v[34:35]
	v_fmac_f64_e32 v[0:1], v[36:37], v[44:45]
	v_fma_f64 v[24:25], -v[52:53], v[44:45], v[20:21]
	v_fmac_f64_e32 v[10:11], v[46:47], v[44:45]
	;; [unrolled: 2-line block ×4, first 2 shown]
	s_and_not1_b32 exec_lo, exec_lo, s7
	s_cbranch_execnz .LBB167_19
; %bb.20:
	s_or_b32 exec_lo, exec_lo, s7
.LBB167_21:
	s_delay_alu instid0(SALU_CYCLE_1)
	s_or_b32 exec_lo, exec_lo, s6
.LBB167_22:
	s_delay_alu instid0(SALU_CYCLE_1)
	s_or_b32 exec_lo, exec_lo, s3
	s_cbranch_execz .LBB167_24
	s_branch .LBB167_35
.LBB167_23:
                                        ; implicit-def: $vgpr0_vgpr1
                                        ; implicit-def: $vgpr22_vgpr23
                                        ; implicit-def: $vgpr10_vgpr11
                                        ; implicit-def: $vgpr24_vgpr25
                                        ; implicit-def: $vgpr12_vgpr13
                                        ; implicit-def: $vgpr28_vgpr29
                                        ; implicit-def: $vgpr14_vgpr15
                                        ; implicit-def: $vgpr20_vgpr21
.LBB167_24:
	v_mov_b64_e32 v[0:1], 0
	v_mov_b64_e32 v[22:23], 0
	v_mov_b64_e32 v[10:11], 0
	v_mov_b64_e32 v[24:25], 0
	v_mov_b64_e32 v[12:13], 0
	v_mov_b64_e32 v[28:29], 0
	v_mov_b64_e32 v[14:15], 0
	v_mov_b64_e32 v[20:21], 0
	s_and_saveexec_b32 s3, s2
	s_cbranch_execz .LBB167_34
; %bb.25:
	v_add_nc_u32_e32 v0, v32, v27
	v_not_b32_e32 v1, v32
	v_mov_b64_e32 v[20:21], 0
	v_mov_b64_e32 v[14:15], 0
	;; [unrolled: 1-line block ×3, first 2 shown]
	v_subrev_nc_u32_e32 v0, s12, v0
	v_mov_b64_e32 v[12:13], 0
	v_mov_b64_e32 v[24:25], 0
	v_mov_b64_e32 v[10:11], 0
	v_mov_b64_e32 v[22:23], 0
	v_add_max_i32_e64 v0, v0, 16, v17
	s_mov_b32 s2, exec_lo
	s_delay_alu instid0(VALU_DEP_1) | instskip(NEXT) | instid1(VALU_DEP_1)
	v_add3_u32 v0, s12, v0, v1
	v_sub_nc_u32_e32 v30, v0, v27
	v_mov_b64_e32 v[0:1], 0
	s_delay_alu instid0(VALU_DEP_2) | instskip(NEXT) | instid1(VALU_DEP_1)
	v_and_b32_e32 v31, 48, v30
	v_cmpx_ne_u32_e32 48, v31
	s_cbranch_execz .LBB167_29
; %bb.26:
	v_lshrrev_b32_e32 v0, 4, v30
	v_mov_b64_e32 v[22:23], 0
	v_mov_b64_e32 v[10:11], 0
	;; [unrolled: 1-line block ×4, first 2 shown]
	v_add_nc_u32_e32 v12, 1, v0
	v_mov_b64_e32 v[0:1], 0
	v_mov_b64_e32 v[14:15], 0
	;; [unrolled: 1-line block ×3, first 2 shown]
	s_mov_b32 s6, 0
	v_and_b32_e32 v31, 3, v12
	v_mov_b64_e32 v[12:13], 0
	s_delay_alu instid0(VALU_DEP_2)
	v_sub_nc_u32_e32 v31, 0, v31
.LBB167_27:                             ; =>This Inner Loop Header: Depth=1
	global_load_b32 v40, v16, s[8:9] scale_offset
	s_clause 0x1
	global_load_b128 v[32:35], v[18:19], off
	global_load_b128 v[36:39], v[18:19], off offset:16
	v_add_co_u32 v31, s7, v31, 1
	s_or_b32 s6, s7, s6
	s_wait_xcnt 0x2
	v_add_nc_u32_e32 v16, 16, v16
	s_wait_loadcnt 0x2
	v_subrev_nc_u32_e32 v40, s12, v40
	s_wait_loadcnt 0x1
	v_cvt_f64_f32_e32 v[82:83], v34
	v_cvt_f64_f32_e32 v[34:35], v35
	s_wait_loadcnt 0x0
	v_cvt_f64_f32_e32 v[84:85], v36
	v_cvt_f64_f32_e32 v[36:37], v37
	v_lshlrev_b32_e32 v80, 2, v40
	s_wait_kmcnt 0x0
	s_clause 0x1
	global_load_b128 v[40:43], v80, s[4:5] scale_offset
	global_load_b128 v[44:47], v80, s[4:5] offset:16 scale_offset
	s_clause 0x3
	global_load_b128 v[48:51], v[18:19], off offset:32
	global_load_b128 v[52:55], v[18:19], off offset:48
	;; [unrolled: 1-line block ×4, first 2 shown]
	s_clause 0x1
	global_load_b128 v[64:67], v80, s[4:5] offset:32 scale_offset
	global_load_b128 v[68:71], v80, s[4:5] offset:48 scale_offset
	s_clause 0x1
	global_load_b128 v[72:75], v[18:19], off offset:96
	global_load_b128 v[76:79], v[18:19], off offset:112
	s_wait_xcnt 0x2
	v_cvt_f64_f32_e32 v[80:81], v32
	v_cvt_f64_f32_e32 v[32:33], v33
	;; [unrolled: 1-line block ×4, first 2 shown]
	s_wait_xcnt 0x0
	v_add_nc_u64_e32 v[18:19], 0x800, v[18:19]
	s_wait_loadcnt 0x9
	v_fmac_f64_e32 v[22:23], v[80:81], v[40:41]
	v_fmac_f64_e32 v[0:1], v[32:33], v[40:41]
	;; [unrolled: 1-line block ×8, first 2 shown]
	s_wait_loadcnt 0x7
	v_cvt_f64_f32_e32 v[40:41], v48
	v_cvt_f64_f32_e32 v[48:49], v49
	;; [unrolled: 1-line block ×4, first 2 shown]
	s_wait_loadcnt 0x6
	v_cvt_f64_f32_e32 v[90:91], v52
	v_cvt_f64_f32_e32 v[52:53], v53
	;; [unrolled: 1-line block ×4, first 2 shown]
	v_fma_f64 v[22:23], -v[32:33], v[42:43], v[22:23]
	v_fmac_f64_e32 v[0:1], v[80:81], v[42:43]
	v_fma_f64 v[24:25], -v[34:35], v[42:43], v[24:25]
	v_fmac_f64_e32 v[10:11], v[82:83], v[42:43]
	;; [unrolled: 2-line block ×4, first 2 shown]
	s_wait_loadcnt 0x5
	v_cvt_f64_f32_e32 v[32:33], v56
	v_cvt_f64_f32_e32 v[34:35], v57
	;; [unrolled: 1-line block ×4, first 2 shown]
	s_wait_loadcnt 0x4
	v_cvt_f64_f32_e32 v[42:43], v60
	v_cvt_f64_f32_e32 v[56:57], v62
	;; [unrolled: 1-line block ×3, first 2 shown]
	s_wait_loadcnt 0x0
	v_cvt_f64_f32_e32 v[62:63], v79
	v_fmac_f64_e32 v[22:23], v[40:41], v[44:45]
	v_fmac_f64_e32 v[0:1], v[48:49], v[44:45]
	;; [unrolled: 1-line block ×8, first 2 shown]
	v_cvt_f64_f32_e32 v[44:45], v61
	v_cvt_f64_f32_e32 v[60:61], v78
	v_fma_f64 v[22:23], -v[48:49], v[46:47], v[22:23]
	v_fmac_f64_e32 v[0:1], v[40:41], v[46:47]
	v_fma_f64 v[24:25], -v[50:51], v[46:47], v[24:25]
	v_fmac_f64_e32 v[10:11], v[88:89], v[46:47]
	;; [unrolled: 2-line block ×4, first 2 shown]
	v_cvt_f64_f32_e32 v[40:41], v72
	v_cvt_f64_f32_e32 v[46:47], v73
	;; [unrolled: 1-line block ×6, first 2 shown]
	v_fmac_f64_e32 v[22:23], v[32:33], v[64:65]
	v_fmac_f64_e32 v[0:1], v[34:35], v[64:65]
	;; [unrolled: 1-line block ×8, first 2 shown]
	v_fma_f64 v[22:23], -v[34:35], v[66:67], v[22:23]
	v_fmac_f64_e32 v[0:1], v[32:33], v[66:67]
	v_fma_f64 v[24:25], -v[38:39], v[66:67], v[24:25]
	v_fmac_f64_e32 v[10:11], v[36:37], v[66:67]
	;; [unrolled: 2-line block ×4, first 2 shown]
	v_fmac_f64_e32 v[22:23], v[40:41], v[68:69]
	v_fmac_f64_e32 v[0:1], v[46:47], v[68:69]
	;; [unrolled: 1-line block ×8, first 2 shown]
	v_fma_f64 v[22:23], -v[46:47], v[70:71], v[22:23]
	v_fmac_f64_e32 v[0:1], v[40:41], v[70:71]
	v_fma_f64 v[24:25], -v[50:51], v[70:71], v[24:25]
	v_fmac_f64_e32 v[10:11], v[48:49], v[70:71]
	;; [unrolled: 2-line block ×4, first 2 shown]
	s_and_not1_b32 exec_lo, exec_lo, s6
	s_cbranch_execnz .LBB167_27
; %bb.28:
	s_or_b32 exec_lo, exec_lo, s6
.LBB167_29:
	s_delay_alu instid0(SALU_CYCLE_1) | instskip(NEXT) | instid1(SALU_CYCLE_1)
	s_or_b32 exec_lo, exec_lo, s2
	s_mov_b32 s2, exec_lo
	v_cmpx_lt_u32_e32 47, v30
	s_cbranch_execz .LBB167_33
; %bb.30:
	s_mov_b32 s6, 0
.LBB167_31:                             ; =>This Inner Loop Header: Depth=1
	s_clause 0x1
	global_load_b32 v38, v16, s[8:9] scale_offset
	global_load_b32 v86, v16, s[8:9] offset:64 scale_offset
	s_clause 0x1
	global_load_b128 v[30:33], v[18:19], off
	global_load_b128 v[34:37], v[18:19], off offset:16
	s_clause 0x1
	global_load_b32 v130, v16, s[8:9] offset:128 scale_offset
	global_load_b32 v134, v16, s[8:9] offset:192 scale_offset
	s_wait_xcnt 0x0
	v_add_nc_u32_e32 v16, 64, v16
	s_delay_alu instid0(VALU_DEP_1)
	v_cmp_ge_i32_e32 vcc_lo, v16, v17
	s_or_b32 s6, vcc_lo, s6
	s_wait_loadcnt 0x5
	v_subrev_nc_u32_e32 v38, s12, v38
	s_wait_loadcnt 0x4
	v_subrev_nc_u32_e32 v86, s12, v86
	s_wait_loadcnt 0x3
	v_cvt_f64_f32_e32 v[104:105], v31
	v_cvt_f64_f32_e32 v[106:107], v32
	;; [unrolled: 1-line block ×3, first 2 shown]
	v_lshlrev_b32_e32 v87, 2, v38
	s_wait_kmcnt 0x0
	global_load_b128 v[38:41], v87, s[4:5] scale_offset
	s_clause 0x1
	global_load_b128 v[42:45], v[18:19], off offset:32
	global_load_b128 v[46:49], v[18:19], off offset:48
	global_load_b128 v[50:53], v87, s[4:5] offset:16 scale_offset
	s_clause 0x1
	global_load_b128 v[54:57], v[18:19], off offset:64
	global_load_b128 v[58:61], v[18:19], off offset:80
	global_load_b128 v[62:65], v87, s[4:5] offset:32 scale_offset
	;; [unrolled: 4-line block ×3, first 2 shown]
	s_clause 0x1
	global_load_b128 v[78:81], v[18:19], off offset:2048
	global_load_b128 v[82:85], v[18:19], off offset:2064
	v_cvt_f64_f32_e32 v[102:103], v30
	s_wait_loadcnt 0xe
	v_cvt_f64_f32_e32 v[110:111], v34
	v_cvt_f64_f32_e32 v[112:113], v35
	;; [unrolled: 1-line block ×4, first 2 shown]
	s_wait_loadcnt 0xb
	v_fmac_f64_e32 v[24:25], v[106:107], v[38:39]
	v_lshlrev_b32_e32 v131, 2, v86
	v_fmac_f64_e32 v[22:23], v[102:103], v[38:39]
	v_fmac_f64_e32 v[0:1], v[104:105], v[38:39]
	;; [unrolled: 1-line block ×7, first 2 shown]
	s_wait_loadcnt 0xa
	v_cvt_f64_f32_e32 v[118:119], v42
	v_cvt_f64_f32_e32 v[120:121], v43
	;; [unrolled: 1-line block ×4, first 2 shown]
	s_wait_loadcnt 0x9
	v_cvt_f64_f32_e32 v[126:127], v46
	v_cvt_f64_f32_e32 v[46:47], v47
	;; [unrolled: 1-line block ×4, first 2 shown]
	v_fma_f64 v[24:25], -v[108:109], v[40:41], v[24:25]
	global_load_b128 v[86:89], v131, s[4:5] scale_offset
	s_clause 0x1
	global_load_b128 v[90:93], v[18:19], off offset:2080
	global_load_b128 v[94:97], v[18:19], off offset:2096
	global_load_b128 v[30:33], v131, s[4:5] offset:16 scale_offset
	s_clause 0x1
	global_load_b128 v[34:37], v[18:19], off offset:2112
	global_load_b128 v[98:101], v[18:19], off offset:2128
	v_fma_f64 v[104:105], -v[104:105], v[40:41], v[22:23]
	v_fmac_f64_e32 v[0:1], v[102:103], v[40:41]
	v_fmac_f64_e32 v[10:11], v[106:107], v[40:41]
	v_fma_f64 v[28:29], -v[112:113], v[40:41], v[28:29]
	v_fmac_f64_e32 v[12:13], v[110:111], v[40:41]
	v_fma_f64 v[102:103], -v[116:117], v[40:41], v[20:21]
	v_fmac_f64_e32 v[14:15], v[114:115], v[40:41]
	global_load_b128 v[20:23], v131, s[4:5] offset:32 scale_offset
	s_clause 0x1
	global_load_b128 v[38:41], v[18:19], off offset:2144
	global_load_b128 v[42:45], v[18:19], off offset:2160
	s_wait_loadcnt 0x10
	v_cvt_f64_f32_e32 v[106:107], v54
	v_cvt_f64_f32_e32 v[108:109], v55
	;; [unrolled: 1-line block ×4, first 2 shown]
	s_wait_loadcnt 0xf
	v_cvt_f64_f32_e32 v[114:115], v58
	v_cvt_f64_f32_e32 v[58:59], v59
	;; [unrolled: 1-line block ×4, first 2 shown]
	v_fmac_f64_e32 v[24:25], v[122:123], v[50:51]
	v_fmac_f64_e32 v[104:105], v[118:119], v[50:51]
	;; [unrolled: 1-line block ×8, first 2 shown]
	v_fma_f64 v[24:25], -v[124:125], v[52:53], v[24:25]
	s_wait_loadcnt 0xd
	v_cvt_f64_f32_e32 v[124:125], v69
	v_fma_f64 v[104:105], -v[120:121], v[52:53], v[104:105]
	v_fmac_f64_e32 v[0:1], v[118:119], v[52:53]
	v_fmac_f64_e32 v[10:11], v[122:123], v[52:53]
	v_fma_f64 v[28:29], -v[46:47], v[52:53], v[28:29]
	v_fmac_f64_e32 v[12:13], v[126:127], v[52:53]
	v_fma_f64 v[102:103], -v[48:49], v[52:53], v[102:103]
	v_fmac_f64_e32 v[14:15], v[128:129], v[52:53]
	global_load_b128 v[46:49], v131, s[4:5] offset:48 scale_offset
	s_clause 0x1
	global_load_b128 v[50:53], v[18:19], off offset:4096
	global_load_b128 v[54:57], v[18:19], off offset:4112
	v_cvt_f64_f32_e32 v[118:119], v66
	v_cvt_f64_f32_e32 v[120:121], v67
	;; [unrolled: 1-line block ×3, first 2 shown]
	s_wait_loadcnt 0xf
	v_cvt_f64_f32_e32 v[126:127], v70
	v_cvt_f64_f32_e32 v[70:71], v71
	;; [unrolled: 1-line block ×4, first 2 shown]
	v_fmac_f64_e32 v[24:25], v[110:111], v[62:63]
	v_fmac_f64_e32 v[104:105], v[106:107], v[62:63]
	;; [unrolled: 1-line block ×8, first 2 shown]
	v_fma_f64 v[24:25], -v[112:113], v[64:65], v[24:25]
	s_wait_loadcnt 0xd
	v_cvt_f64_f32_e32 v[112:113], v81
	v_fma_f64 v[104:105], -v[108:109], v[64:65], v[104:105]
	v_fmac_f64_e32 v[0:1], v[106:107], v[64:65]
	v_fmac_f64_e32 v[10:11], v[110:111], v[64:65]
	v_fma_f64 v[28:29], -v[58:59], v[64:65], v[28:29]
	v_fmac_f64_e32 v[12:13], v[114:115], v[64:65]
	v_fma_f64 v[102:103], -v[60:61], v[64:65], v[102:103]
	v_fmac_f64_e32 v[14:15], v[116:117], v[64:65]
	v_subrev_nc_u32_e32 v58, s12, v130
	v_cvt_f64_f32_e32 v[106:107], v78
	v_cvt_f64_f32_e32 v[108:109], v79
	;; [unrolled: 1-line block ×3, first 2 shown]
	s_wait_loadcnt 0xc
	v_cvt_f64_f32_e32 v[114:115], v82
	v_lshlrev_b32_e32 v130, 2, v58
	v_cvt_f64_f32_e32 v[82:83], v83
	v_cvt_f64_f32_e32 v[116:117], v84
	;; [unrolled: 1-line block ×3, first 2 shown]
	global_load_b128 v[58:61], v130, s[4:5] scale_offset
	s_clause 0x1
	global_load_b128 v[62:65], v[18:19], off offset:4128
	global_load_b128 v[66:69], v[18:19], off offset:4144
	v_fmac_f64_e32 v[24:25], v[122:123], v[74:75]
	v_fmac_f64_e32 v[104:105], v[118:119], v[74:75]
	;; [unrolled: 1-line block ×8, first 2 shown]
	v_fma_f64 v[24:25], -v[124:125], v[76:77], v[24:25]
	v_fma_f64 v[104:105], -v[120:121], v[76:77], v[104:105]
	v_fmac_f64_e32 v[0:1], v[118:119], v[76:77]
	v_fmac_f64_e32 v[10:11], v[122:123], v[76:77]
	v_fma_f64 v[28:29], -v[70:71], v[76:77], v[28:29]
	v_fmac_f64_e32 v[12:13], v[126:127], v[76:77]
	v_fma_f64 v[102:103], -v[72:73], v[76:77], v[102:103]
	v_fmac_f64_e32 v[14:15], v[128:129], v[76:77]
	global_load_b128 v[70:73], v130, s[4:5] offset:16 scale_offset
	s_clause 0x1
	global_load_b128 v[74:77], v[18:19], off offset:4160
	global_load_b128 v[78:81], v[18:19], off offset:4176
	s_wait_loadcnt 0x11
	v_fmac_f64_e32 v[104:105], v[106:107], v[86:87]
	v_fmac_f64_e32 v[0:1], v[108:109], v[86:87]
	;; [unrolled: 1-line block ×8, first 2 shown]
	s_wait_loadcnt 0x10
	v_cvt_f64_f32_e32 v[118:119], v90
	v_cvt_f64_f32_e32 v[90:91], v91
	;; [unrolled: 1-line block ×4, first 2 shown]
	s_wait_loadcnt 0xf
	v_cvt_f64_f32_e32 v[122:123], v94
	v_cvt_f64_f32_e32 v[94:95], v95
	;; [unrolled: 1-line block ×4, first 2 shown]
	s_wait_loadcnt 0x9
	v_cvt_f64_f32_e32 v[126:127], v42
	v_cvt_f64_f32_e32 v[128:129], v43
	v_cvt_f64_f32_e32 v[132:133], v45
	v_fma_f64 v[104:105], -v[108:109], v[88:89], v[104:105]
	v_fmac_f64_e32 v[0:1], v[106:107], v[88:89]
	v_fma_f64 v[24:25], -v[112:113], v[88:89], v[24:25]
	v_fmac_f64_e32 v[10:11], v[110:111], v[88:89]
	;; [unrolled: 2-line block ×4, first 2 shown]
	global_load_b128 v[82:85], v130, s[4:5] offset:32 scale_offset
	v_cvt_f64_f32_e32 v[108:109], v34
	v_cvt_f64_f32_e32 v[110:111], v35
	;; [unrolled: 1-line block ×8, first 2 shown]
	v_fmac_f64_e32 v[104:105], v[118:119], v[30:31]
	v_fmac_f64_e32 v[0:1], v[90:91], v[30:31]
	;; [unrolled: 1-line block ×8, first 2 shown]
	s_clause 0x1
	global_load_b128 v[28:31], v[18:19], off offset:4192
	global_load_b128 v[86:89], v[18:19], off offset:4208
	v_fma_f64 v[104:105], -v[90:91], v[32:33], v[104:105]
	v_fmac_f64_e32 v[0:1], v[118:119], v[32:33]
	v_fma_f64 v[24:25], -v[92:93], v[32:33], v[24:25]
	v_fmac_f64_e32 v[10:11], v[120:121], v[32:33]
	;; [unrolled: 2-line block ×4, first 2 shown]
	global_load_b128 v[32:35], v130, s[4:5] offset:48 scale_offset
	s_clause 0x1
	global_load_b128 v[90:93], v[18:19], off offset:6144
	global_load_b128 v[94:97], v[18:19], off offset:6160
	v_cvt_f64_f32_e32 v[118:119], v38
	v_cvt_f64_f32_e32 v[120:121], v39
	;; [unrolled: 1-line block ×4, first 2 shown]
	s_wait_xcnt 0x2
	v_cvt_f64_f32_e32 v[130:131], v44
	v_fmac_f64_e32 v[104:105], v[108:109], v[20:21]
	v_fmac_f64_e32 v[0:1], v[110:111], v[20:21]
	;; [unrolled: 1-line block ×8, first 2 shown]
	v_subrev_nc_u32_e32 v20, s12, v134
	s_delay_alu instid0(VALU_DEP_1)
	v_dual_fma_f64 v[104:105], -v[110:111], v[22:23], v[104:105] :: v_dual_lshlrev_b32 v134, 2, v20
	v_fmac_f64_e32 v[0:1], v[108:109], v[22:23]
	v_fma_f64 v[24:25], -v[36:37], v[22:23], v[24:25]
	v_fmac_f64_e32 v[10:11], v[112:113], v[22:23]
	v_fma_f64 v[98:99], -v[98:99], v[22:23], v[106:107]
	;; [unrolled: 2-line block ×3, first 2 shown]
	v_fmac_f64_e32 v[14:15], v[116:117], v[22:23]
	s_clause 0x1
	global_load_b128 v[20:23], v134, s[4:5] offset:16 scale_offset
	global_load_b128 v[36:39], v134, s[4:5] scale_offset
	s_wait_loadcnt 0xf
	v_cvt_f64_f32_e32 v[102:103], v50
	v_cvt_f64_f32_e32 v[106:107], v51
	;; [unrolled: 1-line block ×4, first 2 shown]
	s_wait_loadcnt 0xe
	v_cvt_f64_f32_e32 v[112:113], v54
	v_cvt_f64_f32_e32 v[114:115], v55
	;; [unrolled: 1-line block ×4, first 2 shown]
	v_fmac_f64_e32 v[104:105], v[118:119], v[46:47]
	v_fmac_f64_e32 v[0:1], v[120:121], v[46:47]
	;; [unrolled: 1-line block ×8, first 2 shown]
	s_clause 0x1
	global_load_b128 v[40:43], v[18:19], off offset:6192
	global_load_b128 v[44:47], v[18:19], off offset:6176
	v_fma_f64 v[104:105], -v[120:121], v[48:49], v[104:105]
	v_fmac_f64_e32 v[0:1], v[118:119], v[48:49]
	v_fma_f64 v[24:25], -v[124:125], v[48:49], v[24:25]
	v_fmac_f64_e32 v[10:11], v[122:123], v[48:49]
	;; [unrolled: 2-line block ×4, first 2 shown]
	s_clause 0x1
	global_load_b128 v[48:51], v[18:19], off offset:6224
	global_load_b128 v[52:55], v[18:19], off offset:6208
	s_wait_loadcnt 0x10
	v_cvt_f64_f32_e32 v[118:119], v62
	v_cvt_f64_f32_e32 v[120:121], v63
	;; [unrolled: 1-line block ×4, first 2 shown]
	s_wait_loadcnt 0xf
	v_cvt_f64_f32_e32 v[126:127], v66
	v_cvt_f64_f32_e32 v[128:129], v67
	;; [unrolled: 1-line block ×4, first 2 shown]
	v_fmac_f64_e32 v[104:105], v[102:103], v[58:59]
	v_fmac_f64_e32 v[0:1], v[106:107], v[58:59]
	;; [unrolled: 1-line block ×8, first 2 shown]
	v_fma_f64 v[104:105], -v[106:107], v[60:61], v[104:105]
	v_fmac_f64_e32 v[0:1], v[102:103], v[60:61]
	v_fma_f64 v[24:25], -v[110:111], v[60:61], v[24:25]
	v_fmac_f64_e32 v[10:11], v[108:109], v[60:61]
	;; [unrolled: 2-line block ×4, first 2 shown]
	s_clause 0x1
	global_load_b128 v[56:59], v134, s[4:5] offset:48 scale_offset
	global_load_b128 v[60:63], v134, s[4:5] offset:32 scale_offset
	s_wait_loadcnt 0xf
	v_cvt_f64_f32_e32 v[102:103], v74
	v_cvt_f64_f32_e32 v[74:75], v75
	;; [unrolled: 1-line block ×4, first 2 shown]
	s_wait_loadcnt 0xe
	v_cvt_f64_f32_e32 v[108:109], v78
	v_cvt_f64_f32_e32 v[78:79], v79
	;; [unrolled: 1-line block ×4, first 2 shown]
	v_fmac_f64_e32 v[104:105], v[118:119], v[70:71]
	v_fmac_f64_e32 v[0:1], v[120:121], v[70:71]
	v_fmac_f64_e32 v[24:25], v[122:123], v[70:71]
	v_fmac_f64_e32 v[10:11], v[124:125], v[70:71]
	v_fmac_f64_e32 v[98:99], v[126:127], v[70:71]
	v_fmac_f64_e32 v[12:13], v[128:129], v[70:71]
	v_fmac_f64_e32 v[100:101], v[130:131], v[70:71]
	v_fmac_f64_e32 v[14:15], v[132:133], v[70:71]
	s_clause 0x1
	global_load_b128 v[64:67], v[18:19], off offset:6240
	global_load_b128 v[68:71], v[18:19], off offset:6256
	s_wait_xcnt 0x0
	v_add_nc_u64_e32 v[18:19], 0x2000, v[18:19]
	v_fma_f64 v[104:105], -v[120:121], v[72:73], v[104:105]
	v_fmac_f64_e32 v[0:1], v[118:119], v[72:73]
	v_fma_f64 v[24:25], -v[124:125], v[72:73], v[24:25]
	v_fmac_f64_e32 v[10:11], v[122:123], v[72:73]
	;; [unrolled: 2-line block ×4, first 2 shown]
	s_wait_loadcnt 0xf
	v_fmac_f64_e32 v[104:105], v[102:103], v[82:83]
	v_fmac_f64_e32 v[0:1], v[74:75], v[82:83]
	;; [unrolled: 1-line block ×8, first 2 shown]
	s_wait_loadcnt 0xe
	v_cvt_f64_f32_e32 v[72:73], v28
	v_cvt_f64_f32_e32 v[28:29], v29
	;; [unrolled: 1-line block ×4, first 2 shown]
	s_wait_loadcnt 0xd
	v_cvt_f64_f32_e32 v[112:113], v86
	v_cvt_f64_f32_e32 v[86:87], v87
	;; [unrolled: 1-line block ×4, first 2 shown]
	v_fma_f64 v[74:75], -v[74:75], v[84:85], v[104:105]
	v_fmac_f64_e32 v[0:1], v[102:103], v[84:85]
	v_fma_f64 v[24:25], -v[76:77], v[84:85], v[24:25]
	v_fmac_f64_e32 v[10:11], v[106:107], v[84:85]
	;; [unrolled: 2-line block ×4, first 2 shown]
	s_wait_loadcnt 0xb
	v_cvt_f64_f32_e32 v[80:81], v91
	v_cvt_f64_f32_e32 v[84:85], v92
	s_wait_loadcnt 0xa
	v_cvt_f64_f32_e32 v[98:99], v96
	v_cvt_f64_f32_e32 v[96:97], v97
	v_fmac_f64_e32 v[74:75], v[72:73], v[32:33]
	v_fmac_f64_e32 v[0:1], v[28:29], v[32:33]
	;; [unrolled: 1-line block ×8, first 2 shown]
	v_cvt_f64_f32_e32 v[32:33], v90
	v_cvt_f64_f32_e32 v[90:91], v93
	;; [unrolled: 1-line block ×4, first 2 shown]
	v_fma_f64 v[28:29], -v[28:29], v[34:35], v[74:75]
	v_fmac_f64_e32 v[0:1], v[72:73], v[34:35]
	v_fma_f64 v[24:25], -v[30:31], v[34:35], v[24:25]
	v_fmac_f64_e32 v[10:11], v[82:83], v[34:35]
	;; [unrolled: 2-line block ×4, first 2 shown]
	s_wait_loadcnt 0x8
	v_fmac_f64_e32 v[28:29], v[32:33], v[36:37]
	v_fmac_f64_e32 v[0:1], v[80:81], v[36:37]
	;; [unrolled: 1-line block ×8, first 2 shown]
	s_wait_loadcnt 0x6
	v_cvt_f64_f32_e32 v[34:35], v44
	v_cvt_f64_f32_e32 v[36:37], v45
	;; [unrolled: 1-line block ×8, first 2 shown]
	v_fma_f64 v[28:29], -v[80:81], v[38:39], v[28:29]
	v_fmac_f64_e32 v[0:1], v[32:33], v[38:39]
	v_fma_f64 v[24:25], -v[90:91], v[38:39], v[24:25]
	v_fmac_f64_e32 v[10:11], v[84:85], v[38:39]
	v_fma_f64 v[30:31], -v[94:95], v[38:39], v[30:31]
	v_fmac_f64_e32 v[12:13], v[92:93], v[38:39]
	v_fma_f64 v[32:33], -v[96:97], v[38:39], v[72:73]
	v_fmac_f64_e32 v[14:15], v[98:99], v[38:39]
	s_wait_loadcnt 0x4
	v_cvt_f64_f32_e32 v[38:39], v53
	v_cvt_f64_f32_e32 v[72:73], v48
	;; [unrolled: 1-line block ×5, first 2 shown]
	v_fmac_f64_e32 v[28:29], v[34:35], v[20:21]
	v_fmac_f64_e32 v[0:1], v[36:37], v[20:21]
	;; [unrolled: 1-line block ×8, first 2 shown]
	v_cvt_f64_f32_e32 v[20:21], v52
	v_cvt_f64_f32_e32 v[52:53], v54
	;; [unrolled: 1-line block ×3, first 2 shown]
	v_fma_f64 v[28:29], -v[36:37], v[22:23], v[28:29]
	v_fmac_f64_e32 v[0:1], v[34:35], v[22:23]
	v_fma_f64 v[24:25], -v[46:47], v[22:23], v[24:25]
	v_fmac_f64_e32 v[10:11], v[44:45], v[22:23]
	;; [unrolled: 2-line block ×4, first 2 shown]
	s_wait_loadcnt 0x2
	v_fmac_f64_e32 v[28:29], v[20:21], v[60:61]
	v_fmac_f64_e32 v[0:1], v[38:39], v[60:61]
	;; [unrolled: 1-line block ×8, first 2 shown]
	s_wait_loadcnt 0x1
	v_cvt_f64_f32_e32 v[34:35], v64
	v_cvt_f64_f32_e32 v[22:23], v65
	;; [unrolled: 1-line block ×4, first 2 shown]
	s_wait_loadcnt 0x0
	v_cvt_f64_f32_e32 v[42:43], v68
	v_cvt_f64_f32_e32 v[44:45], v69
	;; [unrolled: 1-line block ×4, first 2 shown]
	v_fma_f64 v[28:29], -v[38:39], v[62:63], v[28:29]
	v_fmac_f64_e32 v[0:1], v[20:21], v[62:63]
	v_fma_f64 v[20:21], -v[54:55], v[62:63], v[24:25]
	v_fmac_f64_e32 v[10:11], v[52:53], v[62:63]
	;; [unrolled: 2-line block ×4, first 2 shown]
	v_fmac_f64_e32 v[28:29], v[34:35], v[56:57]
	v_fmac_f64_e32 v[0:1], v[22:23], v[56:57]
	;; [unrolled: 1-line block ×8, first 2 shown]
	v_fma_f64 v[22:23], -v[22:23], v[58:59], v[28:29]
	v_fmac_f64_e32 v[0:1], v[34:35], v[58:59]
	v_fma_f64 v[24:25], -v[40:41], v[58:59], v[20:21]
	v_fmac_f64_e32 v[10:11], v[36:37], v[58:59]
	;; [unrolled: 2-line block ×4, first 2 shown]
	s_and_not1_b32 exec_lo, exec_lo, s6
	s_cbranch_execnz .LBB167_31
; %bb.32:
	s_or_b32 exec_lo, exec_lo, s6
.LBB167_33:
	s_delay_alu instid0(SALU_CYCLE_1)
	s_or_b32 exec_lo, exec_lo, s2
.LBB167_34:
	s_delay_alu instid0(SALU_CYCLE_1)
	s_or_b32 exec_lo, exec_lo, s3
.LBB167_35:
	v_mbcnt_lo_u32_b32 v46, -1, 0
	s_delay_alu instid0(VALU_DEP_1) | instskip(NEXT) | instid1(VALU_DEP_1)
	v_xor_b32_e32 v16, 8, v46
	v_cmp_gt_i32_e32 vcc_lo, 32, v16
	v_cndmask_b32_e32 v16, v46, v16, vcc_lo
	s_delay_alu instid0(VALU_DEP_1)
	v_lshlrev_b32_e32 v41, 2, v16
	ds_bpermute_b32 v18, v41, v0
	ds_bpermute_b32 v19, v41, v1
	;; [unrolled: 1-line block ×4, first 2 shown]
	s_wait_dscnt 0x2
	v_add_f64_e32 v[0:1], v[0:1], v[18:19]
	s_wait_dscnt 0x0
	v_add_f64_e32 v[18:19], v[24:25], v[30:31]
	ds_bpermute_b32 v16, v41, v22
	ds_bpermute_b32 v17, v41, v23
	;; [unrolled: 1-line block ×12, first 2 shown]
	v_xor_b32_e32 v24, 4, v46
	s_delay_alu instid0(VALU_DEP_1)
	v_cmp_gt_i32_e32 vcc_lo, 32, v24
	s_wait_dscnt 0xa
	v_add_f64_e32 v[16:17], v[22:23], v[16:17]
	v_cndmask_b32_e32 v24, v46, v24, vcc_lo
	s_wait_dscnt 0x8
	v_add_f64_e32 v[10:11], v[10:11], v[32:33]
	s_wait_dscnt 0x6
	v_add_f64_e32 v[22:23], v[28:29], v[34:35]
	;; [unrolled: 2-line block ×5, first 2 shown]
	v_lshlrev_b32_e32 v41, 2, v24
	ds_bpermute_b32 v28, v41, v0
	ds_bpermute_b32 v29, v41, v1
	;; [unrolled: 1-line block ×13, first 2 shown]
	s_wait_dscnt 0x7
	v_add_f64_e32 v[16:17], v[16:17], v[24:25]
	v_dual_add_f64 v[24:25], v[0:1], v[28:29] :: v_dual_bitop2_b32 v0, 2, v46 bitop3:0x14
	ds_bpermute_b32 v36, v41, v12
	ds_bpermute_b32 v37, v41, v13
	;; [unrolled: 1-line block ×3, first 2 shown]
	v_cmp_gt_i32_e32 vcc_lo, 32, v0
	s_wait_dscnt 0x4
	v_dual_add_f64 v[20:21], v[20:21], v[38:39] :: v_dual_cndmask_b32 v0, v46, v0, vcc_lo
	v_add_f64_e32 v[18:19], v[18:19], v[30:31]
	v_add_f64_e32 v[30:31], v[10:11], v[32:33]
	s_delay_alu instid0(VALU_DEP_3)
	v_dual_add_f64 v[32:33], v[22:23], v[34:35] :: v_dual_lshlrev_b32 v22, 2, v0
	s_wait_dscnt 0x1
	v_add_f64_e32 v[34:35], v[12:13], v[36:37]
	s_wait_dscnt 0x0
	v_add_f64_e32 v[36:37], v[14:15], v[40:41]
	ds_bpermute_b32 v0, v22, v16
	ds_bpermute_b32 v10, v22, v24
	;; [unrolled: 1-line block ×12, first 2 shown]
	s_wait_dscnt 0x8
	v_add_f64_e32 v[0:1], v[16:17], v[0:1]
	ds_bpermute_b32 v40, v22, v34
	ds_bpermute_b32 v41, v22, v35
	;; [unrolled: 1-line block ×4, first 2 shown]
	s_wait_dscnt 0x7
	v_add_f64_e32 v[22:23], v[30:31], v[14:15]
	v_add_f64_e32 v[14:15], v[20:21], v[42:43]
	v_xor_b32_e32 v20, 1, v46
	s_delay_alu instid0(VALU_DEP_1)
	v_cmp_gt_i32_e32 vcc_lo, 32, v20
	v_add_f64_e32 v[28:29], v[24:25], v[10:11]
	s_wait_dscnt 0x6
	v_add_f64_e32 v[10:11], v[18:19], v[12:13]
	s_wait_dscnt 0x2
	v_add_f64_e32 v[18:19], v[34:35], v[40:41]
	v_cndmask_b32_e32 v20, v46, v20, vcc_lo
	s_wait_dscnt 0x0
	v_add_f64_e32 v[16:17], v[36:37], v[44:45]
	v_cmp_eq_u32_e32 vcc_lo, 15, v27
	s_delay_alu instid0(VALU_DEP_3)
	v_dual_add_f64 v[12:13], v[32:33], v[38:39] :: v_dual_lshlrev_b32 v35, 2, v20
	ds_bpermute_b32 v20, v35, v0
	ds_bpermute_b32 v21, v35, v1
	;; [unrolled: 1-line block ×16, first 2 shown]
	s_and_b32 exec_lo, exec_lo, vcc_lo
	s_cbranch_execz .LBB167_8
; %bb.36:
	s_wait_dscnt 0x8
	v_add_f64_e32 v[28:29], v[28:29], v[40:41]
	v_add_f64_e32 v[38:39], v[22:23], v[38:39]
	s_wait_dscnt 0x4
	v_add_f64_e32 v[36:37], v[18:19], v[36:37]
	s_wait_dscnt 0x0
	v_add_f64_e32 v[34:35], v[16:17], v[34:35]
	v_add_f64_e32 v[0:1], v[0:1], v[20:21]
	;; [unrolled: 1-line block ×5, first 2 shown]
	v_cmp_eq_f64_e32 vcc_lo, 0, v[2:3]
	v_cmp_eq_f64_e64 s2, 0, v[4:5]
	s_load_b64 s[0:1], s[0:1], 0x60
	v_mul_f64_e64 v[22:23], v[28:29], -v[8:9]
	v_mul_f64_e32 v[24:25], v[6:7], v[28:29]
	v_mul_f64_e64 v[18:19], v[38:39], -v[8:9]
	v_mul_f64_e32 v[20:21], v[6:7], v[38:39]
	;; [unrolled: 2-line block ×4, first 2 shown]
	s_and_b32 s2, vcc_lo, s2
	v_fmac_f64_e32 v[22:23], v[6:7], v[0:1]
	v_fmac_f64_e32 v[24:25], v[8:9], v[0:1]
	;; [unrolled: 1-line block ×8, first 2 shown]
	v_lshlrev_b32_e32 v0, 2, v26
	s_and_saveexec_b32 s3, s2
	s_delay_alu instid0(SALU_CYCLE_1)
	s_xor_b32 s2, exec_lo, s3
	s_cbranch_execz .LBB167_38
; %bb.37:
	s_wait_kmcnt 0x0
	s_clause 0x3
	global_store_b128 v0, v[22:25], s[0:1] scale_offset
	global_store_b128 v0, v[18:21], s[0:1] offset:16 scale_offset
	global_store_b128 v0, v[14:17], s[0:1] offset:32 scale_offset
	;; [unrolled: 1-line block ×3, first 2 shown]
                                        ; implicit-def: $vgpr4_vgpr5
                                        ; implicit-def: $vgpr22_vgpr23
                                        ; implicit-def: $vgpr0
                                        ; implicit-def: $vgpr18_vgpr19
                                        ; implicit-def: $vgpr14_vgpr15
                                        ; implicit-def: $vgpr10_vgpr11
.LBB167_38:
	s_wait_xcnt 0x0
	s_and_not1_saveexec_b32 s2, s2
	s_cbranch_execz .LBB167_8
; %bb.39:
	s_wait_kmcnt 0x0
	s_clause 0x3
	global_load_b128 v[6:9], v0, s[0:1] scale_offset
	global_load_b128 v[26:29], v0, s[0:1] offset:16 scale_offset
	global_load_b128 v[30:33], v0, s[0:1] offset:32 scale_offset
	;; [unrolled: 1-line block ×3, first 2 shown]
	s_wait_loadcnt 0x3
	v_fmac_f64_e32 v[22:23], v[2:3], v[6:7]
	v_fmac_f64_e32 v[24:25], v[4:5], v[6:7]
	s_wait_loadcnt 0x2
	v_fmac_f64_e32 v[18:19], v[2:3], v[26:27]
	v_fmac_f64_e32 v[20:21], v[4:5], v[26:27]
	s_wait_loadcnt 0x1
	v_fmac_f64_e32 v[14:15], v[2:3], v[30:31]
	v_fmac_f64_e32 v[16:17], v[4:5], v[30:31]
	s_wait_loadcnt 0x0
	v_fmac_f64_e32 v[10:11], v[2:3], v[34:35]
	v_fmac_f64_e32 v[12:13], v[4:5], v[34:35]
	v_fma_f64 v[22:23], -v[4:5], v[8:9], v[22:23]
	v_fmac_f64_e32 v[24:25], v[2:3], v[8:9]
	v_fma_f64 v[18:19], -v[4:5], v[28:29], v[18:19]
	v_fmac_f64_e32 v[20:21], v[2:3], v[28:29]
	;; [unrolled: 2-line block ×4, first 2 shown]
	s_clause 0x3
	global_store_b128 v0, v[22:25], s[0:1] scale_offset
	global_store_b128 v0, v[18:21], s[0:1] offset:16 scale_offset
	global_store_b128 v0, v[14:17], s[0:1] offset:32 scale_offset
	global_store_b128 v0, v[10:13], s[0:1] offset:48 scale_offset
	s_sendmsg sendmsg(MSG_DEALLOC_VGPRS)
	s_endpgm
	.section	.rodata,"a",@progbits
	.p2align	6, 0x0
	.amdhsa_kernel _ZN9rocsparseL18bsrxmvn_4x4_kernelILj128ELj16E21rocsparse_complex_numIdEiiS1_IfES2_S2_EEvT3_20rocsparse_direction_NS_24const_host_device_scalarIT1_EES4_PKS4_PKT2_SD_SA_PKT4_PKT5_S8_PT6_21rocsparse_index_base_b
		.amdhsa_group_segment_fixed_size 0
		.amdhsa_private_segment_fixed_size 0
		.amdhsa_kernarg_size 112
		.amdhsa_user_sgpr_count 2
		.amdhsa_user_sgpr_dispatch_ptr 0
		.amdhsa_user_sgpr_queue_ptr 0
		.amdhsa_user_sgpr_kernarg_segment_ptr 1
		.amdhsa_user_sgpr_dispatch_id 0
		.amdhsa_user_sgpr_kernarg_preload_length 0
		.amdhsa_user_sgpr_kernarg_preload_offset 0
		.amdhsa_user_sgpr_private_segment_size 0
		.amdhsa_wavefront_size32 1
		.amdhsa_uses_dynamic_stack 0
		.amdhsa_enable_private_segment 0
		.amdhsa_system_sgpr_workgroup_id_x 1
		.amdhsa_system_sgpr_workgroup_id_y 0
		.amdhsa_system_sgpr_workgroup_id_z 0
		.amdhsa_system_sgpr_workgroup_info 0
		.amdhsa_system_vgpr_workitem_id 0
		.amdhsa_next_free_vgpr 140
		.amdhsa_next_free_sgpr 14
		.amdhsa_named_barrier_count 0
		.amdhsa_reserve_vcc 1
		.amdhsa_float_round_mode_32 0
		.amdhsa_float_round_mode_16_64 0
		.amdhsa_float_denorm_mode_32 3
		.amdhsa_float_denorm_mode_16_64 3
		.amdhsa_fp16_overflow 0
		.amdhsa_memory_ordered 1
		.amdhsa_forward_progress 1
		.amdhsa_inst_pref_size 72
		.amdhsa_round_robin_scheduling 0
		.amdhsa_exception_fp_ieee_invalid_op 0
		.amdhsa_exception_fp_denorm_src 0
		.amdhsa_exception_fp_ieee_div_zero 0
		.amdhsa_exception_fp_ieee_overflow 0
		.amdhsa_exception_fp_ieee_underflow 0
		.amdhsa_exception_fp_ieee_inexact 0
		.amdhsa_exception_int_div_zero 0
	.end_amdhsa_kernel
	.section	.text._ZN9rocsparseL18bsrxmvn_4x4_kernelILj128ELj16E21rocsparse_complex_numIdEiiS1_IfES2_S2_EEvT3_20rocsparse_direction_NS_24const_host_device_scalarIT1_EES4_PKS4_PKT2_SD_SA_PKT4_PKT5_S8_PT6_21rocsparse_index_base_b,"axG",@progbits,_ZN9rocsparseL18bsrxmvn_4x4_kernelILj128ELj16E21rocsparse_complex_numIdEiiS1_IfES2_S2_EEvT3_20rocsparse_direction_NS_24const_host_device_scalarIT1_EES4_PKS4_PKT2_SD_SA_PKT4_PKT5_S8_PT6_21rocsparse_index_base_b,comdat
.Lfunc_end167:
	.size	_ZN9rocsparseL18bsrxmvn_4x4_kernelILj128ELj16E21rocsparse_complex_numIdEiiS1_IfES2_S2_EEvT3_20rocsparse_direction_NS_24const_host_device_scalarIT1_EES4_PKS4_PKT2_SD_SA_PKT4_PKT5_S8_PT6_21rocsparse_index_base_b, .Lfunc_end167-_ZN9rocsparseL18bsrxmvn_4x4_kernelILj128ELj16E21rocsparse_complex_numIdEiiS1_IfES2_S2_EEvT3_20rocsparse_direction_NS_24const_host_device_scalarIT1_EES4_PKS4_PKT2_SD_SA_PKT4_PKT5_S8_PT6_21rocsparse_index_base_b
                                        ; -- End function
	.set _ZN9rocsparseL18bsrxmvn_4x4_kernelILj128ELj16E21rocsparse_complex_numIdEiiS1_IfES2_S2_EEvT3_20rocsparse_direction_NS_24const_host_device_scalarIT1_EES4_PKS4_PKT2_SD_SA_PKT4_PKT5_S8_PT6_21rocsparse_index_base_b.num_vgpr, 140
	.set _ZN9rocsparseL18bsrxmvn_4x4_kernelILj128ELj16E21rocsparse_complex_numIdEiiS1_IfES2_S2_EEvT3_20rocsparse_direction_NS_24const_host_device_scalarIT1_EES4_PKS4_PKT2_SD_SA_PKT4_PKT5_S8_PT6_21rocsparse_index_base_b.num_agpr, 0
	.set _ZN9rocsparseL18bsrxmvn_4x4_kernelILj128ELj16E21rocsparse_complex_numIdEiiS1_IfES2_S2_EEvT3_20rocsparse_direction_NS_24const_host_device_scalarIT1_EES4_PKS4_PKT2_SD_SA_PKT4_PKT5_S8_PT6_21rocsparse_index_base_b.numbered_sgpr, 14
	.set _ZN9rocsparseL18bsrxmvn_4x4_kernelILj128ELj16E21rocsparse_complex_numIdEiiS1_IfES2_S2_EEvT3_20rocsparse_direction_NS_24const_host_device_scalarIT1_EES4_PKS4_PKT2_SD_SA_PKT4_PKT5_S8_PT6_21rocsparse_index_base_b.num_named_barrier, 0
	.set _ZN9rocsparseL18bsrxmvn_4x4_kernelILj128ELj16E21rocsparse_complex_numIdEiiS1_IfES2_S2_EEvT3_20rocsparse_direction_NS_24const_host_device_scalarIT1_EES4_PKS4_PKT2_SD_SA_PKT4_PKT5_S8_PT6_21rocsparse_index_base_b.private_seg_size, 0
	.set _ZN9rocsparseL18bsrxmvn_4x4_kernelILj128ELj16E21rocsparse_complex_numIdEiiS1_IfES2_S2_EEvT3_20rocsparse_direction_NS_24const_host_device_scalarIT1_EES4_PKS4_PKT2_SD_SA_PKT4_PKT5_S8_PT6_21rocsparse_index_base_b.uses_vcc, 1
	.set _ZN9rocsparseL18bsrxmvn_4x4_kernelILj128ELj16E21rocsparse_complex_numIdEiiS1_IfES2_S2_EEvT3_20rocsparse_direction_NS_24const_host_device_scalarIT1_EES4_PKS4_PKT2_SD_SA_PKT4_PKT5_S8_PT6_21rocsparse_index_base_b.uses_flat_scratch, 0
	.set _ZN9rocsparseL18bsrxmvn_4x4_kernelILj128ELj16E21rocsparse_complex_numIdEiiS1_IfES2_S2_EEvT3_20rocsparse_direction_NS_24const_host_device_scalarIT1_EES4_PKS4_PKT2_SD_SA_PKT4_PKT5_S8_PT6_21rocsparse_index_base_b.has_dyn_sized_stack, 0
	.set _ZN9rocsparseL18bsrxmvn_4x4_kernelILj128ELj16E21rocsparse_complex_numIdEiiS1_IfES2_S2_EEvT3_20rocsparse_direction_NS_24const_host_device_scalarIT1_EES4_PKS4_PKT2_SD_SA_PKT4_PKT5_S8_PT6_21rocsparse_index_base_b.has_recursion, 0
	.set _ZN9rocsparseL18bsrxmvn_4x4_kernelILj128ELj16E21rocsparse_complex_numIdEiiS1_IfES2_S2_EEvT3_20rocsparse_direction_NS_24const_host_device_scalarIT1_EES4_PKS4_PKT2_SD_SA_PKT4_PKT5_S8_PT6_21rocsparse_index_base_b.has_indirect_call, 0
	.section	.AMDGPU.csdata,"",@progbits
; Kernel info:
; codeLenInByte = 9152
; TotalNumSgprs: 16
; NumVgprs: 140
; ScratchSize: 0
; MemoryBound: 0
; FloatMode: 240
; IeeeMode: 1
; LDSByteSize: 0 bytes/workgroup (compile time only)
; SGPRBlocks: 0
; VGPRBlocks: 8
; NumSGPRsForWavesPerEU: 16
; NumVGPRsForWavesPerEU: 140
; NamedBarCnt: 0
; Occupancy: 7
; WaveLimiterHint : 1
; COMPUTE_PGM_RSRC2:SCRATCH_EN: 0
; COMPUTE_PGM_RSRC2:USER_SGPR: 2
; COMPUTE_PGM_RSRC2:TRAP_HANDLER: 0
; COMPUTE_PGM_RSRC2:TGID_X_EN: 1
; COMPUTE_PGM_RSRC2:TGID_Y_EN: 0
; COMPUTE_PGM_RSRC2:TGID_Z_EN: 0
; COMPUTE_PGM_RSRC2:TIDIG_COMP_CNT: 0
	.section	.text._ZN9rocsparseL18bsrxmvn_4x4_kernelILj128ELj32E21rocsparse_complex_numIdEiiS1_IfES2_S2_EEvT3_20rocsparse_direction_NS_24const_host_device_scalarIT1_EES4_PKS4_PKT2_SD_SA_PKT4_PKT5_S8_PT6_21rocsparse_index_base_b,"axG",@progbits,_ZN9rocsparseL18bsrxmvn_4x4_kernelILj128ELj32E21rocsparse_complex_numIdEiiS1_IfES2_S2_EEvT3_20rocsparse_direction_NS_24const_host_device_scalarIT1_EES4_PKS4_PKT2_SD_SA_PKT4_PKT5_S8_PT6_21rocsparse_index_base_b,comdat
	.globl	_ZN9rocsparseL18bsrxmvn_4x4_kernelILj128ELj32E21rocsparse_complex_numIdEiiS1_IfES2_S2_EEvT3_20rocsparse_direction_NS_24const_host_device_scalarIT1_EES4_PKS4_PKT2_SD_SA_PKT4_PKT5_S8_PT6_21rocsparse_index_base_b ; -- Begin function _ZN9rocsparseL18bsrxmvn_4x4_kernelILj128ELj32E21rocsparse_complex_numIdEiiS1_IfES2_S2_EEvT3_20rocsparse_direction_NS_24const_host_device_scalarIT1_EES4_PKS4_PKT2_SD_SA_PKT4_PKT5_S8_PT6_21rocsparse_index_base_b
	.p2align	8
	.type	_ZN9rocsparseL18bsrxmvn_4x4_kernelILj128ELj32E21rocsparse_complex_numIdEiiS1_IfES2_S2_EEvT3_20rocsparse_direction_NS_24const_host_device_scalarIT1_EES4_PKS4_PKT2_SD_SA_PKT4_PKT5_S8_PT6_21rocsparse_index_base_b,@function
_ZN9rocsparseL18bsrxmvn_4x4_kernelILj128ELj32E21rocsparse_complex_numIdEiiS1_IfES2_S2_EEvT3_20rocsparse_direction_NS_24const_host_device_scalarIT1_EES4_PKS4_PKT2_SD_SA_PKT4_PKT5_S8_PT6_21rocsparse_index_base_b: ; @_ZN9rocsparseL18bsrxmvn_4x4_kernelILj128ELj32E21rocsparse_complex_numIdEiiS1_IfES2_S2_EEvT3_20rocsparse_direction_NS_24const_host_device_scalarIT1_EES4_PKS4_PKT2_SD_SA_PKT4_PKT5_S8_PT6_21rocsparse_index_base_b
; %bb.0:
	s_clause 0x1
	s_load_b64 s[12:13], s[0:1], 0x68
	s_load_b64 s[2:3], s[0:1], 0x8
	v_mov_b32_e32 v1, 0
	s_add_nc_u64 s[4:5], s[0:1], 8
	s_load_b64 s[6:7], s[0:1], 0x50
	s_wait_kmcnt 0x0
	s_bitcmp1_b32 s13, 0
	s_cselect_b32 s3, s5, s3
	s_cselect_b32 s2, s4, s2
	flat_load_b128 v[6:9], v1, s[2:3]
	s_wait_xcnt 0x0
	s_add_nc_u64 s[2:3], s[0:1], 0x50
	s_delay_alu instid0(SALU_CYCLE_1)
	s_cselect_b32 s3, s3, s7
	s_cselect_b32 s2, s2, s6
	flat_load_b128 v[2:5], v1, s[2:3]
	s_wait_loadcnt_dscnt 0x101
	v_cmp_eq_f64_e32 vcc_lo, 0, v[6:7]
	s_wait_xcnt 0x0
	v_cmp_eq_f64_e64 s2, 0, v[8:9]
	s_and_b32 s4, vcc_lo, s2
	s_mov_b32 s2, -1
	s_and_saveexec_b32 s3, s4
	s_cbranch_execz .LBB168_2
; %bb.1:
	s_wait_loadcnt_dscnt 0x0
	v_cmp_neq_f64_e32 vcc_lo, 1.0, v[2:3]
	v_cmp_neq_f64_e64 s2, 0, v[4:5]
	s_or_b32 s2, vcc_lo, s2
	s_delay_alu instid0(SALU_CYCLE_1)
	s_or_not1_b32 s2, s2, exec_lo
.LBB168_2:
	s_or_b32 exec_lo, exec_lo, s3
	s_and_saveexec_b32 s3, s2
	s_cbranch_execz .LBB168_8
; %bb.3:
	s_clause 0x1
	s_load_b64 s[4:5], s[0:1], 0x20
	s_load_b64 s[2:3], s[0:1], 0x0
	s_bfe_u32 s6, ttmp6, 0x4000c
	s_and_b32 s7, ttmp6, 15
	s_add_co_i32 s6, s6, 1
	s_getreg_b32 s8, hwreg(HW_REG_IB_STS2, 6, 4)
	s_mul_i32 s6, ttmp9, s6
	v_lshrrev_b32_e32 v1, 5, v0
	s_add_co_i32 s7, s7, s6
	s_cmp_eq_u32 s8, 0
	s_cselect_b32 s6, ttmp9, s7
	s_delay_alu instid0(VALU_DEP_1) | instid1(SALU_CYCLE_1)
	v_lshl_or_b32 v26, s6, 2, v1
	s_mov_b32 s6, 0
	s_wait_kmcnt 0x0
	s_cmp_lg_u64 s[4:5], 0
	s_cbranch_scc0 .LBB168_9
; %bb.4:
	s_load_b32 s6, s[0:1], 0x18
	s_mov_b32 s7, 0
                                        ; implicit-def: $vgpr1
	s_wait_kmcnt 0x0
	v_cmp_gt_i32_e32 vcc_lo, s6, v26
	s_mov_b32 s6, 0
	s_and_saveexec_b32 s8, vcc_lo
	s_delay_alu instid0(SALU_CYCLE_1)
	s_xor_b32 s8, exec_lo, s8
	s_cbranch_execz .LBB168_6
; %bb.5:
	global_load_b32 v1, v26, s[4:5] scale_offset
	s_mov_b32 s6, exec_lo
	s_wait_loadcnt 0x0
	v_subrev_nc_u32_e32 v1, s12, v1
.LBB168_6:
	s_or_b32 exec_lo, exec_lo, s8
	s_delay_alu instid0(SALU_CYCLE_1)
	s_and_b32 vcc_lo, exec_lo, s7
	s_cbranch_vccz .LBB168_10
.LBB168_7:
	v_cmp_gt_i32_e32 vcc_lo, s2, v26
	s_and_not1_b32 s2, s6, exec_lo
	s_and_b32 s4, vcc_lo, exec_lo
	s_delay_alu instid0(SALU_CYCLE_1) | instskip(NEXT) | instid1(SALU_CYCLE_1)
	s_or_b32 s6, s2, s4
	s_and_b32 exec_lo, exec_lo, s6
	s_cbranch_execnz .LBB168_11
.LBB168_8:
	s_sendmsg sendmsg(MSG_DEALLOC_VGPRS)
	s_endpgm
.LBB168_9:
                                        ; implicit-def: $vgpr1
	s_cbranch_execnz .LBB168_7
.LBB168_10:
	s_delay_alu instid0(VALU_DEP_1)
	v_mov_b32_e32 v26, v1
	s_and_b32 exec_lo, exec_lo, s6
	s_cbranch_execz .LBB168_8
.LBB168_11:
	s_load_b256 s[4:11], s[0:1], 0x28
	s_wait_kmcnt 0x0
	global_load_b32 v32, v26, s[4:5] scale_offset
	s_cmp_eq_u64 s[6:7], 0
	s_cselect_b32 vcc_lo, -1, 0
	v_ashrrev_i32_e32 v27, 31, v26
	s_cmp_eq_u32 s3, 1
	s_delay_alu instid0(VALU_DEP_1) | instskip(SKIP_1) | instid1(VALU_DEP_2)
	v_lshlrev_b64_e32 v[10:11], 2, v[26:27]
	v_and_b32_e32 v27, 31, v0
	v_add_nc_u64_e32 v[12:13], s[4:5], v[10:11]
	v_add_nc_u64_e32 v[10:11], s[6:7], v[10:11]
	s_wait_xcnt 0x0
	s_load_b64 s[4:5], s[0:1], 0x48
	s_delay_alu instid0(VALU_DEP_2) | instskip(NEXT) | instid1(VALU_DEP_1)
	v_add_nc_u64_e32 v[12:13], 4, v[12:13]
	v_cndmask_b32_e32 v11, v11, v13, vcc_lo
	s_wait_loadcnt 0x0
	v_subrev_nc_u32_e32 v0, s12, v32
	s_delay_alu instid0(VALU_DEP_1) | instskip(SKIP_2) | instid1(VALU_DEP_1)
	v_dual_cndmask_b32 v10, v10, v12, vcc_lo :: v_dual_add_nc_u32 v16, v0, v27
	global_load_b32 v10, v[10:11], off
	v_ashrrev_i32_e32 v17, 31, v16
	v_lshlrev_b64_e32 v[0:1], 7, v[16:17]
	s_delay_alu instid0(VALU_DEP_1) | instskip(SKIP_2) | instid1(VALU_DEP_1)
	v_add_nc_u64_e32 v[18:19], s[10:11], v[0:1]
	s_wait_loadcnt 0x0
	v_subrev_nc_u32_e32 v17, s12, v10
	v_cmp_lt_i32_e64 s2, v16, v17
	s_cbranch_scc1 .LBB168_23
; %bb.12:
	v_mov_b64_e32 v[0:1], 0
	v_mov_b64_e32 v[22:23], 0
	;; [unrolled: 1-line block ×8, first 2 shown]
	s_and_saveexec_b32 s3, s2
	s_cbranch_execz .LBB168_22
; %bb.13:
	v_add_nc_u32_e32 v0, v32, v27
	v_not_b32_e32 v1, v32
	v_mov_b64_e32 v[20:21], 0
	v_mov_b64_e32 v[14:15], 0
	;; [unrolled: 1-line block ×3, first 2 shown]
	v_subrev_nc_u32_e32 v0, s12, v0
	v_mov_b64_e32 v[12:13], 0
	v_mov_b64_e32 v[24:25], 0
	;; [unrolled: 1-line block ×4, first 2 shown]
	v_add_max_i32_e64 v0, v0, 32, v17
	v_mov_b64_e32 v[30:31], v[18:19]
	s_delay_alu instid0(VALU_DEP_2) | instskip(NEXT) | instid1(VALU_DEP_1)
	v_add3_u32 v0, s12, v0, v1
	v_sub_nc_u32_e32 v34, v0, v27
	v_mov_b64_e32 v[0:1], 0
	s_delay_alu instid0(VALU_DEP_2) | instskip(NEXT) | instid1(VALU_DEP_1)
	v_and_b32_e32 v33, 0x60, v34
	v_cmp_ne_u32_e32 vcc_lo, 0x60, v33
	v_mov_b32_e32 v33, v16
	s_and_saveexec_b32 s6, vcc_lo
	s_cbranch_execz .LBB168_17
; %bb.14:
	v_dual_mov_b32 v33, v16 :: v_dual_lshrrev_b32 v10, 5, v34
	v_mov_b64_e32 v[0:1], 0
	v_mov_b64_e32 v[22:23], 0
	;; [unrolled: 1-line block ×3, first 2 shown]
	s_delay_alu instid0(VALU_DEP_4)
	v_add_nc_u32_e32 v12, 1, v10
	v_mov_b64_e32 v[10:11], 0
	v_mov_b64_e32 v[28:29], 0
	;; [unrolled: 1-line block ×4, first 2 shown]
	v_and_b32_e32 v30, 3, v12
	v_mov_b64_e32 v[12:13], 0
	s_mov_b32 s7, 0
	s_delay_alu instid0(VALU_DEP_2)
	v_sub_nc_u32_e32 v35, 0, v30
	v_mov_b64_e32 v[30:31], v[18:19]
.LBB168_15:                             ; =>This Inner Loop Header: Depth=1
	global_load_b32 v52, v33, s[8:9] scale_offset
	s_clause 0x3
	global_load_b128 v[36:39], v[30:31], off
	global_load_b128 v[40:43], v[30:31], off offset:32
	global_load_b128 v[44:47], v[30:31], off offset:64
	;; [unrolled: 1-line block ×3, first 2 shown]
	v_add_co_u32 v35, s10, v35, 1
	s_or_b32 s7, s10, s7
	s_wait_xcnt 0x4
	v_add_nc_u32_e32 v33, 32, v33
	s_wait_loadcnt 0x4
	v_subrev_nc_u32_e32 v52, s12, v52
	s_wait_loadcnt 0x2
	v_cvt_f64_f32_e32 v[86:87], v40
	v_cvt_f64_f32_e32 v[40:41], v41
	s_wait_loadcnt 0x1
	v_cvt_f64_f32_e32 v[88:89], v44
	v_lshlrev_b32_e32 v84, 2, v52
	s_wait_kmcnt 0x0
	s_clause 0x1
	global_load_b128 v[52:55], v84, s[4:5] scale_offset
	global_load_b128 v[56:59], v84, s[4:5] offset:16 scale_offset
	s_clause 0x3
	global_load_b128 v[60:63], v[30:31], off offset:16
	global_load_b128 v[64:67], v[30:31], off offset:48
	;; [unrolled: 1-line block ×4, first 2 shown]
	s_clause 0x1
	global_load_b128 v[76:79], v84, s[4:5] offset:32 scale_offset
	global_load_b128 v[80:83], v84, s[4:5] offset:48 scale_offset
	s_wait_xcnt 0x0
	v_cvt_f64_f32_e32 v[84:85], v36
	v_cvt_f64_f32_e32 v[36:37], v37
	;; [unrolled: 1-line block ×3, first 2 shown]
	s_wait_loadcnt 0x8
	v_cvt_f64_f32_e32 v[90:91], v48
	v_cvt_f64_f32_e32 v[48:49], v49
	;; [unrolled: 1-line block ×8, first 2 shown]
	v_add_nc_u64_e32 v[30:31], 0x1000, v[30:31]
	s_wait_loadcnt 0x7
	v_fmac_f64_e32 v[22:23], v[84:85], v[52:53]
	v_fmac_f64_e32 v[0:1], v[36:37], v[52:53]
	;; [unrolled: 1-line block ×8, first 2 shown]
	v_cvt_f64_f32_e32 v[52:53], v38
	v_cvt_f64_f32_e32 v[38:39], v39
	v_fma_f64 v[22:23], -v[36:37], v[54:55], v[22:23]
	v_fmac_f64_e32 v[0:1], v[84:85], v[54:55]
	v_fma_f64 v[24:25], -v[40:41], v[54:55], v[24:25]
	v_fmac_f64_e32 v[10:11], v[86:87], v[54:55]
	;; [unrolled: 2-line block ×4, first 2 shown]
	s_wait_loadcnt 0x5
	v_cvt_f64_f32_e32 v[36:37], v60
	v_cvt_f64_f32_e32 v[40:41], v61
	s_wait_loadcnt 0x4
	v_cvt_f64_f32_e32 v[44:45], v64
	v_cvt_f64_f32_e32 v[48:49], v65
	s_wait_loadcnt 0x3
	v_cvt_f64_f32_e32 v[54:55], v68
	s_wait_loadcnt 0x2
	v_cvt_f64_f32_e32 v[60:61], v72
	v_cvt_f64_f32_e32 v[64:65], v73
	v_fmac_f64_e32 v[22:23], v[52:53], v[56:57]
	v_fmac_f64_e32 v[0:1], v[38:39], v[56:57]
	;; [unrolled: 1-line block ×8, first 2 shown]
	v_cvt_f64_f32_e32 v[56:57], v69
	v_fma_f64 v[22:23], -v[38:39], v[58:59], v[22:23]
	v_fmac_f64_e32 v[0:1], v[52:53], v[58:59]
	v_fma_f64 v[24:25], -v[42:43], v[58:59], v[24:25]
	v_fmac_f64_e32 v[10:11], v[92:93], v[58:59]
	;; [unrolled: 2-line block ×4, first 2 shown]
	v_cvt_f64_f32_e32 v[38:39], v62
	v_cvt_f64_f32_e32 v[42:43], v63
	;; [unrolled: 1-line block ×8, first 2 shown]
	s_wait_loadcnt 0x1
	v_fmac_f64_e32 v[22:23], v[36:37], v[76:77]
	v_fmac_f64_e32 v[0:1], v[40:41], v[76:77]
	;; [unrolled: 1-line block ×8, first 2 shown]
	v_fma_f64 v[22:23], -v[40:41], v[78:79], v[22:23]
	v_fmac_f64_e32 v[0:1], v[36:37], v[78:79]
	v_fma_f64 v[24:25], -v[48:49], v[78:79], v[24:25]
	v_fmac_f64_e32 v[10:11], v[44:45], v[78:79]
	v_fma_f64 v[28:29], -v[56:57], v[78:79], v[28:29]
	v_fmac_f64_e32 v[12:13], v[54:55], v[78:79]
	v_fma_f64 v[20:21], -v[64:65], v[78:79], v[20:21]
	v_fmac_f64_e32 v[14:15], v[60:61], v[78:79]
	s_wait_loadcnt 0x0
	v_fmac_f64_e32 v[22:23], v[38:39], v[80:81]
	v_fmac_f64_e32 v[0:1], v[42:43], v[80:81]
	;; [unrolled: 1-line block ×8, first 2 shown]
	v_fma_f64 v[22:23], -v[42:43], v[82:83], v[22:23]
	v_fmac_f64_e32 v[0:1], v[38:39], v[82:83]
	v_fma_f64 v[24:25], -v[50:51], v[82:83], v[24:25]
	v_fmac_f64_e32 v[10:11], v[46:47], v[82:83]
	v_fma_f64 v[28:29], -v[58:59], v[82:83], v[28:29]
	v_fmac_f64_e32 v[12:13], v[52:53], v[82:83]
	v_fma_f64 v[20:21], -v[66:67], v[82:83], v[20:21]
	v_fmac_f64_e32 v[14:15], v[62:63], v[82:83]
	s_and_not1_b32 exec_lo, exec_lo, s7
	s_cbranch_execnz .LBB168_15
; %bb.16:
	s_or_b32 exec_lo, exec_lo, s7
.LBB168_17:
	s_delay_alu instid0(SALU_CYCLE_1) | instskip(NEXT) | instid1(SALU_CYCLE_1)
	s_or_b32 exec_lo, exec_lo, s6
	s_mov_b32 s6, exec_lo
	v_cmpx_lt_u32_e32 0x5f, v34
	s_cbranch_execz .LBB168_21
; %bb.18:
	s_mov_b32 s7, 0
.LBB168_19:                             ; =>This Inner Loop Header: Depth=1
	s_clause 0x1
	global_load_b32 v50, v33, s[8:9] scale_offset
	global_load_b32 v98, v33, s[8:9] offset:128 scale_offset
	s_clause 0x3
	global_load_b128 v[34:37], v[30:31], off
	global_load_b128 v[38:41], v[30:31], off offset:32
	global_load_b128 v[42:45], v[30:31], off offset:64
	;; [unrolled: 1-line block ×3, first 2 shown]
	s_clause 0x1
	global_load_b32 v138, v33, s[8:9] offset:256 scale_offset
	global_load_b32 v139, v33, s[8:9] offset:384 scale_offset
	s_wait_xcnt 0x0
	v_add_nc_u32_e32 v33, 0x80, v33
	s_delay_alu instid0(VALU_DEP_1)
	v_cmp_ge_i32_e32 vcc_lo, v33, v17
	s_or_b32 s7, vcc_lo, s7
	s_wait_loadcnt 0x7
	v_subrev_nc_u32_e32 v50, s12, v50
	s_wait_loadcnt 0x6
	v_subrev_nc_u32_e32 v98, s12, v98
	s_wait_loadcnt 0x5
	v_cvt_f64_f32_e32 v[122:123], v34
	v_cvt_f64_f32_e32 v[34:35], v35
	s_wait_loadcnt 0x4
	v_cvt_f64_f32_e32 v[124:125], v38
	v_lshlrev_b32_e32 v99, 2, v50
	v_cvt_f64_f32_e32 v[38:39], v39
	s_wait_loadcnt 0x3
	v_cvt_f64_f32_e32 v[126:127], v42
	v_cvt_f64_f32_e32 v[42:43], v43
	s_wait_loadcnt 0x2
	v_cvt_f64_f32_e32 v[128:129], v46
	s_wait_kmcnt 0x0
	s_clause 0x1
	global_load_b128 v[50:53], v99, s[4:5] scale_offset
	global_load_b128 v[54:57], v99, s[4:5] offset:16 scale_offset
	s_clause 0x3
	global_load_b128 v[58:61], v[30:31], off offset:16
	global_load_b128 v[62:65], v[30:31], off offset:48
	;; [unrolled: 1-line block ×4, first 2 shown]
	s_clause 0x1
	global_load_b128 v[74:77], v99, s[4:5] offset:32 scale_offset
	global_load_b128 v[78:81], v99, s[4:5] offset:48 scale_offset
	s_clause 0x3
	global_load_b128 v[82:85], v[30:31], off offset:4096
	global_load_b128 v[86:89], v[30:31], off offset:4128
	;; [unrolled: 1-line block ×4, first 2 shown]
	v_cvt_f64_f32_e32 v[46:47], v47
	v_cvt_f64_f32_e32 v[130:131], v40
	;; [unrolled: 1-line block ×7, first 2 shown]
	s_wait_loadcnt 0xb
	v_fmac_f64_e32 v[24:25], v[124:125], v[50:51]
	v_lshlrev_b32_e32 v136, 2, v98
	v_fmac_f64_e32 v[22:23], v[122:123], v[50:51]
	v_fmac_f64_e32 v[0:1], v[34:35], v[50:51]
	;; [unrolled: 1-line block ×7, first 2 shown]
	v_cvt_f64_f32_e32 v[50:51], v36
	v_cvt_f64_f32_e32 v[36:37], v37
	v_fma_f64 v[24:25], -v[38:39], v[52:53], v[24:25]
	s_clause 0x1
	global_load_b128 v[98:101], v136, s[4:5] scale_offset
	global_load_b128 v[102:105], v136, s[4:5] offset:16 scale_offset
	s_clause 0x3
	global_load_b128 v[106:109], v[30:31], off offset:4112
	global_load_b128 v[110:113], v[30:31], off offset:4144
	;; [unrolled: 1-line block ×4, first 2 shown]
	v_fma_f64 v[34:35], -v[34:35], v[52:53], v[22:23]
	v_fmac_f64_e32 v[0:1], v[122:123], v[52:53]
	v_fmac_f64_e32 v[10:11], v[124:125], v[52:53]
	v_fma_f64 v[28:29], -v[42:43], v[52:53], v[28:29]
	v_fmac_f64_e32 v[12:13], v[126:127], v[52:53]
	v_fma_f64 v[38:39], -v[46:47], v[52:53], v[20:21]
	v_fmac_f64_e32 v[14:15], v[128:129], v[52:53]
	global_load_b128 v[20:23], v136, s[4:5] offset:32 scale_offset
	s_wait_loadcnt 0xf
	v_cvt_f64_f32_e32 v[122:123], v62
	v_cvt_f64_f32_e32 v[62:63], v63
	s_wait_loadcnt 0xe
	v_cvt_f64_f32_e32 v[124:125], v66
	v_cvt_f64_f32_e32 v[66:67], v67
	;; [unrolled: 3-line block ×3, first 2 shown]
	v_fmac_f64_e32 v[24:25], v[130:131], v[54:55]
	v_fmac_f64_e32 v[34:35], v[50:51], v[54:55]
	;; [unrolled: 1-line block ×8, first 2 shown]
	v_cvt_f64_f32_e32 v[54:55], v58
	v_cvt_f64_f32_e32 v[58:59], v59
	v_fma_f64 v[24:25], -v[40:41], v[56:57], v[24:25]
	v_fma_f64 v[128:129], -v[36:37], v[56:57], v[34:35]
	v_fmac_f64_e32 v[0:1], v[50:51], v[56:57]
	v_fmac_f64_e32 v[10:11], v[130:131], v[56:57]
	v_fma_f64 v[28:29], -v[44:45], v[56:57], v[28:29]
	v_fmac_f64_e32 v[12:13], v[132:133], v[56:57]
	v_fma_f64 v[130:131], -v[48:49], v[56:57], v[38:39]
	v_fmac_f64_e32 v[14:15], v[134:135], v[56:57]
	global_load_b128 v[34:37], v136, s[4:5] offset:48 scale_offset
	s_clause 0x3
	global_load_b128 v[38:41], v[30:31], off offset:8192
	global_load_b128 v[42:45], v[30:31], off offset:8224
	;; [unrolled: 1-line block ×4, first 2 shown]
	v_cvt_f64_f32_e32 v[132:133], v64
	v_cvt_f64_f32_e32 v[64:65], v65
	;; [unrolled: 1-line block ×4, first 2 shown]
	s_wait_xcnt 0x4
	v_cvt_f64_f32_e32 v[136:137], v72
	v_cvt_f64_f32_e32 v[72:73], v73
	s_wait_loadcnt 0x11
	v_fmac_f64_e32 v[24:25], v[122:123], v[74:75]
	v_fmac_f64_e32 v[128:129], v[54:55], v[74:75]
	;; [unrolled: 1-line block ×8, first 2 shown]
	v_cvt_f64_f32_e32 v[74:75], v60
	v_cvt_f64_f32_e32 v[60:61], v61
	v_fma_f64 v[24:25], -v[62:63], v[76:77], v[24:25]
	v_fma_f64 v[58:59], -v[58:59], v[76:77], v[128:129]
	v_fmac_f64_e32 v[0:1], v[54:55], v[76:77]
	v_fmac_f64_e32 v[10:11], v[122:123], v[76:77]
	v_fma_f64 v[28:29], -v[66:67], v[76:77], v[28:29]
	v_fmac_f64_e32 v[12:13], v[124:125], v[76:77]
	v_fma_f64 v[62:63], -v[70:71], v[76:77], v[130:131]
	v_fmac_f64_e32 v[14:15], v[126:127], v[76:77]
	v_subrev_nc_u32_e32 v54, s12, v138
	s_wait_loadcnt 0xe
	v_cvt_f64_f32_e32 v[122:123], v86
	v_cvt_f64_f32_e32 v[86:87], v87
	s_wait_loadcnt 0xd
	v_cvt_f64_f32_e32 v[124:125], v90
	v_cvt_f64_f32_e32 v[90:91], v91
	v_lshlrev_b32_e32 v138, 2, v54
	s_wait_loadcnt 0xc
	v_cvt_f64_f32_e32 v[126:127], v94
	v_cvt_f64_f32_e32 v[94:95], v95
	global_load_b128 v[54:57], v138, s[4:5] scale_offset
	v_fmac_f64_e32 v[24:25], v[132:133], v[78:79]
	v_fmac_f64_e32 v[58:59], v[74:75], v[78:79]
	;; [unrolled: 1-line block ×8, first 2 shown]
	v_cvt_f64_f32_e32 v[78:79], v82
	v_cvt_f64_f32_e32 v[82:83], v83
	v_fma_f64 v[24:25], -v[64:65], v[80:81], v[24:25]
	v_fma_f64 v[128:129], -v[60:61], v[80:81], v[58:59]
	v_fmac_f64_e32 v[0:1], v[74:75], v[80:81]
	v_fmac_f64_e32 v[10:11], v[132:133], v[80:81]
	v_fma_f64 v[28:29], -v[68:69], v[80:81], v[28:29]
	v_fmac_f64_e32 v[12:13], v[134:135], v[80:81]
	v_fma_f64 v[130:131], -v[72:73], v[80:81], v[62:63]
	v_fmac_f64_e32 v[14:15], v[136:137], v[80:81]
	global_load_b128 v[58:61], v138, s[4:5] offset:16 scale_offset
	s_clause 0x3
	global_load_b128 v[62:65], v[30:31], off offset:8208
	global_load_b128 v[66:69], v[30:31], off offset:8240
	;; [unrolled: 1-line block ×4, first 2 shown]
	v_cvt_f64_f32_e32 v[132:133], v88
	v_cvt_f64_f32_e32 v[88:89], v89
	v_cvt_f64_f32_e32 v[134:135], v92
	v_cvt_f64_f32_e32 v[92:93], v93
	v_cvt_f64_f32_e32 v[136:137], v96
	v_cvt_f64_f32_e32 v[96:97], v97
	s_wait_loadcnt 0x11
	v_fmac_f64_e32 v[128:129], v[78:79], v[98:99]
	v_fmac_f64_e32 v[0:1], v[82:83], v[98:99]
	;; [unrolled: 1-line block ×8, first 2 shown]
	v_cvt_f64_f32_e32 v[98:99], v84
	v_cvt_f64_f32_e32 v[84:85], v85
	v_fma_f64 v[82:83], -v[82:83], v[100:101], v[128:129]
	v_fmac_f64_e32 v[0:1], v[78:79], v[100:101]
	v_fma_f64 v[24:25], -v[86:87], v[100:101], v[24:25]
	v_fmac_f64_e32 v[10:11], v[122:123], v[100:101]
	;; [unrolled: 2-line block ×4, first 2 shown]
	global_load_b128 v[78:81], v138, s[4:5] offset:32 scale_offset
	s_wait_loadcnt 0xf
	v_cvt_f64_f32_e32 v[122:123], v110
	v_cvt_f64_f32_e32 v[110:111], v111
	s_wait_loadcnt 0xe
	v_cvt_f64_f32_e32 v[124:125], v114
	v_cvt_f64_f32_e32 v[114:115], v115
	;; [unrolled: 3-line block ×3, first 2 shown]
	v_fmac_f64_e32 v[82:83], v[98:99], v[102:103]
	v_fmac_f64_e32 v[0:1], v[84:85], v[102:103]
	;; [unrolled: 1-line block ×8, first 2 shown]
	v_cvt_f64_f32_e32 v[102:103], v106
	v_cvt_f64_f32_e32 v[106:107], v107
	v_fma_f64 v[128:129], -v[84:85], v[104:105], v[82:83]
	v_fmac_f64_e32 v[0:1], v[98:99], v[104:105]
	v_fma_f64 v[24:25], -v[88:89], v[104:105], v[24:25]
	v_fmac_f64_e32 v[10:11], v[132:133], v[104:105]
	;; [unrolled: 2-line block ×4, first 2 shown]
	global_load_b128 v[82:85], v138, s[4:5] offset:48 scale_offset
	s_clause 0x3
	global_load_b128 v[86:89], v[30:31], off offset:12320
	global_load_b128 v[90:93], v[30:31], off offset:12288
	;; [unrolled: 1-line block ×4, first 2 shown]
	v_cvt_f64_f32_e32 v[104:105], v108
	v_cvt_f64_f32_e32 v[108:109], v109
	;; [unrolled: 1-line block ×8, first 2 shown]
	s_wait_loadcnt 0x11
	v_fmac_f64_e32 v[128:129], v[102:103], v[20:21]
	v_fmac_f64_e32 v[0:1], v[106:107], v[20:21]
	;; [unrolled: 1-line block ×8, first 2 shown]
	v_subrev_nc_u32_e32 v20, s12, v139
	s_wait_xcnt 0x4
	s_delay_alu instid0(VALU_DEP_1)
	v_dual_fma_f64 v[106:107], -v[106:107], v[22:23], v[128:129] :: v_dual_lshlrev_b32 v138, 2, v20
	v_fmac_f64_e32 v[0:1], v[102:103], v[22:23]
	v_fma_f64 v[24:25], -v[110:111], v[22:23], v[24:25]
	v_fmac_f64_e32 v[10:11], v[122:123], v[22:23]
	v_fma_f64 v[28:29], -v[114:115], v[22:23], v[28:29]
	;; [unrolled: 2-line block ×3, first 2 shown]
	v_fmac_f64_e32 v[14:15], v[126:127], v[22:23]
	global_load_b128 v[20:23], v138, s[4:5] scale_offset
	s_wait_loadcnt 0x10
	v_cvt_f64_f32_e32 v[118:119], v38
	v_cvt_f64_f32_e32 v[38:39], v39
	s_wait_loadcnt 0xf
	v_cvt_f64_f32_e32 v[122:123], v42
	v_cvt_f64_f32_e32 v[42:43], v43
	;; [unrolled: 3-line block ×4, first 2 shown]
	v_cvt_f64_f32_e32 v[130:131], v41
	v_fmac_f64_e32 v[106:107], v[104:105], v[34:35]
	v_fmac_f64_e32 v[0:1], v[108:109], v[34:35]
	;; [unrolled: 1-line block ×8, first 2 shown]
	v_fma_f64 v[128:129], -v[108:109], v[36:37], v[106:107]
	v_fmac_f64_e32 v[0:1], v[104:105], v[36:37]
	v_fma_f64 v[24:25], -v[112:113], v[36:37], v[24:25]
	v_fmac_f64_e32 v[10:11], v[132:133], v[36:37]
	;; [unrolled: 2-line block ×4, first 2 shown]
	global_load_b128 v[34:37], v138, s[4:5] offset:16 scale_offset
	s_clause 0x3
	global_load_b128 v[102:105], v[30:31], off offset:12336
	global_load_b128 v[106:109], v[30:31], off offset:12304
	;; [unrolled: 1-line block ×4, first 2 shown]
	v_cvt_f64_f32_e32 v[132:133], v44
	v_cvt_f64_f32_e32 v[44:45], v45
	;; [unrolled: 1-line block ×6, first 2 shown]
	s_wait_xcnt 0x0
	v_add_nc_u64_e32 v[30:31], 0x4000, v[30:31]
	s_wait_loadcnt 0x11
	v_fmac_f64_e32 v[128:129], v[118:119], v[54:55]
	v_fmac_f64_e32 v[0:1], v[38:39], v[54:55]
	;; [unrolled: 1-line block ×8, first 2 shown]
	v_cvt_f64_f32_e32 v[54:55], v40
	v_fma_f64 v[128:129], -v[38:39], v[56:57], v[128:129]
	v_fmac_f64_e32 v[0:1], v[118:119], v[56:57]
	v_fma_f64 v[24:25], -v[42:43], v[56:57], v[24:25]
	v_fmac_f64_e32 v[10:11], v[122:123], v[56:57]
	;; [unrolled: 2-line block ×4, first 2 shown]
	global_load_b128 v[38:41], v138, s[4:5] offset:32 scale_offset
	s_wait_loadcnt 0x10
	v_cvt_f64_f32_e32 v[46:47], v62
	v_cvt_f64_f32_e32 v[50:51], v63
	s_wait_loadcnt 0xf
	v_cvt_f64_f32_e32 v[56:57], v66
	s_wait_loadcnt 0xe
	v_cvt_f64_f32_e32 v[62:63], v70
	v_fmac_f64_e32 v[128:129], v[54:55], v[58:59]
	v_fmac_f64_e32 v[0:1], v[130:131], v[58:59]
	;; [unrolled: 1-line block ×8, first 2 shown]
	v_cvt_f64_f32_e32 v[58:59], v67
	v_cvt_f64_f32_e32 v[66:67], v71
	s_wait_loadcnt 0xd
	v_cvt_f64_f32_e32 v[70:71], v74
	v_cvt_f64_f32_e32 v[74:75], v75
	v_fma_f64 v[118:119], -v[130:131], v[60:61], v[128:129]
	v_fmac_f64_e32 v[0:1], v[54:55], v[60:61]
	v_fma_f64 v[24:25], -v[44:45], v[60:61], v[24:25]
	v_fmac_f64_e32 v[10:11], v[132:133], v[60:61]
	;; [unrolled: 2-line block ×4, first 2 shown]
	global_load_b128 v[42:45], v138, s[4:5] offset:48 scale_offset
	v_cvt_f64_f32_e32 v[52:53], v64
	v_cvt_f64_f32_e32 v[54:55], v65
	;; [unrolled: 1-line block ×6, first 2 shown]
	s_wait_loadcnt 0xd
	v_fmac_f64_e32 v[118:119], v[46:47], v[78:79]
	v_fmac_f64_e32 v[0:1], v[50:51], v[78:79]
	;; [unrolled: 1-line block ×8, first 2 shown]
	v_cvt_f64_f32_e32 v[78:79], v76
	v_cvt_f64_f32_e32 v[76:77], v77
	v_fma_f64 v[50:51], -v[50:51], v[80:81], v[118:119]
	v_fmac_f64_e32 v[0:1], v[46:47], v[80:81]
	v_fma_f64 v[24:25], -v[58:59], v[80:81], v[24:25]
	v_fmac_f64_e32 v[10:11], v[56:57], v[80:81]
	;; [unrolled: 2-line block ×4, first 2 shown]
	s_wait_loadcnt 0xa
	v_cvt_f64_f32_e32 v[48:49], v90
	v_cvt_f64_f32_e32 v[56:57], v91
	;; [unrolled: 1-line block ×4, first 2 shown]
	s_wait_loadcnt 0x9
	v_cvt_f64_f32_e32 v[66:67], v94
	v_cvt_f64_f32_e32 v[70:71], v95
	s_wait_loadcnt 0x8
	v_cvt_f64_f32_e32 v[74:75], v98
	v_cvt_f64_f32_e32 v[80:81], v99
	v_fmac_f64_e32 v[50:51], v[52:53], v[82:83]
	v_fmac_f64_e32 v[0:1], v[54:55], v[82:83]
	;; [unrolled: 1-line block ×8, first 2 shown]
	v_fma_f64 v[50:51], -v[54:55], v[84:85], v[50:51]
	v_fmac_f64_e32 v[0:1], v[52:53], v[84:85]
	v_fma_f64 v[24:25], -v[64:65], v[84:85], v[24:25]
	v_fmac_f64_e32 v[10:11], v[60:61], v[84:85]
	;; [unrolled: 2-line block ×4, first 2 shown]
	v_cvt_f64_f32_e32 v[52:53], v93
	v_cvt_f64_f32_e32 v[54:55], v88
	;; [unrolled: 1-line block ×7, first 2 shown]
	s_wait_loadcnt 0x7
	v_fmac_f64_e32 v[50:51], v[48:49], v[20:21]
	v_fmac_f64_e32 v[0:1], v[56:57], v[20:21]
	v_fmac_f64_e32 v[24:25], v[58:59], v[20:21]
	v_fmac_f64_e32 v[10:11], v[62:63], v[20:21]
	v_fmac_f64_e32 v[28:29], v[66:67], v[20:21]
	v_fmac_f64_e32 v[12:13], v[70:71], v[20:21]
	v_fmac_f64_e32 v[46:47], v[74:75], v[20:21]
	v_fmac_f64_e32 v[14:15], v[80:81], v[20:21]
	v_cvt_f64_f32_e32 v[20:21], v92
	v_fma_f64 v[50:51], -v[56:57], v[22:23], v[50:51]
	v_fmac_f64_e32 v[0:1], v[48:49], v[22:23]
	v_fma_f64 v[24:25], -v[62:63], v[22:23], v[24:25]
	v_fmac_f64_e32 v[10:11], v[58:59], v[22:23]
	;; [unrolled: 2-line block ×4, first 2 shown]
	s_wait_loadcnt 0x4
	v_cvt_f64_f32_e32 v[22:23], v106
	v_cvt_f64_f32_e32 v[48:49], v102
	;; [unrolled: 1-line block ×3, first 2 shown]
	s_wait_loadcnt 0x3
	v_cvt_f64_f32_e32 v[58:59], v110
	v_cvt_f64_f32_e32 v[62:63], v111
	s_wait_loadcnt 0x2
	v_cvt_f64_f32_e32 v[66:67], v114
	v_cvt_f64_f32_e32 v[70:71], v115
	v_fmac_f64_e32 v[50:51], v[20:21], v[34:35]
	v_fmac_f64_e32 v[0:1], v[52:53], v[34:35]
	;; [unrolled: 1-line block ×8, first 2 shown]
	v_cvt_f64_f32_e32 v[34:35], v107
	v_fma_f64 v[50:51], -v[52:53], v[36:37], v[50:51]
	v_fmac_f64_e32 v[0:1], v[20:21], v[36:37]
	v_fma_f64 v[20:21], -v[60:61], v[36:37], v[24:25]
	v_fmac_f64_e32 v[10:11], v[54:55], v[36:37]
	;; [unrolled: 2-line block ×4, first 2 shown]
	v_cvt_f64_f32_e32 v[36:37], v108
	v_cvt_f64_f32_e32 v[46:47], v104
	;; [unrolled: 1-line block ×7, first 2 shown]
	s_wait_loadcnt 0x1
	v_fmac_f64_e32 v[50:51], v[22:23], v[38:39]
	v_fmac_f64_e32 v[0:1], v[34:35], v[38:39]
	;; [unrolled: 1-line block ×8, first 2 shown]
	v_cvt_f64_f32_e32 v[38:39], v109
	v_fma_f64 v[34:35], -v[34:35], v[40:41], v[50:51]
	v_fmac_f64_e32 v[0:1], v[22:23], v[40:41]
	v_fma_f64 v[20:21], -v[56:57], v[40:41], v[20:21]
	v_fmac_f64_e32 v[10:11], v[48:49], v[40:41]
	;; [unrolled: 2-line block ×4, first 2 shown]
	s_wait_loadcnt 0x0
	v_fmac_f64_e32 v[34:35], v[36:37], v[42:43]
	v_fmac_f64_e32 v[0:1], v[38:39], v[42:43]
	;; [unrolled: 1-line block ×8, first 2 shown]
	v_fma_f64 v[22:23], -v[38:39], v[44:45], v[34:35]
	v_fmac_f64_e32 v[0:1], v[36:37], v[44:45]
	v_fma_f64 v[24:25], -v[52:53], v[44:45], v[20:21]
	v_fmac_f64_e32 v[10:11], v[46:47], v[44:45]
	;; [unrolled: 2-line block ×4, first 2 shown]
	s_and_not1_b32 exec_lo, exec_lo, s7
	s_cbranch_execnz .LBB168_19
; %bb.20:
	s_or_b32 exec_lo, exec_lo, s7
.LBB168_21:
	s_delay_alu instid0(SALU_CYCLE_1)
	s_or_b32 exec_lo, exec_lo, s6
.LBB168_22:
	s_delay_alu instid0(SALU_CYCLE_1)
	s_or_b32 exec_lo, exec_lo, s3
	s_cbranch_execz .LBB168_24
	s_branch .LBB168_35
.LBB168_23:
                                        ; implicit-def: $vgpr0_vgpr1
                                        ; implicit-def: $vgpr22_vgpr23
                                        ; implicit-def: $vgpr10_vgpr11
                                        ; implicit-def: $vgpr24_vgpr25
                                        ; implicit-def: $vgpr12_vgpr13
                                        ; implicit-def: $vgpr28_vgpr29
                                        ; implicit-def: $vgpr14_vgpr15
                                        ; implicit-def: $vgpr20_vgpr21
.LBB168_24:
	v_mov_b64_e32 v[0:1], 0
	v_mov_b64_e32 v[22:23], 0
	;; [unrolled: 1-line block ×8, first 2 shown]
	s_and_saveexec_b32 s3, s2
	s_cbranch_execz .LBB168_34
; %bb.25:
	v_add_nc_u32_e32 v0, v32, v27
	v_not_b32_e32 v1, v32
	v_mov_b64_e32 v[20:21], 0
	v_mov_b64_e32 v[14:15], 0
	;; [unrolled: 1-line block ×3, first 2 shown]
	v_subrev_nc_u32_e32 v0, s12, v0
	v_mov_b64_e32 v[12:13], 0
	v_mov_b64_e32 v[24:25], 0
	;; [unrolled: 1-line block ×4, first 2 shown]
	v_add_max_i32_e64 v0, v0, 32, v17
	s_mov_b32 s2, exec_lo
	s_delay_alu instid0(VALU_DEP_1) | instskip(NEXT) | instid1(VALU_DEP_1)
	v_add3_u32 v0, s12, v0, v1
	v_sub_nc_u32_e32 v30, v0, v27
	v_mov_b64_e32 v[0:1], 0
	s_delay_alu instid0(VALU_DEP_2) | instskip(NEXT) | instid1(VALU_DEP_1)
	v_and_b32_e32 v31, 0x60, v30
	v_cmpx_ne_u32_e32 0x60, v31
	s_cbranch_execz .LBB168_29
; %bb.26:
	v_lshrrev_b32_e32 v0, 5, v30
	v_mov_b64_e32 v[22:23], 0
	v_mov_b64_e32 v[10:11], 0
	;; [unrolled: 1-line block ×4, first 2 shown]
	v_add_nc_u32_e32 v12, 1, v0
	v_mov_b64_e32 v[0:1], 0
	v_mov_b64_e32 v[14:15], 0
	;; [unrolled: 1-line block ×3, first 2 shown]
	s_mov_b32 s6, 0
	v_and_b32_e32 v31, 3, v12
	v_mov_b64_e32 v[12:13], 0
	s_delay_alu instid0(VALU_DEP_2)
	v_sub_nc_u32_e32 v31, 0, v31
.LBB168_27:                             ; =>This Inner Loop Header: Depth=1
	global_load_b32 v40, v16, s[8:9] scale_offset
	s_clause 0x1
	global_load_b128 v[32:35], v[18:19], off
	global_load_b128 v[36:39], v[18:19], off offset:16
	v_add_co_u32 v31, s7, v31, 1
	s_or_b32 s6, s7, s6
	s_wait_xcnt 0x2
	v_add_nc_u32_e32 v16, 32, v16
	s_wait_loadcnt 0x2
	v_subrev_nc_u32_e32 v40, s12, v40
	s_wait_loadcnt 0x1
	v_cvt_f64_f32_e32 v[82:83], v34
	v_cvt_f64_f32_e32 v[34:35], v35
	s_wait_loadcnt 0x0
	v_cvt_f64_f32_e32 v[84:85], v36
	v_cvt_f64_f32_e32 v[36:37], v37
	v_lshlrev_b32_e32 v80, 2, v40
	s_wait_kmcnt 0x0
	s_clause 0x1
	global_load_b128 v[40:43], v80, s[4:5] scale_offset
	global_load_b128 v[44:47], v80, s[4:5] offset:16 scale_offset
	s_clause 0x3
	global_load_b128 v[48:51], v[18:19], off offset:32
	global_load_b128 v[52:55], v[18:19], off offset:48
	;; [unrolled: 1-line block ×4, first 2 shown]
	s_clause 0x1
	global_load_b128 v[64:67], v80, s[4:5] offset:32 scale_offset
	global_load_b128 v[68:71], v80, s[4:5] offset:48 scale_offset
	s_clause 0x1
	global_load_b128 v[72:75], v[18:19], off offset:96
	global_load_b128 v[76:79], v[18:19], off offset:112
	s_wait_xcnt 0x2
	v_cvt_f64_f32_e32 v[80:81], v32
	v_cvt_f64_f32_e32 v[32:33], v33
	;; [unrolled: 1-line block ×4, first 2 shown]
	s_wait_xcnt 0x0
	v_add_nc_u64_e32 v[18:19], 0x1000, v[18:19]
	s_wait_loadcnt 0x9
	v_fmac_f64_e32 v[22:23], v[80:81], v[40:41]
	v_fmac_f64_e32 v[0:1], v[32:33], v[40:41]
	;; [unrolled: 1-line block ×8, first 2 shown]
	s_wait_loadcnt 0x7
	v_cvt_f64_f32_e32 v[40:41], v48
	v_cvt_f64_f32_e32 v[48:49], v49
	;; [unrolled: 1-line block ×4, first 2 shown]
	s_wait_loadcnt 0x6
	v_cvt_f64_f32_e32 v[90:91], v52
	v_cvt_f64_f32_e32 v[52:53], v53
	;; [unrolled: 1-line block ×4, first 2 shown]
	v_fma_f64 v[22:23], -v[32:33], v[42:43], v[22:23]
	v_fmac_f64_e32 v[0:1], v[80:81], v[42:43]
	v_fma_f64 v[24:25], -v[34:35], v[42:43], v[24:25]
	v_fmac_f64_e32 v[10:11], v[82:83], v[42:43]
	;; [unrolled: 2-line block ×4, first 2 shown]
	s_wait_loadcnt 0x5
	v_cvt_f64_f32_e32 v[32:33], v56
	v_cvt_f64_f32_e32 v[34:35], v57
	;; [unrolled: 1-line block ×4, first 2 shown]
	s_wait_loadcnt 0x4
	v_cvt_f64_f32_e32 v[42:43], v60
	v_cvt_f64_f32_e32 v[56:57], v62
	;; [unrolled: 1-line block ×3, first 2 shown]
	s_wait_loadcnt 0x0
	v_cvt_f64_f32_e32 v[62:63], v79
	v_fmac_f64_e32 v[22:23], v[40:41], v[44:45]
	v_fmac_f64_e32 v[0:1], v[48:49], v[44:45]
	;; [unrolled: 1-line block ×8, first 2 shown]
	v_cvt_f64_f32_e32 v[44:45], v61
	v_cvt_f64_f32_e32 v[60:61], v78
	v_fma_f64 v[22:23], -v[48:49], v[46:47], v[22:23]
	v_fmac_f64_e32 v[0:1], v[40:41], v[46:47]
	v_fma_f64 v[24:25], -v[50:51], v[46:47], v[24:25]
	v_fmac_f64_e32 v[10:11], v[88:89], v[46:47]
	v_fma_f64 v[28:29], -v[52:53], v[46:47], v[28:29]
	v_fmac_f64_e32 v[12:13], v[90:91], v[46:47]
	v_fma_f64 v[20:21], -v[54:55], v[46:47], v[20:21]
	v_fmac_f64_e32 v[14:15], v[92:93], v[46:47]
	v_cvt_f64_f32_e32 v[40:41], v72
	v_cvt_f64_f32_e32 v[46:47], v73
	;; [unrolled: 1-line block ×6, first 2 shown]
	v_fmac_f64_e32 v[22:23], v[32:33], v[64:65]
	v_fmac_f64_e32 v[0:1], v[34:35], v[64:65]
	;; [unrolled: 1-line block ×8, first 2 shown]
	v_fma_f64 v[22:23], -v[34:35], v[66:67], v[22:23]
	v_fmac_f64_e32 v[0:1], v[32:33], v[66:67]
	v_fma_f64 v[24:25], -v[38:39], v[66:67], v[24:25]
	v_fmac_f64_e32 v[10:11], v[36:37], v[66:67]
	;; [unrolled: 2-line block ×4, first 2 shown]
	v_fmac_f64_e32 v[22:23], v[40:41], v[68:69]
	v_fmac_f64_e32 v[0:1], v[46:47], v[68:69]
	;; [unrolled: 1-line block ×8, first 2 shown]
	v_fma_f64 v[22:23], -v[46:47], v[70:71], v[22:23]
	v_fmac_f64_e32 v[0:1], v[40:41], v[70:71]
	v_fma_f64 v[24:25], -v[50:51], v[70:71], v[24:25]
	v_fmac_f64_e32 v[10:11], v[48:49], v[70:71]
	;; [unrolled: 2-line block ×4, first 2 shown]
	s_and_not1_b32 exec_lo, exec_lo, s6
	s_cbranch_execnz .LBB168_27
; %bb.28:
	s_or_b32 exec_lo, exec_lo, s6
.LBB168_29:
	s_delay_alu instid0(SALU_CYCLE_1) | instskip(NEXT) | instid1(SALU_CYCLE_1)
	s_or_b32 exec_lo, exec_lo, s2
	s_mov_b32 s2, exec_lo
	v_cmpx_lt_u32_e32 0x5f, v30
	s_cbranch_execz .LBB168_33
; %bb.30:
	s_mov_b32 s6, 0
.LBB168_31:                             ; =>This Inner Loop Header: Depth=1
	s_clause 0x1
	global_load_b32 v38, v16, s[8:9] scale_offset
	global_load_b32 v86, v16, s[8:9] offset:128 scale_offset
	s_clause 0x1
	global_load_b128 v[30:33], v[18:19], off
	global_load_b128 v[34:37], v[18:19], off offset:16
	s_clause 0x1
	global_load_b32 v130, v16, s[8:9] offset:256 scale_offset
	global_load_b32 v134, v16, s[8:9] offset:384 scale_offset
	s_wait_xcnt 0x0
	v_add_nc_u32_e32 v16, 0x80, v16
	s_delay_alu instid0(VALU_DEP_1)
	v_cmp_ge_i32_e32 vcc_lo, v16, v17
	s_or_b32 s6, vcc_lo, s6
	s_wait_loadcnt 0x5
	v_subrev_nc_u32_e32 v38, s12, v38
	s_wait_loadcnt 0x4
	v_subrev_nc_u32_e32 v86, s12, v86
	s_wait_loadcnt 0x3
	v_cvt_f64_f32_e32 v[104:105], v31
	v_cvt_f64_f32_e32 v[106:107], v32
	;; [unrolled: 1-line block ×3, first 2 shown]
	v_lshlrev_b32_e32 v87, 2, v38
	v_cvt_f64_f32_e32 v[102:103], v30
	s_wait_loadcnt 0x2
	v_cvt_f64_f32_e32 v[110:111], v34
	v_cvt_f64_f32_e32 v[112:113], v35
	;; [unrolled: 1-line block ×3, first 2 shown]
	s_wait_kmcnt 0x0
	global_load_b128 v[38:41], v87, s[4:5] scale_offset
	s_clause 0x1
	global_load_b128 v[42:45], v[18:19], off offset:32
	global_load_b128 v[46:49], v[18:19], off offset:48
	global_load_b128 v[50:53], v87, s[4:5] offset:16 scale_offset
	s_clause 0x1
	global_load_b128 v[54:57], v[18:19], off offset:64
	global_load_b128 v[58:61], v[18:19], off offset:80
	global_load_b128 v[62:65], v87, s[4:5] offset:32 scale_offset
	;; [unrolled: 4-line block ×3, first 2 shown]
	s_clause 0x1
	global_load_b128 v[78:81], v[18:19], off offset:4096
	global_load_b128 v[82:85], v[18:19], off offset:4112
	v_cvt_f64_f32_e32 v[116:117], v37
	s_wait_loadcnt 0xb
	v_fmac_f64_e32 v[24:25], v[106:107], v[38:39]
	v_lshlrev_b32_e32 v131, 2, v86
	v_fmac_f64_e32 v[22:23], v[102:103], v[38:39]
	v_fmac_f64_e32 v[0:1], v[104:105], v[38:39]
	;; [unrolled: 1-line block ×7, first 2 shown]
	s_wait_loadcnt 0xa
	v_cvt_f64_f32_e32 v[118:119], v42
	v_cvt_f64_f32_e32 v[120:121], v43
	;; [unrolled: 1-line block ×4, first 2 shown]
	s_wait_loadcnt 0x9
	v_cvt_f64_f32_e32 v[126:127], v46
	v_cvt_f64_f32_e32 v[46:47], v47
	;; [unrolled: 1-line block ×4, first 2 shown]
	v_fma_f64 v[24:25], -v[108:109], v[40:41], v[24:25]
	global_load_b128 v[86:89], v131, s[4:5] scale_offset
	s_clause 0x1
	global_load_b128 v[90:93], v[18:19], off offset:4128
	global_load_b128 v[94:97], v[18:19], off offset:4144
	global_load_b128 v[30:33], v131, s[4:5] offset:16 scale_offset
	s_clause 0x1
	global_load_b128 v[34:37], v[18:19], off offset:4160
	global_load_b128 v[98:101], v[18:19], off offset:4176
	v_fma_f64 v[104:105], -v[104:105], v[40:41], v[22:23]
	v_fmac_f64_e32 v[0:1], v[102:103], v[40:41]
	v_fmac_f64_e32 v[10:11], v[106:107], v[40:41]
	v_fma_f64 v[28:29], -v[112:113], v[40:41], v[28:29]
	v_fmac_f64_e32 v[12:13], v[110:111], v[40:41]
	v_fma_f64 v[102:103], -v[116:117], v[40:41], v[20:21]
	v_fmac_f64_e32 v[14:15], v[114:115], v[40:41]
	global_load_b128 v[20:23], v131, s[4:5] offset:32 scale_offset
	s_clause 0x1
	global_load_b128 v[38:41], v[18:19], off offset:4192
	global_load_b128 v[42:45], v[18:19], off offset:4208
	s_wait_loadcnt 0x10
	v_cvt_f64_f32_e32 v[106:107], v54
	v_cvt_f64_f32_e32 v[108:109], v55
	;; [unrolled: 1-line block ×4, first 2 shown]
	s_wait_loadcnt 0xf
	v_cvt_f64_f32_e32 v[114:115], v58
	v_cvt_f64_f32_e32 v[58:59], v59
	;; [unrolled: 1-line block ×4, first 2 shown]
	v_fmac_f64_e32 v[24:25], v[122:123], v[50:51]
	v_fmac_f64_e32 v[104:105], v[118:119], v[50:51]
	;; [unrolled: 1-line block ×8, first 2 shown]
	v_fma_f64 v[24:25], -v[124:125], v[52:53], v[24:25]
	s_wait_loadcnt 0xd
	v_cvt_f64_f32_e32 v[124:125], v69
	v_fma_f64 v[104:105], -v[120:121], v[52:53], v[104:105]
	v_fmac_f64_e32 v[0:1], v[118:119], v[52:53]
	v_fmac_f64_e32 v[10:11], v[122:123], v[52:53]
	v_fma_f64 v[28:29], -v[46:47], v[52:53], v[28:29]
	v_fmac_f64_e32 v[12:13], v[126:127], v[52:53]
	v_fma_f64 v[102:103], -v[48:49], v[52:53], v[102:103]
	v_fmac_f64_e32 v[14:15], v[128:129], v[52:53]
	global_load_b128 v[46:49], v131, s[4:5] offset:48 scale_offset
	s_clause 0x1
	global_load_b128 v[50:53], v[18:19], off offset:8192
	global_load_b128 v[54:57], v[18:19], off offset:8208
	v_cvt_f64_f32_e32 v[118:119], v66
	v_cvt_f64_f32_e32 v[120:121], v67
	;; [unrolled: 1-line block ×3, first 2 shown]
	s_wait_loadcnt 0xf
	v_cvt_f64_f32_e32 v[126:127], v70
	v_cvt_f64_f32_e32 v[70:71], v71
	;; [unrolled: 1-line block ×4, first 2 shown]
	v_fmac_f64_e32 v[24:25], v[110:111], v[62:63]
	v_fmac_f64_e32 v[104:105], v[106:107], v[62:63]
	;; [unrolled: 1-line block ×8, first 2 shown]
	v_fma_f64 v[24:25], -v[112:113], v[64:65], v[24:25]
	s_wait_loadcnt 0xd
	v_cvt_f64_f32_e32 v[112:113], v81
	v_fma_f64 v[104:105], -v[108:109], v[64:65], v[104:105]
	v_fmac_f64_e32 v[0:1], v[106:107], v[64:65]
	v_fmac_f64_e32 v[10:11], v[110:111], v[64:65]
	v_fma_f64 v[28:29], -v[58:59], v[64:65], v[28:29]
	v_fmac_f64_e32 v[12:13], v[114:115], v[64:65]
	v_fma_f64 v[102:103], -v[60:61], v[64:65], v[102:103]
	v_fmac_f64_e32 v[14:15], v[116:117], v[64:65]
	v_subrev_nc_u32_e32 v58, s12, v130
	v_cvt_f64_f32_e32 v[106:107], v78
	v_cvt_f64_f32_e32 v[108:109], v79
	;; [unrolled: 1-line block ×3, first 2 shown]
	s_wait_loadcnt 0xc
	v_cvt_f64_f32_e32 v[114:115], v82
	v_lshlrev_b32_e32 v130, 2, v58
	v_cvt_f64_f32_e32 v[82:83], v83
	v_cvt_f64_f32_e32 v[116:117], v84
	;; [unrolled: 1-line block ×3, first 2 shown]
	global_load_b128 v[58:61], v130, s[4:5] scale_offset
	s_clause 0x1
	global_load_b128 v[62:65], v[18:19], off offset:8224
	global_load_b128 v[66:69], v[18:19], off offset:8240
	v_fmac_f64_e32 v[24:25], v[122:123], v[74:75]
	v_fmac_f64_e32 v[104:105], v[118:119], v[74:75]
	;; [unrolled: 1-line block ×8, first 2 shown]
	v_fma_f64 v[24:25], -v[124:125], v[76:77], v[24:25]
	v_fma_f64 v[104:105], -v[120:121], v[76:77], v[104:105]
	v_fmac_f64_e32 v[0:1], v[118:119], v[76:77]
	v_fmac_f64_e32 v[10:11], v[122:123], v[76:77]
	v_fma_f64 v[28:29], -v[70:71], v[76:77], v[28:29]
	v_fmac_f64_e32 v[12:13], v[126:127], v[76:77]
	v_fma_f64 v[102:103], -v[72:73], v[76:77], v[102:103]
	v_fmac_f64_e32 v[14:15], v[128:129], v[76:77]
	global_load_b128 v[70:73], v130, s[4:5] offset:16 scale_offset
	s_clause 0x1
	global_load_b128 v[74:77], v[18:19], off offset:8256
	global_load_b128 v[78:81], v[18:19], off offset:8272
	s_wait_loadcnt 0x11
	v_fmac_f64_e32 v[104:105], v[106:107], v[86:87]
	v_fmac_f64_e32 v[0:1], v[108:109], v[86:87]
	;; [unrolled: 1-line block ×8, first 2 shown]
	s_wait_loadcnt 0x10
	v_cvt_f64_f32_e32 v[118:119], v90
	v_cvt_f64_f32_e32 v[90:91], v91
	;; [unrolled: 1-line block ×4, first 2 shown]
	s_wait_loadcnt 0xf
	v_cvt_f64_f32_e32 v[122:123], v94
	v_cvt_f64_f32_e32 v[94:95], v95
	;; [unrolled: 1-line block ×4, first 2 shown]
	s_wait_loadcnt 0x9
	v_cvt_f64_f32_e32 v[126:127], v42
	v_cvt_f64_f32_e32 v[128:129], v43
	;; [unrolled: 1-line block ×3, first 2 shown]
	v_fma_f64 v[104:105], -v[108:109], v[88:89], v[104:105]
	v_fmac_f64_e32 v[0:1], v[106:107], v[88:89]
	v_fma_f64 v[24:25], -v[112:113], v[88:89], v[24:25]
	v_fmac_f64_e32 v[10:11], v[110:111], v[88:89]
	v_fma_f64 v[106:107], -v[82:83], v[88:89], v[28:29]
	v_fmac_f64_e32 v[12:13], v[114:115], v[88:89]
	v_fma_f64 v[102:103], -v[84:85], v[88:89], v[102:103]
	v_fmac_f64_e32 v[14:15], v[116:117], v[88:89]
	global_load_b128 v[82:85], v130, s[4:5] offset:32 scale_offset
	v_cvt_f64_f32_e32 v[108:109], v34
	v_cvt_f64_f32_e32 v[110:111], v35
	;; [unrolled: 1-line block ×8, first 2 shown]
	v_fmac_f64_e32 v[104:105], v[118:119], v[30:31]
	v_fmac_f64_e32 v[0:1], v[90:91], v[30:31]
	v_fmac_f64_e32 v[24:25], v[120:121], v[30:31]
	v_fmac_f64_e32 v[10:11], v[92:93], v[30:31]
	v_fmac_f64_e32 v[106:107], v[122:123], v[30:31]
	v_fmac_f64_e32 v[12:13], v[94:95], v[30:31]
	v_fmac_f64_e32 v[102:103], v[124:125], v[30:31]
	v_fmac_f64_e32 v[14:15], v[96:97], v[30:31]
	s_clause 0x1
	global_load_b128 v[28:31], v[18:19], off offset:8288
	global_load_b128 v[86:89], v[18:19], off offset:8304
	v_fma_f64 v[104:105], -v[90:91], v[32:33], v[104:105]
	v_fmac_f64_e32 v[0:1], v[118:119], v[32:33]
	v_fma_f64 v[24:25], -v[92:93], v[32:33], v[24:25]
	v_fmac_f64_e32 v[10:11], v[120:121], v[32:33]
	;; [unrolled: 2-line block ×4, first 2 shown]
	global_load_b128 v[32:35], v130, s[4:5] offset:48 scale_offset
	s_clause 0x1
	global_load_b128 v[90:93], v[18:19], off offset:12288
	global_load_b128 v[94:97], v[18:19], off offset:12304
	v_cvt_f64_f32_e32 v[118:119], v38
	v_cvt_f64_f32_e32 v[120:121], v39
	;; [unrolled: 1-line block ×4, first 2 shown]
	s_wait_xcnt 0x2
	v_cvt_f64_f32_e32 v[130:131], v44
	v_fmac_f64_e32 v[104:105], v[108:109], v[20:21]
	v_fmac_f64_e32 v[0:1], v[110:111], v[20:21]
	;; [unrolled: 1-line block ×8, first 2 shown]
	v_subrev_nc_u32_e32 v20, s12, v134
	s_delay_alu instid0(VALU_DEP_1)
	v_dual_fma_f64 v[104:105], -v[110:111], v[22:23], v[104:105] :: v_dual_lshlrev_b32 v134, 2, v20
	v_fmac_f64_e32 v[0:1], v[108:109], v[22:23]
	v_fma_f64 v[24:25], -v[36:37], v[22:23], v[24:25]
	v_fmac_f64_e32 v[10:11], v[112:113], v[22:23]
	v_fma_f64 v[98:99], -v[98:99], v[22:23], v[106:107]
	;; [unrolled: 2-line block ×3, first 2 shown]
	v_fmac_f64_e32 v[14:15], v[116:117], v[22:23]
	s_clause 0x1
	global_load_b128 v[20:23], v134, s[4:5] offset:16 scale_offset
	global_load_b128 v[36:39], v134, s[4:5] scale_offset
	s_wait_loadcnt 0xf
	v_cvt_f64_f32_e32 v[102:103], v50
	v_cvt_f64_f32_e32 v[106:107], v51
	v_cvt_f64_f32_e32 v[108:109], v52
	v_cvt_f64_f32_e32 v[110:111], v53
	s_wait_loadcnt 0xe
	v_cvt_f64_f32_e32 v[112:113], v54
	v_cvt_f64_f32_e32 v[114:115], v55
	;; [unrolled: 1-line block ×4, first 2 shown]
	v_fmac_f64_e32 v[104:105], v[118:119], v[46:47]
	v_fmac_f64_e32 v[0:1], v[120:121], v[46:47]
	;; [unrolled: 1-line block ×8, first 2 shown]
	s_clause 0x1
	global_load_b128 v[40:43], v[18:19], off offset:12336
	global_load_b128 v[44:47], v[18:19], off offset:12320
	v_fma_f64 v[104:105], -v[120:121], v[48:49], v[104:105]
	v_fmac_f64_e32 v[0:1], v[118:119], v[48:49]
	v_fma_f64 v[24:25], -v[124:125], v[48:49], v[24:25]
	v_fmac_f64_e32 v[10:11], v[122:123], v[48:49]
	;; [unrolled: 2-line block ×4, first 2 shown]
	s_clause 0x1
	global_load_b128 v[48:51], v[18:19], off offset:12368
	global_load_b128 v[52:55], v[18:19], off offset:12352
	s_wait_loadcnt 0x10
	v_cvt_f64_f32_e32 v[118:119], v62
	v_cvt_f64_f32_e32 v[120:121], v63
	;; [unrolled: 1-line block ×4, first 2 shown]
	s_wait_loadcnt 0xf
	v_cvt_f64_f32_e32 v[126:127], v66
	v_cvt_f64_f32_e32 v[128:129], v67
	;; [unrolled: 1-line block ×4, first 2 shown]
	v_fmac_f64_e32 v[104:105], v[102:103], v[58:59]
	v_fmac_f64_e32 v[0:1], v[106:107], v[58:59]
	;; [unrolled: 1-line block ×8, first 2 shown]
	v_fma_f64 v[104:105], -v[106:107], v[60:61], v[104:105]
	v_fmac_f64_e32 v[0:1], v[102:103], v[60:61]
	v_fma_f64 v[24:25], -v[110:111], v[60:61], v[24:25]
	v_fmac_f64_e32 v[10:11], v[108:109], v[60:61]
	v_fma_f64 v[98:99], -v[114:115], v[60:61], v[98:99]
	v_fmac_f64_e32 v[12:13], v[112:113], v[60:61]
	v_fma_f64 v[100:101], -v[56:57], v[60:61], v[100:101]
	v_fmac_f64_e32 v[14:15], v[116:117], v[60:61]
	s_clause 0x1
	global_load_b128 v[56:59], v134, s[4:5] offset:48 scale_offset
	global_load_b128 v[60:63], v134, s[4:5] offset:32 scale_offset
	s_wait_loadcnt 0xf
	v_cvt_f64_f32_e32 v[102:103], v74
	v_cvt_f64_f32_e32 v[74:75], v75
	v_cvt_f64_f32_e32 v[106:107], v76
	v_cvt_f64_f32_e32 v[76:77], v77
	s_wait_loadcnt 0xe
	v_cvt_f64_f32_e32 v[108:109], v78
	v_cvt_f64_f32_e32 v[78:79], v79
	;; [unrolled: 1-line block ×4, first 2 shown]
	v_fmac_f64_e32 v[104:105], v[118:119], v[70:71]
	v_fmac_f64_e32 v[0:1], v[120:121], v[70:71]
	;; [unrolled: 1-line block ×8, first 2 shown]
	s_clause 0x1
	global_load_b128 v[64:67], v[18:19], off offset:12384
	global_load_b128 v[68:71], v[18:19], off offset:12400
	s_wait_xcnt 0x0
	v_add_nc_u64_e32 v[18:19], 0x4000, v[18:19]
	v_fma_f64 v[104:105], -v[120:121], v[72:73], v[104:105]
	v_fmac_f64_e32 v[0:1], v[118:119], v[72:73]
	v_fma_f64 v[24:25], -v[124:125], v[72:73], v[24:25]
	v_fmac_f64_e32 v[10:11], v[122:123], v[72:73]
	;; [unrolled: 2-line block ×4, first 2 shown]
	s_wait_loadcnt 0xf
	v_fmac_f64_e32 v[104:105], v[102:103], v[82:83]
	v_fmac_f64_e32 v[0:1], v[74:75], v[82:83]
	;; [unrolled: 1-line block ×8, first 2 shown]
	s_wait_loadcnt 0xe
	v_cvt_f64_f32_e32 v[72:73], v28
	v_cvt_f64_f32_e32 v[28:29], v29
	;; [unrolled: 1-line block ×4, first 2 shown]
	s_wait_loadcnt 0xd
	v_cvt_f64_f32_e32 v[112:113], v86
	v_cvt_f64_f32_e32 v[86:87], v87
	v_cvt_f64_f32_e32 v[114:115], v88
	v_cvt_f64_f32_e32 v[88:89], v89
	v_fma_f64 v[74:75], -v[74:75], v[84:85], v[104:105]
	v_fmac_f64_e32 v[0:1], v[102:103], v[84:85]
	v_fma_f64 v[24:25], -v[76:77], v[84:85], v[24:25]
	v_fmac_f64_e32 v[10:11], v[106:107], v[84:85]
	;; [unrolled: 2-line block ×4, first 2 shown]
	s_wait_loadcnt 0xb
	v_cvt_f64_f32_e32 v[80:81], v91
	v_cvt_f64_f32_e32 v[84:85], v92
	s_wait_loadcnt 0xa
	v_cvt_f64_f32_e32 v[98:99], v96
	v_cvt_f64_f32_e32 v[96:97], v97
	v_fmac_f64_e32 v[74:75], v[72:73], v[32:33]
	v_fmac_f64_e32 v[0:1], v[28:29], v[32:33]
	;; [unrolled: 1-line block ×8, first 2 shown]
	v_cvt_f64_f32_e32 v[32:33], v90
	v_cvt_f64_f32_e32 v[90:91], v93
	;; [unrolled: 1-line block ×4, first 2 shown]
	v_fma_f64 v[28:29], -v[28:29], v[34:35], v[74:75]
	v_fmac_f64_e32 v[0:1], v[72:73], v[34:35]
	v_fma_f64 v[24:25], -v[30:31], v[34:35], v[24:25]
	v_fmac_f64_e32 v[10:11], v[82:83], v[34:35]
	;; [unrolled: 2-line block ×4, first 2 shown]
	s_wait_loadcnt 0x8
	v_fmac_f64_e32 v[28:29], v[32:33], v[36:37]
	v_fmac_f64_e32 v[0:1], v[80:81], v[36:37]
	;; [unrolled: 1-line block ×8, first 2 shown]
	s_wait_loadcnt 0x6
	v_cvt_f64_f32_e32 v[34:35], v44
	v_cvt_f64_f32_e32 v[36:37], v45
	;; [unrolled: 1-line block ×8, first 2 shown]
	v_fma_f64 v[28:29], -v[80:81], v[38:39], v[28:29]
	v_fmac_f64_e32 v[0:1], v[32:33], v[38:39]
	v_fma_f64 v[24:25], -v[90:91], v[38:39], v[24:25]
	v_fmac_f64_e32 v[10:11], v[84:85], v[38:39]
	;; [unrolled: 2-line block ×4, first 2 shown]
	s_wait_loadcnt 0x4
	v_cvt_f64_f32_e32 v[38:39], v53
	v_cvt_f64_f32_e32 v[72:73], v48
	;; [unrolled: 1-line block ×5, first 2 shown]
	v_fmac_f64_e32 v[28:29], v[34:35], v[20:21]
	v_fmac_f64_e32 v[0:1], v[36:37], v[20:21]
	;; [unrolled: 1-line block ×8, first 2 shown]
	v_cvt_f64_f32_e32 v[20:21], v52
	v_cvt_f64_f32_e32 v[52:53], v54
	;; [unrolled: 1-line block ×3, first 2 shown]
	v_fma_f64 v[28:29], -v[36:37], v[22:23], v[28:29]
	v_fmac_f64_e32 v[0:1], v[34:35], v[22:23]
	v_fma_f64 v[24:25], -v[46:47], v[22:23], v[24:25]
	v_fmac_f64_e32 v[10:11], v[44:45], v[22:23]
	;; [unrolled: 2-line block ×4, first 2 shown]
	s_wait_loadcnt 0x2
	v_fmac_f64_e32 v[28:29], v[20:21], v[60:61]
	v_fmac_f64_e32 v[0:1], v[38:39], v[60:61]
	;; [unrolled: 1-line block ×8, first 2 shown]
	s_wait_loadcnt 0x1
	v_cvt_f64_f32_e32 v[34:35], v64
	v_cvt_f64_f32_e32 v[22:23], v65
	;; [unrolled: 1-line block ×4, first 2 shown]
	s_wait_loadcnt 0x0
	v_cvt_f64_f32_e32 v[42:43], v68
	v_cvt_f64_f32_e32 v[44:45], v69
	;; [unrolled: 1-line block ×4, first 2 shown]
	v_fma_f64 v[28:29], -v[38:39], v[62:63], v[28:29]
	v_fmac_f64_e32 v[0:1], v[20:21], v[62:63]
	v_fma_f64 v[20:21], -v[54:55], v[62:63], v[24:25]
	v_fmac_f64_e32 v[10:11], v[52:53], v[62:63]
	;; [unrolled: 2-line block ×4, first 2 shown]
	v_fmac_f64_e32 v[28:29], v[34:35], v[56:57]
	v_fmac_f64_e32 v[0:1], v[22:23], v[56:57]
	;; [unrolled: 1-line block ×8, first 2 shown]
	v_fma_f64 v[22:23], -v[22:23], v[58:59], v[28:29]
	v_fmac_f64_e32 v[0:1], v[34:35], v[58:59]
	v_fma_f64 v[24:25], -v[40:41], v[58:59], v[20:21]
	v_fmac_f64_e32 v[10:11], v[36:37], v[58:59]
	v_fma_f64 v[28:29], -v[44:45], v[58:59], v[30:31]
	v_fmac_f64_e32 v[12:13], v[42:43], v[58:59]
	v_fma_f64 v[20:21], -v[60:61], v[58:59], v[32:33]
	v_fmac_f64_e32 v[14:15], v[46:47], v[58:59]
	s_and_not1_b32 exec_lo, exec_lo, s6
	s_cbranch_execnz .LBB168_31
; %bb.32:
	s_or_b32 exec_lo, exec_lo, s6
.LBB168_33:
	s_delay_alu instid0(SALU_CYCLE_1)
	s_or_b32 exec_lo, exec_lo, s2
.LBB168_34:
	s_delay_alu instid0(SALU_CYCLE_1)
	s_or_b32 exec_lo, exec_lo, s3
.LBB168_35:
	v_mbcnt_lo_u32_b32 v46, -1, 0
	s_delay_alu instid0(VALU_DEP_1) | instskip(NEXT) | instid1(VALU_DEP_1)
	v_xor_b32_e32 v16, 16, v46
	v_cmp_gt_i32_e32 vcc_lo, 32, v16
	v_cndmask_b32_e32 v16, v46, v16, vcc_lo
	s_delay_alu instid0(VALU_DEP_1)
	v_lshlrev_b32_e32 v41, 2, v16
	ds_bpermute_b32 v18, v41, v0
	ds_bpermute_b32 v19, v41, v1
	;; [unrolled: 1-line block ×4, first 2 shown]
	s_wait_dscnt 0x2
	v_add_f64_e32 v[0:1], v[0:1], v[18:19]
	s_wait_dscnt 0x0
	v_add_f64_e32 v[18:19], v[24:25], v[30:31]
	ds_bpermute_b32 v16, v41, v22
	ds_bpermute_b32 v17, v41, v23
	;; [unrolled: 1-line block ×12, first 2 shown]
	v_xor_b32_e32 v24, 8, v46
	s_delay_alu instid0(VALU_DEP_1)
	v_cmp_gt_i32_e32 vcc_lo, 32, v24
	s_wait_dscnt 0xa
	v_add_f64_e32 v[16:17], v[22:23], v[16:17]
	v_cndmask_b32_e32 v24, v46, v24, vcc_lo
	s_wait_dscnt 0x8
	v_add_f64_e32 v[10:11], v[10:11], v[32:33]
	s_wait_dscnt 0x6
	v_add_f64_e32 v[22:23], v[28:29], v[34:35]
	;; [unrolled: 2-line block ×5, first 2 shown]
	v_lshlrev_b32_e32 v41, 2, v24
	ds_bpermute_b32 v28, v41, v0
	ds_bpermute_b32 v29, v41, v1
	;; [unrolled: 1-line block ×12, first 2 shown]
	s_wait_dscnt 0xa
	v_add_f64_e32 v[0:1], v[0:1], v[28:29]
	ds_bpermute_b32 v40, v41, v14
	s_wait_dscnt 0x7
	v_dual_add_f64 v[16:17], v[16:17], v[24:25] :: v_dual_bitop2_b32 v24, 4, v46 bitop3:0x14
	ds_bpermute_b32 v36, v41, v12
	ds_bpermute_b32 v37, v41, v13
	;; [unrolled: 1-line block ×3, first 2 shown]
	s_wait_dscnt 0x8
	v_add_f64_e32 v[10:11], v[10:11], v[32:33]
	v_cmp_gt_i32_e32 vcc_lo, 32, v24
	s_wait_dscnt 0x4
	v_add_f64_e32 v[20:21], v[20:21], v[38:39]
	v_add_f64_e32 v[22:23], v[22:23], v[34:35]
	v_cndmask_b32_e32 v24, v46, v24, vcc_lo
	v_add_f64_e32 v[18:19], v[18:19], v[30:31]
	s_wait_dscnt 0x1
	v_add_f64_e32 v[12:13], v[12:13], v[36:37]
	s_wait_dscnt 0x0
	v_add_f64_e32 v[14:15], v[14:15], v[40:41]
	v_lshlrev_b32_e32 v41, 2, v24
	ds_bpermute_b32 v28, v41, v0
	ds_bpermute_b32 v29, v41, v1
	;; [unrolled: 1-line block ×12, first 2 shown]
	s_wait_dscnt 0x8
	v_add_f64_e32 v[16:17], v[16:17], v[24:25]
	v_add_f64_e32 v[24:25], v[0:1], v[28:29]
	ds_bpermute_b32 v36, v41, v12
	ds_bpermute_b32 v37, v41, v13
	;; [unrolled: 1-line block ×4, first 2 shown]
	v_xor_b32_e32 v0, 2, v46
	s_delay_alu instid0(VALU_DEP_1)
	v_cmp_gt_i32_e32 vcc_lo, 32, v0
	s_wait_dscnt 0x8
	v_dual_add_f64 v[20:21], v[20:21], v[38:39] :: v_dual_cndmask_b32 v0, v46, v0, vcc_lo
	s_wait_dscnt 0x4
	v_add_f64_e32 v[18:19], v[18:19], v[30:31]
	v_add_f64_e32 v[30:31], v[10:11], v[32:33]
	s_delay_alu instid0(VALU_DEP_3)
	v_dual_add_f64 v[32:33], v[22:23], v[34:35] :: v_dual_lshlrev_b32 v22, 2, v0
	s_wait_dscnt 0x2
	v_add_f64_e32 v[34:35], v[12:13], v[36:37]
	s_wait_dscnt 0x0
	v_add_f64_e32 v[36:37], v[14:15], v[40:41]
	ds_bpermute_b32 v0, v22, v16
	ds_bpermute_b32 v1, v22, v17
	;; [unrolled: 1-line block ×16, first 2 shown]
	s_wait_dscnt 0xe
	v_add_f64_e32 v[0:1], v[16:17], v[0:1]
	s_wait_dscnt 0x7
	v_add_f64_e32 v[22:23], v[30:31], v[14:15]
	v_add_f64_e32 v[14:15], v[20:21], v[42:43]
	s_wait_dscnt 0x0
	v_dual_add_f64 v[16:17], v[36:37], v[44:45] :: v_dual_bitop2_b32 v20, 1, v46 bitop3:0x14
	s_delay_alu instid0(VALU_DEP_1)
	v_cmp_gt_i32_e32 vcc_lo, 32, v20
	v_add_f64_e32 v[28:29], v[24:25], v[10:11]
	v_add_f64_e32 v[10:11], v[18:19], v[12:13]
	;; [unrolled: 1-line block ×4, first 2 shown]
	v_cndmask_b32_e32 v20, v46, v20, vcc_lo
	v_cmp_eq_u32_e32 vcc_lo, 31, v27
	s_delay_alu instid0(VALU_DEP_2)
	v_lshlrev_b32_e32 v35, 2, v20
	ds_bpermute_b32 v20, v35, v0
	ds_bpermute_b32 v21, v35, v1
	;; [unrolled: 1-line block ×16, first 2 shown]
	s_and_b32 exec_lo, exec_lo, vcc_lo
	s_cbranch_execz .LBB168_8
; %bb.36:
	s_wait_dscnt 0x7
	v_add_f64_e32 v[28:29], v[28:29], v[40:41]
	v_add_f64_e32 v[38:39], v[22:23], v[38:39]
	s_wait_dscnt 0x1
	v_add_f64_e32 v[36:37], v[18:19], v[36:37]
	s_wait_dscnt 0x0
	v_add_f64_e32 v[34:35], v[16:17], v[34:35]
	v_add_f64_e32 v[0:1], v[0:1], v[20:21]
	;; [unrolled: 1-line block ×5, first 2 shown]
	v_cmp_eq_f64_e32 vcc_lo, 0, v[2:3]
	v_cmp_eq_f64_e64 s2, 0, v[4:5]
	s_load_b64 s[0:1], s[0:1], 0x60
	v_mul_f64_e64 v[22:23], v[28:29], -v[8:9]
	v_mul_f64_e32 v[24:25], v[6:7], v[28:29]
	v_mul_f64_e64 v[18:19], v[38:39], -v[8:9]
	v_mul_f64_e32 v[20:21], v[6:7], v[38:39]
	;; [unrolled: 2-line block ×4, first 2 shown]
	s_and_b32 s2, vcc_lo, s2
	v_fmac_f64_e32 v[22:23], v[6:7], v[0:1]
	v_fmac_f64_e32 v[24:25], v[8:9], v[0:1]
	;; [unrolled: 1-line block ×8, first 2 shown]
	v_lshlrev_b32_e32 v0, 2, v26
	s_and_saveexec_b32 s3, s2
	s_delay_alu instid0(SALU_CYCLE_1)
	s_xor_b32 s2, exec_lo, s3
	s_cbranch_execz .LBB168_38
; %bb.37:
	s_wait_kmcnt 0x0
	s_clause 0x3
	global_store_b128 v0, v[22:25], s[0:1] scale_offset
	global_store_b128 v0, v[18:21], s[0:1] offset:16 scale_offset
	global_store_b128 v0, v[14:17], s[0:1] offset:32 scale_offset
	;; [unrolled: 1-line block ×3, first 2 shown]
                                        ; implicit-def: $vgpr4_vgpr5
                                        ; implicit-def: $vgpr22_vgpr23
                                        ; implicit-def: $vgpr0
                                        ; implicit-def: $vgpr18_vgpr19
                                        ; implicit-def: $vgpr14_vgpr15
                                        ; implicit-def: $vgpr10_vgpr11
.LBB168_38:
	s_wait_xcnt 0x0
	s_and_not1_saveexec_b32 s2, s2
	s_cbranch_execz .LBB168_8
; %bb.39:
	s_wait_kmcnt 0x0
	s_clause 0x3
	global_load_b128 v[6:9], v0, s[0:1] scale_offset
	global_load_b128 v[26:29], v0, s[0:1] offset:16 scale_offset
	global_load_b128 v[30:33], v0, s[0:1] offset:32 scale_offset
	;; [unrolled: 1-line block ×3, first 2 shown]
	s_wait_loadcnt 0x3
	v_fmac_f64_e32 v[22:23], v[2:3], v[6:7]
	v_fmac_f64_e32 v[24:25], v[4:5], v[6:7]
	s_wait_loadcnt 0x2
	v_fmac_f64_e32 v[18:19], v[2:3], v[26:27]
	v_fmac_f64_e32 v[20:21], v[4:5], v[26:27]
	;; [unrolled: 3-line block ×4, first 2 shown]
	v_fma_f64 v[22:23], -v[4:5], v[8:9], v[22:23]
	v_fmac_f64_e32 v[24:25], v[2:3], v[8:9]
	v_fma_f64 v[18:19], -v[4:5], v[28:29], v[18:19]
	v_fmac_f64_e32 v[20:21], v[2:3], v[28:29]
	;; [unrolled: 2-line block ×4, first 2 shown]
	s_clause 0x3
	global_store_b128 v0, v[22:25], s[0:1] scale_offset
	global_store_b128 v0, v[18:21], s[0:1] offset:16 scale_offset
	global_store_b128 v0, v[14:17], s[0:1] offset:32 scale_offset
	;; [unrolled: 1-line block ×3, first 2 shown]
	s_sendmsg sendmsg(MSG_DEALLOC_VGPRS)
	s_endpgm
	.section	.rodata,"a",@progbits
	.p2align	6, 0x0
	.amdhsa_kernel _ZN9rocsparseL18bsrxmvn_4x4_kernelILj128ELj32E21rocsparse_complex_numIdEiiS1_IfES2_S2_EEvT3_20rocsparse_direction_NS_24const_host_device_scalarIT1_EES4_PKS4_PKT2_SD_SA_PKT4_PKT5_S8_PT6_21rocsparse_index_base_b
		.amdhsa_group_segment_fixed_size 0
		.amdhsa_private_segment_fixed_size 0
		.amdhsa_kernarg_size 112
		.amdhsa_user_sgpr_count 2
		.amdhsa_user_sgpr_dispatch_ptr 0
		.amdhsa_user_sgpr_queue_ptr 0
		.amdhsa_user_sgpr_kernarg_segment_ptr 1
		.amdhsa_user_sgpr_dispatch_id 0
		.amdhsa_user_sgpr_kernarg_preload_length 0
		.amdhsa_user_sgpr_kernarg_preload_offset 0
		.amdhsa_user_sgpr_private_segment_size 0
		.amdhsa_wavefront_size32 1
		.amdhsa_uses_dynamic_stack 0
		.amdhsa_enable_private_segment 0
		.amdhsa_system_sgpr_workgroup_id_x 1
		.amdhsa_system_sgpr_workgroup_id_y 0
		.amdhsa_system_sgpr_workgroup_id_z 0
		.amdhsa_system_sgpr_workgroup_info 0
		.amdhsa_system_vgpr_workitem_id 0
		.amdhsa_next_free_vgpr 140
		.amdhsa_next_free_sgpr 14
		.amdhsa_named_barrier_count 0
		.amdhsa_reserve_vcc 1
		.amdhsa_float_round_mode_32 0
		.amdhsa_float_round_mode_16_64 0
		.amdhsa_float_denorm_mode_32 3
		.amdhsa_float_denorm_mode_16_64 3
		.amdhsa_fp16_overflow 0
		.amdhsa_memory_ordered 1
		.amdhsa_forward_progress 1
		.amdhsa_inst_pref_size 74
		.amdhsa_round_robin_scheduling 0
		.amdhsa_exception_fp_ieee_invalid_op 0
		.amdhsa_exception_fp_denorm_src 0
		.amdhsa_exception_fp_ieee_div_zero 0
		.amdhsa_exception_fp_ieee_overflow 0
		.amdhsa_exception_fp_ieee_underflow 0
		.amdhsa_exception_fp_ieee_inexact 0
		.amdhsa_exception_int_div_zero 0
	.end_amdhsa_kernel
	.section	.text._ZN9rocsparseL18bsrxmvn_4x4_kernelILj128ELj32E21rocsparse_complex_numIdEiiS1_IfES2_S2_EEvT3_20rocsparse_direction_NS_24const_host_device_scalarIT1_EES4_PKS4_PKT2_SD_SA_PKT4_PKT5_S8_PT6_21rocsparse_index_base_b,"axG",@progbits,_ZN9rocsparseL18bsrxmvn_4x4_kernelILj128ELj32E21rocsparse_complex_numIdEiiS1_IfES2_S2_EEvT3_20rocsparse_direction_NS_24const_host_device_scalarIT1_EES4_PKS4_PKT2_SD_SA_PKT4_PKT5_S8_PT6_21rocsparse_index_base_b,comdat
.Lfunc_end168:
	.size	_ZN9rocsparseL18bsrxmvn_4x4_kernelILj128ELj32E21rocsparse_complex_numIdEiiS1_IfES2_S2_EEvT3_20rocsparse_direction_NS_24const_host_device_scalarIT1_EES4_PKS4_PKT2_SD_SA_PKT4_PKT5_S8_PT6_21rocsparse_index_base_b, .Lfunc_end168-_ZN9rocsparseL18bsrxmvn_4x4_kernelILj128ELj32E21rocsparse_complex_numIdEiiS1_IfES2_S2_EEvT3_20rocsparse_direction_NS_24const_host_device_scalarIT1_EES4_PKS4_PKT2_SD_SA_PKT4_PKT5_S8_PT6_21rocsparse_index_base_b
                                        ; -- End function
	.set _ZN9rocsparseL18bsrxmvn_4x4_kernelILj128ELj32E21rocsparse_complex_numIdEiiS1_IfES2_S2_EEvT3_20rocsparse_direction_NS_24const_host_device_scalarIT1_EES4_PKS4_PKT2_SD_SA_PKT4_PKT5_S8_PT6_21rocsparse_index_base_b.num_vgpr, 140
	.set _ZN9rocsparseL18bsrxmvn_4x4_kernelILj128ELj32E21rocsparse_complex_numIdEiiS1_IfES2_S2_EEvT3_20rocsparse_direction_NS_24const_host_device_scalarIT1_EES4_PKS4_PKT2_SD_SA_PKT4_PKT5_S8_PT6_21rocsparse_index_base_b.num_agpr, 0
	.set _ZN9rocsparseL18bsrxmvn_4x4_kernelILj128ELj32E21rocsparse_complex_numIdEiiS1_IfES2_S2_EEvT3_20rocsparse_direction_NS_24const_host_device_scalarIT1_EES4_PKS4_PKT2_SD_SA_PKT4_PKT5_S8_PT6_21rocsparse_index_base_b.numbered_sgpr, 14
	.set _ZN9rocsparseL18bsrxmvn_4x4_kernelILj128ELj32E21rocsparse_complex_numIdEiiS1_IfES2_S2_EEvT3_20rocsparse_direction_NS_24const_host_device_scalarIT1_EES4_PKS4_PKT2_SD_SA_PKT4_PKT5_S8_PT6_21rocsparse_index_base_b.num_named_barrier, 0
	.set _ZN9rocsparseL18bsrxmvn_4x4_kernelILj128ELj32E21rocsparse_complex_numIdEiiS1_IfES2_S2_EEvT3_20rocsparse_direction_NS_24const_host_device_scalarIT1_EES4_PKS4_PKT2_SD_SA_PKT4_PKT5_S8_PT6_21rocsparse_index_base_b.private_seg_size, 0
	.set _ZN9rocsparseL18bsrxmvn_4x4_kernelILj128ELj32E21rocsparse_complex_numIdEiiS1_IfES2_S2_EEvT3_20rocsparse_direction_NS_24const_host_device_scalarIT1_EES4_PKS4_PKT2_SD_SA_PKT4_PKT5_S8_PT6_21rocsparse_index_base_b.uses_vcc, 1
	.set _ZN9rocsparseL18bsrxmvn_4x4_kernelILj128ELj32E21rocsparse_complex_numIdEiiS1_IfES2_S2_EEvT3_20rocsparse_direction_NS_24const_host_device_scalarIT1_EES4_PKS4_PKT2_SD_SA_PKT4_PKT5_S8_PT6_21rocsparse_index_base_b.uses_flat_scratch, 0
	.set _ZN9rocsparseL18bsrxmvn_4x4_kernelILj128ELj32E21rocsparse_complex_numIdEiiS1_IfES2_S2_EEvT3_20rocsparse_direction_NS_24const_host_device_scalarIT1_EES4_PKS4_PKT2_SD_SA_PKT4_PKT5_S8_PT6_21rocsparse_index_base_b.has_dyn_sized_stack, 0
	.set _ZN9rocsparseL18bsrxmvn_4x4_kernelILj128ELj32E21rocsparse_complex_numIdEiiS1_IfES2_S2_EEvT3_20rocsparse_direction_NS_24const_host_device_scalarIT1_EES4_PKS4_PKT2_SD_SA_PKT4_PKT5_S8_PT6_21rocsparse_index_base_b.has_recursion, 0
	.set _ZN9rocsparseL18bsrxmvn_4x4_kernelILj128ELj32E21rocsparse_complex_numIdEiiS1_IfES2_S2_EEvT3_20rocsparse_direction_NS_24const_host_device_scalarIT1_EES4_PKS4_PKT2_SD_SA_PKT4_PKT5_S8_PT6_21rocsparse_index_base_b.has_indirect_call, 0
	.section	.AMDGPU.csdata,"",@progbits
; Kernel info:
; codeLenInByte = 9384
; TotalNumSgprs: 16
; NumVgprs: 140
; ScratchSize: 0
; MemoryBound: 0
; FloatMode: 240
; IeeeMode: 1
; LDSByteSize: 0 bytes/workgroup (compile time only)
; SGPRBlocks: 0
; VGPRBlocks: 8
; NumSGPRsForWavesPerEU: 16
; NumVGPRsForWavesPerEU: 140
; NamedBarCnt: 0
; Occupancy: 7
; WaveLimiterHint : 1
; COMPUTE_PGM_RSRC2:SCRATCH_EN: 0
; COMPUTE_PGM_RSRC2:USER_SGPR: 2
; COMPUTE_PGM_RSRC2:TRAP_HANDLER: 0
; COMPUTE_PGM_RSRC2:TGID_X_EN: 1
; COMPUTE_PGM_RSRC2:TGID_Y_EN: 0
; COMPUTE_PGM_RSRC2:TGID_Z_EN: 0
; COMPUTE_PGM_RSRC2:TIDIG_COMP_CNT: 0
	.section	.text._ZN9rocsparseL18bsrxmvn_4x4_kernelILj128ELj64E21rocsparse_complex_numIdEiiS1_IfES2_S2_EEvT3_20rocsparse_direction_NS_24const_host_device_scalarIT1_EES4_PKS4_PKT2_SD_SA_PKT4_PKT5_S8_PT6_21rocsparse_index_base_b,"axG",@progbits,_ZN9rocsparseL18bsrxmvn_4x4_kernelILj128ELj64E21rocsparse_complex_numIdEiiS1_IfES2_S2_EEvT3_20rocsparse_direction_NS_24const_host_device_scalarIT1_EES4_PKS4_PKT2_SD_SA_PKT4_PKT5_S8_PT6_21rocsparse_index_base_b,comdat
	.globl	_ZN9rocsparseL18bsrxmvn_4x4_kernelILj128ELj64E21rocsparse_complex_numIdEiiS1_IfES2_S2_EEvT3_20rocsparse_direction_NS_24const_host_device_scalarIT1_EES4_PKS4_PKT2_SD_SA_PKT4_PKT5_S8_PT6_21rocsparse_index_base_b ; -- Begin function _ZN9rocsparseL18bsrxmvn_4x4_kernelILj128ELj64E21rocsparse_complex_numIdEiiS1_IfES2_S2_EEvT3_20rocsparse_direction_NS_24const_host_device_scalarIT1_EES4_PKS4_PKT2_SD_SA_PKT4_PKT5_S8_PT6_21rocsparse_index_base_b
	.p2align	8
	.type	_ZN9rocsparseL18bsrxmvn_4x4_kernelILj128ELj64E21rocsparse_complex_numIdEiiS1_IfES2_S2_EEvT3_20rocsparse_direction_NS_24const_host_device_scalarIT1_EES4_PKS4_PKT2_SD_SA_PKT4_PKT5_S8_PT6_21rocsparse_index_base_b,@function
_ZN9rocsparseL18bsrxmvn_4x4_kernelILj128ELj64E21rocsparse_complex_numIdEiiS1_IfES2_S2_EEvT3_20rocsparse_direction_NS_24const_host_device_scalarIT1_EES4_PKS4_PKT2_SD_SA_PKT4_PKT5_S8_PT6_21rocsparse_index_base_b: ; @_ZN9rocsparseL18bsrxmvn_4x4_kernelILj128ELj64E21rocsparse_complex_numIdEiiS1_IfES2_S2_EEvT3_20rocsparse_direction_NS_24const_host_device_scalarIT1_EES4_PKS4_PKT2_SD_SA_PKT4_PKT5_S8_PT6_21rocsparse_index_base_b
; %bb.0:
	s_clause 0x1
	s_load_b64 s[12:13], s[0:1], 0x68
	s_load_b64 s[2:3], s[0:1], 0x8
	v_mov_b32_e32 v1, 0
	s_add_nc_u64 s[4:5], s[0:1], 8
	s_load_b64 s[6:7], s[0:1], 0x50
	s_wait_kmcnt 0x0
	s_bitcmp1_b32 s13, 0
	s_cselect_b32 s3, s5, s3
	s_cselect_b32 s2, s4, s2
	flat_load_b128 v[6:9], v1, s[2:3]
	s_wait_xcnt 0x0
	s_add_nc_u64 s[2:3], s[0:1], 0x50
	s_delay_alu instid0(SALU_CYCLE_1)
	s_cselect_b32 s3, s3, s7
	s_cselect_b32 s2, s2, s6
	flat_load_b128 v[2:5], v1, s[2:3]
	s_wait_loadcnt_dscnt 0x101
	v_cmp_eq_f64_e32 vcc_lo, 0, v[6:7]
	s_wait_xcnt 0x0
	v_cmp_eq_f64_e64 s2, 0, v[8:9]
	s_and_b32 s4, vcc_lo, s2
	s_mov_b32 s2, -1
	s_and_saveexec_b32 s3, s4
	s_cbranch_execz .LBB169_2
; %bb.1:
	s_wait_loadcnt_dscnt 0x0
	v_cmp_neq_f64_e32 vcc_lo, 1.0, v[2:3]
	v_cmp_neq_f64_e64 s2, 0, v[4:5]
	s_or_b32 s2, vcc_lo, s2
	s_delay_alu instid0(SALU_CYCLE_1)
	s_or_not1_b32 s2, s2, exec_lo
.LBB169_2:
	s_or_b32 exec_lo, exec_lo, s3
	s_and_saveexec_b32 s3, s2
	s_cbranch_execz .LBB169_8
; %bb.3:
	s_clause 0x1
	s_load_b64 s[4:5], s[0:1], 0x20
	s_load_b64 s[2:3], s[0:1], 0x0
	s_bfe_u32 s6, ttmp6, 0x4000c
	s_and_b32 s7, ttmp6, 15
	s_add_co_i32 s6, s6, 1
	s_getreg_b32 s8, hwreg(HW_REG_IB_STS2, 6, 4)
	s_mul_i32 s6, ttmp9, s6
	v_lshrrev_b32_e32 v1, 6, v0
	s_add_co_i32 s7, s7, s6
	s_cmp_eq_u32 s8, 0
	s_cselect_b32 s6, ttmp9, s7
	s_delay_alu instid0(VALU_DEP_1) | instid1(SALU_CYCLE_1)
	v_lshl_or_b32 v26, s6, 1, v1
	s_mov_b32 s6, 0
	s_wait_kmcnt 0x0
	s_cmp_lg_u64 s[4:5], 0
	s_cbranch_scc0 .LBB169_9
; %bb.4:
	s_load_b32 s6, s[0:1], 0x18
	s_mov_b32 s7, 0
                                        ; implicit-def: $vgpr1
	s_wait_kmcnt 0x0
	v_cmp_gt_i32_e32 vcc_lo, s6, v26
	s_mov_b32 s6, 0
	s_and_saveexec_b32 s8, vcc_lo
	s_delay_alu instid0(SALU_CYCLE_1)
	s_xor_b32 s8, exec_lo, s8
	s_cbranch_execz .LBB169_6
; %bb.5:
	global_load_b32 v1, v26, s[4:5] scale_offset
	s_mov_b32 s6, exec_lo
	s_wait_loadcnt 0x0
	v_subrev_nc_u32_e32 v1, s12, v1
.LBB169_6:
	s_or_b32 exec_lo, exec_lo, s8
	s_delay_alu instid0(SALU_CYCLE_1)
	s_and_b32 vcc_lo, exec_lo, s7
	s_cbranch_vccz .LBB169_10
.LBB169_7:
	v_cmp_gt_i32_e32 vcc_lo, s2, v26
	s_and_not1_b32 s2, s6, exec_lo
	s_and_b32 s4, vcc_lo, exec_lo
	s_delay_alu instid0(SALU_CYCLE_1) | instskip(NEXT) | instid1(SALU_CYCLE_1)
	s_or_b32 s6, s2, s4
	s_and_b32 exec_lo, exec_lo, s6
	s_cbranch_execnz .LBB169_11
.LBB169_8:
	s_sendmsg sendmsg(MSG_DEALLOC_VGPRS)
	s_endpgm
.LBB169_9:
                                        ; implicit-def: $vgpr1
	s_cbranch_execnz .LBB169_7
.LBB169_10:
	s_delay_alu instid0(VALU_DEP_1)
	v_mov_b32_e32 v26, v1
	s_and_b32 exec_lo, exec_lo, s6
	s_cbranch_execz .LBB169_8
.LBB169_11:
	s_load_b256 s[4:11], s[0:1], 0x28
	s_wait_kmcnt 0x0
	global_load_b32 v32, v26, s[4:5] scale_offset
	s_cmp_eq_u64 s[6:7], 0
	s_cselect_b32 vcc_lo, -1, 0
	v_ashrrev_i32_e32 v27, 31, v26
	s_cmp_eq_u32 s3, 1
	s_delay_alu instid0(VALU_DEP_1) | instskip(SKIP_1) | instid1(VALU_DEP_2)
	v_lshlrev_b64_e32 v[10:11], 2, v[26:27]
	v_and_b32_e32 v27, 63, v0
	v_add_nc_u64_e32 v[12:13], s[4:5], v[10:11]
	v_add_nc_u64_e32 v[10:11], s[6:7], v[10:11]
	s_wait_xcnt 0x0
	s_load_b64 s[4:5], s[0:1], 0x48
	s_delay_alu instid0(VALU_DEP_2) | instskip(NEXT) | instid1(VALU_DEP_1)
	v_add_nc_u64_e32 v[12:13], 4, v[12:13]
	v_cndmask_b32_e32 v11, v11, v13, vcc_lo
	s_wait_loadcnt 0x0
	v_subrev_nc_u32_e32 v0, s12, v32
	s_delay_alu instid0(VALU_DEP_1) | instskip(SKIP_2) | instid1(VALU_DEP_1)
	v_dual_cndmask_b32 v10, v10, v12, vcc_lo :: v_dual_add_nc_u32 v16, v0, v27
	global_load_b32 v10, v[10:11], off
	v_ashrrev_i32_e32 v17, 31, v16
	v_lshlrev_b64_e32 v[0:1], 7, v[16:17]
	s_delay_alu instid0(VALU_DEP_1) | instskip(SKIP_2) | instid1(VALU_DEP_1)
	v_add_nc_u64_e32 v[18:19], s[10:11], v[0:1]
	s_wait_loadcnt 0x0
	v_subrev_nc_u32_e32 v17, s12, v10
	v_cmp_lt_i32_e64 s2, v16, v17
	s_cbranch_scc1 .LBB169_23
; %bb.12:
	v_mov_b64_e32 v[0:1], 0
	v_mov_b64_e32 v[22:23], 0
	;; [unrolled: 1-line block ×8, first 2 shown]
	s_and_saveexec_b32 s3, s2
	s_cbranch_execz .LBB169_22
; %bb.13:
	v_add_nc_u32_e32 v0, v32, v27
	v_not_b32_e32 v1, v32
	v_mov_b64_e32 v[20:21], 0
	v_mov_b64_e32 v[14:15], 0
	;; [unrolled: 1-line block ×3, first 2 shown]
	v_subrev_nc_u32_e32 v0, s12, v0
	v_mov_b64_e32 v[12:13], 0
	v_mov_b64_e32 v[24:25], 0
	;; [unrolled: 1-line block ×4, first 2 shown]
	v_add_max_i32_e64 v0, v0, 64, v17
	v_mov_b64_e32 v[30:31], v[18:19]
	s_delay_alu instid0(VALU_DEP_2) | instskip(NEXT) | instid1(VALU_DEP_1)
	v_add3_u32 v0, s12, v0, v1
	v_sub_nc_u32_e32 v34, v0, v27
	v_mov_b64_e32 v[0:1], 0
	s_delay_alu instid0(VALU_DEP_2) | instskip(NEXT) | instid1(VALU_DEP_1)
	v_and_b32_e32 v33, 0xc0, v34
	v_cmp_ne_u32_e32 vcc_lo, 0xc0, v33
	v_mov_b32_e32 v33, v16
	s_and_saveexec_b32 s6, vcc_lo
	s_cbranch_execz .LBB169_17
; %bb.14:
	v_dual_mov_b32 v33, v16 :: v_dual_lshrrev_b32 v10, 6, v34
	v_mov_b64_e32 v[0:1], 0
	v_mov_b64_e32 v[22:23], 0
	;; [unrolled: 1-line block ×3, first 2 shown]
	s_delay_alu instid0(VALU_DEP_4)
	v_add_nc_u32_e32 v12, 1, v10
	v_mov_b64_e32 v[10:11], 0
	v_mov_b64_e32 v[28:29], 0
	;; [unrolled: 1-line block ×4, first 2 shown]
	v_and_b32_e32 v30, 3, v12
	v_mov_b64_e32 v[12:13], 0
	s_mov_b32 s7, 0
	s_delay_alu instid0(VALU_DEP_2)
	v_sub_nc_u32_e32 v35, 0, v30
	v_mov_b64_e32 v[30:31], v[18:19]
.LBB169_15:                             ; =>This Inner Loop Header: Depth=1
	global_load_b32 v52, v33, s[8:9] scale_offset
	s_clause 0x3
	global_load_b128 v[36:39], v[30:31], off
	global_load_b128 v[40:43], v[30:31], off offset:32
	global_load_b128 v[44:47], v[30:31], off offset:64
	;; [unrolled: 1-line block ×3, first 2 shown]
	v_add_co_u32 v35, s10, v35, 1
	s_or_b32 s7, s10, s7
	s_wait_xcnt 0x4
	v_add_nc_u32_e32 v33, 64, v33
	s_wait_loadcnt 0x4
	v_subrev_nc_u32_e32 v52, s12, v52
	s_wait_loadcnt 0x2
	v_cvt_f64_f32_e32 v[86:87], v40
	v_cvt_f64_f32_e32 v[40:41], v41
	s_wait_loadcnt 0x1
	v_cvt_f64_f32_e32 v[88:89], v44
	v_lshlrev_b32_e32 v84, 2, v52
	s_wait_kmcnt 0x0
	s_clause 0x1
	global_load_b128 v[52:55], v84, s[4:5] scale_offset
	global_load_b128 v[56:59], v84, s[4:5] offset:16 scale_offset
	s_clause 0x3
	global_load_b128 v[60:63], v[30:31], off offset:16
	global_load_b128 v[64:67], v[30:31], off offset:48
	;; [unrolled: 1-line block ×4, first 2 shown]
	s_clause 0x1
	global_load_b128 v[76:79], v84, s[4:5] offset:32 scale_offset
	global_load_b128 v[80:83], v84, s[4:5] offset:48 scale_offset
	s_wait_xcnt 0x0
	v_cvt_f64_f32_e32 v[84:85], v36
	v_cvt_f64_f32_e32 v[36:37], v37
	;; [unrolled: 1-line block ×3, first 2 shown]
	s_wait_loadcnt 0x8
	v_cvt_f64_f32_e32 v[90:91], v48
	v_cvt_f64_f32_e32 v[48:49], v49
	v_cvt_f64_f32_e32 v[92:93], v42
	v_cvt_f64_f32_e32 v[42:43], v43
	v_cvt_f64_f32_e32 v[94:95], v46
	v_cvt_f64_f32_e32 v[46:47], v47
	v_cvt_f64_f32_e32 v[96:97], v50
	v_cvt_f64_f32_e32 v[50:51], v51
	v_add_nc_u64_e32 v[30:31], 0x2000, v[30:31]
	s_wait_loadcnt 0x7
	v_fmac_f64_e32 v[22:23], v[84:85], v[52:53]
	v_fmac_f64_e32 v[0:1], v[36:37], v[52:53]
	;; [unrolled: 1-line block ×8, first 2 shown]
	v_cvt_f64_f32_e32 v[52:53], v38
	v_cvt_f64_f32_e32 v[38:39], v39
	v_fma_f64 v[22:23], -v[36:37], v[54:55], v[22:23]
	v_fmac_f64_e32 v[0:1], v[84:85], v[54:55]
	v_fma_f64 v[24:25], -v[40:41], v[54:55], v[24:25]
	v_fmac_f64_e32 v[10:11], v[86:87], v[54:55]
	v_fma_f64 v[28:29], -v[44:45], v[54:55], v[28:29]
	v_fmac_f64_e32 v[12:13], v[88:89], v[54:55]
	v_fma_f64 v[20:21], -v[48:49], v[54:55], v[20:21]
	v_fmac_f64_e32 v[14:15], v[90:91], v[54:55]
	s_wait_loadcnt 0x5
	v_cvt_f64_f32_e32 v[36:37], v60
	v_cvt_f64_f32_e32 v[40:41], v61
	s_wait_loadcnt 0x4
	v_cvt_f64_f32_e32 v[44:45], v64
	v_cvt_f64_f32_e32 v[48:49], v65
	s_wait_loadcnt 0x3
	v_cvt_f64_f32_e32 v[54:55], v68
	s_wait_loadcnt 0x2
	v_cvt_f64_f32_e32 v[60:61], v72
	v_cvt_f64_f32_e32 v[64:65], v73
	v_fmac_f64_e32 v[22:23], v[52:53], v[56:57]
	v_fmac_f64_e32 v[0:1], v[38:39], v[56:57]
	;; [unrolled: 1-line block ×8, first 2 shown]
	v_cvt_f64_f32_e32 v[56:57], v69
	v_fma_f64 v[22:23], -v[38:39], v[58:59], v[22:23]
	v_fmac_f64_e32 v[0:1], v[52:53], v[58:59]
	v_fma_f64 v[24:25], -v[42:43], v[58:59], v[24:25]
	v_fmac_f64_e32 v[10:11], v[92:93], v[58:59]
	;; [unrolled: 2-line block ×4, first 2 shown]
	v_cvt_f64_f32_e32 v[38:39], v62
	v_cvt_f64_f32_e32 v[42:43], v63
	v_cvt_f64_f32_e32 v[46:47], v66
	v_cvt_f64_f32_e32 v[50:51], v67
	v_cvt_f64_f32_e32 v[52:53], v70
	v_cvt_f64_f32_e32 v[58:59], v71
	v_cvt_f64_f32_e32 v[62:63], v74
	v_cvt_f64_f32_e32 v[66:67], v75
	s_wait_loadcnt 0x1
	v_fmac_f64_e32 v[22:23], v[36:37], v[76:77]
	v_fmac_f64_e32 v[0:1], v[40:41], v[76:77]
	;; [unrolled: 1-line block ×8, first 2 shown]
	v_fma_f64 v[22:23], -v[40:41], v[78:79], v[22:23]
	v_fmac_f64_e32 v[0:1], v[36:37], v[78:79]
	v_fma_f64 v[24:25], -v[48:49], v[78:79], v[24:25]
	v_fmac_f64_e32 v[10:11], v[44:45], v[78:79]
	;; [unrolled: 2-line block ×4, first 2 shown]
	s_wait_loadcnt 0x0
	v_fmac_f64_e32 v[22:23], v[38:39], v[80:81]
	v_fmac_f64_e32 v[0:1], v[42:43], v[80:81]
	;; [unrolled: 1-line block ×8, first 2 shown]
	v_fma_f64 v[22:23], -v[42:43], v[82:83], v[22:23]
	v_fmac_f64_e32 v[0:1], v[38:39], v[82:83]
	v_fma_f64 v[24:25], -v[50:51], v[82:83], v[24:25]
	v_fmac_f64_e32 v[10:11], v[46:47], v[82:83]
	;; [unrolled: 2-line block ×4, first 2 shown]
	s_and_not1_b32 exec_lo, exec_lo, s7
	s_cbranch_execnz .LBB169_15
; %bb.16:
	s_or_b32 exec_lo, exec_lo, s7
.LBB169_17:
	s_delay_alu instid0(SALU_CYCLE_1) | instskip(NEXT) | instid1(SALU_CYCLE_1)
	s_or_b32 exec_lo, exec_lo, s6
	s_mov_b32 s6, exec_lo
	v_cmpx_lt_u32_e32 0xbf, v34
	s_cbranch_execz .LBB169_21
; %bb.18:
	s_mov_b32 s7, 0
.LBB169_19:                             ; =>This Inner Loop Header: Depth=1
	s_clause 0x1
	global_load_b32 v50, v33, s[8:9] scale_offset
	global_load_b32 v98, v33, s[8:9] offset:256 scale_offset
	s_clause 0x3
	global_load_b128 v[34:37], v[30:31], off
	global_load_b128 v[38:41], v[30:31], off offset:32
	global_load_b128 v[42:45], v[30:31], off offset:64
	;; [unrolled: 1-line block ×3, first 2 shown]
	s_clause 0x1
	global_load_b32 v138, v33, s[8:9] offset:512 scale_offset
	global_load_b32 v139, v33, s[8:9] offset:768 scale_offset
	s_wait_xcnt 0x0
	v_add_nc_u32_e32 v33, 0x100, v33
	s_delay_alu instid0(VALU_DEP_1)
	v_cmp_ge_i32_e32 vcc_lo, v33, v17
	s_or_b32 s7, vcc_lo, s7
	s_wait_loadcnt 0x7
	v_subrev_nc_u32_e32 v50, s12, v50
	s_wait_loadcnt 0x6
	v_subrev_nc_u32_e32 v98, s12, v98
	s_wait_loadcnt 0x5
	v_cvt_f64_f32_e32 v[122:123], v34
	v_cvt_f64_f32_e32 v[34:35], v35
	s_wait_loadcnt 0x4
	v_cvt_f64_f32_e32 v[124:125], v38
	v_lshlrev_b32_e32 v99, 2, v50
	v_cvt_f64_f32_e32 v[38:39], v39
	s_wait_loadcnt 0x3
	v_cvt_f64_f32_e32 v[126:127], v42
	v_cvt_f64_f32_e32 v[42:43], v43
	s_wait_loadcnt 0x2
	v_cvt_f64_f32_e32 v[128:129], v46
	s_wait_kmcnt 0x0
	s_clause 0x1
	global_load_b128 v[50:53], v99, s[4:5] scale_offset
	global_load_b128 v[54:57], v99, s[4:5] offset:16 scale_offset
	s_clause 0x3
	global_load_b128 v[58:61], v[30:31], off offset:16
	global_load_b128 v[62:65], v[30:31], off offset:48
	;; [unrolled: 1-line block ×4, first 2 shown]
	s_clause 0x1
	global_load_b128 v[74:77], v99, s[4:5] offset:32 scale_offset
	global_load_b128 v[78:81], v99, s[4:5] offset:48 scale_offset
	s_clause 0x3
	global_load_b128 v[82:85], v[30:31], off offset:8192
	global_load_b128 v[86:89], v[30:31], off offset:8224
	;; [unrolled: 1-line block ×4, first 2 shown]
	v_cvt_f64_f32_e32 v[46:47], v47
	v_cvt_f64_f32_e32 v[130:131], v40
	;; [unrolled: 1-line block ×7, first 2 shown]
	s_wait_loadcnt 0xb
	v_fmac_f64_e32 v[24:25], v[124:125], v[50:51]
	v_lshlrev_b32_e32 v136, 2, v98
	v_fmac_f64_e32 v[22:23], v[122:123], v[50:51]
	v_fmac_f64_e32 v[0:1], v[34:35], v[50:51]
	;; [unrolled: 1-line block ×7, first 2 shown]
	v_cvt_f64_f32_e32 v[50:51], v36
	v_cvt_f64_f32_e32 v[36:37], v37
	v_fma_f64 v[24:25], -v[38:39], v[52:53], v[24:25]
	s_clause 0x1
	global_load_b128 v[98:101], v136, s[4:5] scale_offset
	global_load_b128 v[102:105], v136, s[4:5] offset:16 scale_offset
	s_clause 0x3
	global_load_b128 v[106:109], v[30:31], off offset:8208
	global_load_b128 v[110:113], v[30:31], off offset:8240
	;; [unrolled: 1-line block ×4, first 2 shown]
	v_fma_f64 v[34:35], -v[34:35], v[52:53], v[22:23]
	v_fmac_f64_e32 v[0:1], v[122:123], v[52:53]
	v_fmac_f64_e32 v[10:11], v[124:125], v[52:53]
	v_fma_f64 v[28:29], -v[42:43], v[52:53], v[28:29]
	v_fmac_f64_e32 v[12:13], v[126:127], v[52:53]
	v_fma_f64 v[38:39], -v[46:47], v[52:53], v[20:21]
	v_fmac_f64_e32 v[14:15], v[128:129], v[52:53]
	global_load_b128 v[20:23], v136, s[4:5] offset:32 scale_offset
	s_wait_loadcnt 0xf
	v_cvt_f64_f32_e32 v[122:123], v62
	v_cvt_f64_f32_e32 v[62:63], v63
	s_wait_loadcnt 0xe
	v_cvt_f64_f32_e32 v[124:125], v66
	v_cvt_f64_f32_e32 v[66:67], v67
	s_wait_loadcnt 0xd
	v_cvt_f64_f32_e32 v[126:127], v70
	v_cvt_f64_f32_e32 v[70:71], v71
	v_fmac_f64_e32 v[24:25], v[130:131], v[54:55]
	v_fmac_f64_e32 v[34:35], v[50:51], v[54:55]
	;; [unrolled: 1-line block ×8, first 2 shown]
	v_cvt_f64_f32_e32 v[54:55], v58
	v_cvt_f64_f32_e32 v[58:59], v59
	v_fma_f64 v[24:25], -v[40:41], v[56:57], v[24:25]
	v_fma_f64 v[128:129], -v[36:37], v[56:57], v[34:35]
	v_fmac_f64_e32 v[0:1], v[50:51], v[56:57]
	v_fmac_f64_e32 v[10:11], v[130:131], v[56:57]
	v_fma_f64 v[28:29], -v[44:45], v[56:57], v[28:29]
	v_fmac_f64_e32 v[12:13], v[132:133], v[56:57]
	v_fma_f64 v[130:131], -v[48:49], v[56:57], v[38:39]
	v_fmac_f64_e32 v[14:15], v[134:135], v[56:57]
	global_load_b128 v[34:37], v136, s[4:5] offset:48 scale_offset
	s_clause 0x3
	global_load_b128 v[38:41], v[30:31], off offset:16384
	global_load_b128 v[42:45], v[30:31], off offset:16416
	;; [unrolled: 1-line block ×4, first 2 shown]
	v_cvt_f64_f32_e32 v[132:133], v64
	v_cvt_f64_f32_e32 v[64:65], v65
	;; [unrolled: 1-line block ×4, first 2 shown]
	s_wait_xcnt 0x4
	v_cvt_f64_f32_e32 v[136:137], v72
	v_cvt_f64_f32_e32 v[72:73], v73
	s_wait_loadcnt 0x11
	v_fmac_f64_e32 v[24:25], v[122:123], v[74:75]
	v_fmac_f64_e32 v[128:129], v[54:55], v[74:75]
	;; [unrolled: 1-line block ×8, first 2 shown]
	v_cvt_f64_f32_e32 v[74:75], v60
	v_cvt_f64_f32_e32 v[60:61], v61
	v_fma_f64 v[24:25], -v[62:63], v[76:77], v[24:25]
	v_fma_f64 v[58:59], -v[58:59], v[76:77], v[128:129]
	v_fmac_f64_e32 v[0:1], v[54:55], v[76:77]
	v_fmac_f64_e32 v[10:11], v[122:123], v[76:77]
	v_fma_f64 v[28:29], -v[66:67], v[76:77], v[28:29]
	v_fmac_f64_e32 v[12:13], v[124:125], v[76:77]
	v_fma_f64 v[62:63], -v[70:71], v[76:77], v[130:131]
	v_fmac_f64_e32 v[14:15], v[126:127], v[76:77]
	v_subrev_nc_u32_e32 v54, s12, v138
	s_wait_loadcnt 0xe
	v_cvt_f64_f32_e32 v[122:123], v86
	v_cvt_f64_f32_e32 v[86:87], v87
	s_wait_loadcnt 0xd
	v_cvt_f64_f32_e32 v[124:125], v90
	v_cvt_f64_f32_e32 v[90:91], v91
	v_lshlrev_b32_e32 v138, 2, v54
	s_wait_loadcnt 0xc
	v_cvt_f64_f32_e32 v[126:127], v94
	v_cvt_f64_f32_e32 v[94:95], v95
	global_load_b128 v[54:57], v138, s[4:5] scale_offset
	v_fmac_f64_e32 v[24:25], v[132:133], v[78:79]
	v_fmac_f64_e32 v[58:59], v[74:75], v[78:79]
	;; [unrolled: 1-line block ×8, first 2 shown]
	v_cvt_f64_f32_e32 v[78:79], v82
	v_cvt_f64_f32_e32 v[82:83], v83
	v_fma_f64 v[24:25], -v[64:65], v[80:81], v[24:25]
	v_fma_f64 v[128:129], -v[60:61], v[80:81], v[58:59]
	v_fmac_f64_e32 v[0:1], v[74:75], v[80:81]
	v_fmac_f64_e32 v[10:11], v[132:133], v[80:81]
	v_fma_f64 v[28:29], -v[68:69], v[80:81], v[28:29]
	v_fmac_f64_e32 v[12:13], v[134:135], v[80:81]
	v_fma_f64 v[130:131], -v[72:73], v[80:81], v[62:63]
	v_fmac_f64_e32 v[14:15], v[136:137], v[80:81]
	global_load_b128 v[58:61], v138, s[4:5] offset:16 scale_offset
	s_clause 0x3
	global_load_b128 v[62:65], v[30:31], off offset:16400
	global_load_b128 v[66:69], v[30:31], off offset:16432
	global_load_b128 v[70:73], v[30:31], off offset:16464
	global_load_b128 v[74:77], v[30:31], off offset:16496
	v_cvt_f64_f32_e32 v[132:133], v88
	v_cvt_f64_f32_e32 v[88:89], v89
	;; [unrolled: 1-line block ×6, first 2 shown]
	s_wait_loadcnt 0x11
	v_fmac_f64_e32 v[128:129], v[78:79], v[98:99]
	v_fmac_f64_e32 v[0:1], v[82:83], v[98:99]
	v_fmac_f64_e32 v[24:25], v[122:123], v[98:99]
	v_fmac_f64_e32 v[10:11], v[86:87], v[98:99]
	v_fmac_f64_e32 v[28:29], v[124:125], v[98:99]
	v_fmac_f64_e32 v[12:13], v[90:91], v[98:99]
	v_fmac_f64_e32 v[130:131], v[126:127], v[98:99]
	v_fmac_f64_e32 v[14:15], v[94:95], v[98:99]
	v_cvt_f64_f32_e32 v[98:99], v84
	v_cvt_f64_f32_e32 v[84:85], v85
	v_fma_f64 v[82:83], -v[82:83], v[100:101], v[128:129]
	v_fmac_f64_e32 v[0:1], v[78:79], v[100:101]
	v_fma_f64 v[24:25], -v[86:87], v[100:101], v[24:25]
	v_fmac_f64_e32 v[10:11], v[122:123], v[100:101]
	;; [unrolled: 2-line block ×4, first 2 shown]
	global_load_b128 v[78:81], v138, s[4:5] offset:32 scale_offset
	s_wait_loadcnt 0xf
	v_cvt_f64_f32_e32 v[122:123], v110
	v_cvt_f64_f32_e32 v[110:111], v111
	s_wait_loadcnt 0xe
	v_cvt_f64_f32_e32 v[124:125], v114
	v_cvt_f64_f32_e32 v[114:115], v115
	;; [unrolled: 3-line block ×3, first 2 shown]
	v_fmac_f64_e32 v[82:83], v[98:99], v[102:103]
	v_fmac_f64_e32 v[0:1], v[84:85], v[102:103]
	v_fmac_f64_e32 v[24:25], v[132:133], v[102:103]
	v_fmac_f64_e32 v[10:11], v[88:89], v[102:103]
	v_fmac_f64_e32 v[28:29], v[134:135], v[102:103]
	v_fmac_f64_e32 v[12:13], v[92:93], v[102:103]
	v_fmac_f64_e32 v[86:87], v[136:137], v[102:103]
	v_fmac_f64_e32 v[14:15], v[96:97], v[102:103]
	v_cvt_f64_f32_e32 v[102:103], v106
	v_cvt_f64_f32_e32 v[106:107], v107
	v_fma_f64 v[128:129], -v[84:85], v[104:105], v[82:83]
	v_fmac_f64_e32 v[0:1], v[98:99], v[104:105]
	v_fma_f64 v[24:25], -v[88:89], v[104:105], v[24:25]
	v_fmac_f64_e32 v[10:11], v[132:133], v[104:105]
	;; [unrolled: 2-line block ×4, first 2 shown]
	global_load_b128 v[82:85], v138, s[4:5] offset:48 scale_offset
	s_clause 0x3
	global_load_b128 v[86:89], v[30:31], off offset:24608
	global_load_b128 v[90:93], v[30:31], off offset:24576
	global_load_b128 v[94:97], v[30:31], off offset:24640
	global_load_b128 v[98:101], v[30:31], off offset:24672
	v_cvt_f64_f32_e32 v[104:105], v108
	v_cvt_f64_f32_e32 v[108:109], v109
	;; [unrolled: 1-line block ×8, first 2 shown]
	s_wait_loadcnt 0x11
	v_fmac_f64_e32 v[128:129], v[102:103], v[20:21]
	v_fmac_f64_e32 v[0:1], v[106:107], v[20:21]
	v_fmac_f64_e32 v[24:25], v[122:123], v[20:21]
	v_fmac_f64_e32 v[10:11], v[110:111], v[20:21]
	v_fmac_f64_e32 v[28:29], v[124:125], v[20:21]
	v_fmac_f64_e32 v[12:13], v[114:115], v[20:21]
	v_fmac_f64_e32 v[130:131], v[126:127], v[20:21]
	v_fmac_f64_e32 v[14:15], v[118:119], v[20:21]
	v_subrev_nc_u32_e32 v20, s12, v139
	s_wait_xcnt 0x4
	s_delay_alu instid0(VALU_DEP_1)
	v_dual_fma_f64 v[106:107], -v[106:107], v[22:23], v[128:129] :: v_dual_lshlrev_b32 v138, 2, v20
	v_fmac_f64_e32 v[0:1], v[102:103], v[22:23]
	v_fma_f64 v[24:25], -v[110:111], v[22:23], v[24:25]
	v_fmac_f64_e32 v[10:11], v[122:123], v[22:23]
	v_fma_f64 v[28:29], -v[114:115], v[22:23], v[28:29]
	;; [unrolled: 2-line block ×3, first 2 shown]
	v_fmac_f64_e32 v[14:15], v[126:127], v[22:23]
	global_load_b128 v[20:23], v138, s[4:5] scale_offset
	s_wait_loadcnt 0x10
	v_cvt_f64_f32_e32 v[118:119], v38
	v_cvt_f64_f32_e32 v[38:39], v39
	s_wait_loadcnt 0xf
	v_cvt_f64_f32_e32 v[122:123], v42
	v_cvt_f64_f32_e32 v[42:43], v43
	;; [unrolled: 3-line block ×4, first 2 shown]
	v_cvt_f64_f32_e32 v[130:131], v41
	v_fmac_f64_e32 v[106:107], v[104:105], v[34:35]
	v_fmac_f64_e32 v[0:1], v[108:109], v[34:35]
	;; [unrolled: 1-line block ×8, first 2 shown]
	v_fma_f64 v[128:129], -v[108:109], v[36:37], v[106:107]
	v_fmac_f64_e32 v[0:1], v[104:105], v[36:37]
	v_fma_f64 v[24:25], -v[112:113], v[36:37], v[24:25]
	v_fmac_f64_e32 v[10:11], v[132:133], v[36:37]
	;; [unrolled: 2-line block ×4, first 2 shown]
	global_load_b128 v[34:37], v138, s[4:5] offset:16 scale_offset
	s_clause 0x3
	global_load_b128 v[102:105], v[30:31], off offset:24624
	global_load_b128 v[106:109], v[30:31], off offset:24592
	;; [unrolled: 1-line block ×4, first 2 shown]
	v_cvt_f64_f32_e32 v[132:133], v44
	v_cvt_f64_f32_e32 v[44:45], v45
	;; [unrolled: 1-line block ×6, first 2 shown]
	s_wait_xcnt 0x0
	v_add_nc_u64_e32 v[30:31], 0x8000, v[30:31]
	s_wait_loadcnt 0x11
	v_fmac_f64_e32 v[128:129], v[118:119], v[54:55]
	v_fmac_f64_e32 v[0:1], v[38:39], v[54:55]
	;; [unrolled: 1-line block ×8, first 2 shown]
	v_cvt_f64_f32_e32 v[54:55], v40
	v_fma_f64 v[128:129], -v[38:39], v[56:57], v[128:129]
	v_fmac_f64_e32 v[0:1], v[118:119], v[56:57]
	v_fma_f64 v[24:25], -v[42:43], v[56:57], v[24:25]
	v_fmac_f64_e32 v[10:11], v[122:123], v[56:57]
	;; [unrolled: 2-line block ×4, first 2 shown]
	global_load_b128 v[38:41], v138, s[4:5] offset:32 scale_offset
	s_wait_loadcnt 0x10
	v_cvt_f64_f32_e32 v[46:47], v62
	v_cvt_f64_f32_e32 v[50:51], v63
	s_wait_loadcnt 0xf
	v_cvt_f64_f32_e32 v[56:57], v66
	s_wait_loadcnt 0xe
	v_cvt_f64_f32_e32 v[62:63], v70
	v_fmac_f64_e32 v[128:129], v[54:55], v[58:59]
	v_fmac_f64_e32 v[0:1], v[130:131], v[58:59]
	;; [unrolled: 1-line block ×8, first 2 shown]
	v_cvt_f64_f32_e32 v[58:59], v67
	v_cvt_f64_f32_e32 v[66:67], v71
	s_wait_loadcnt 0xd
	v_cvt_f64_f32_e32 v[70:71], v74
	v_cvt_f64_f32_e32 v[74:75], v75
	v_fma_f64 v[118:119], -v[130:131], v[60:61], v[128:129]
	v_fmac_f64_e32 v[0:1], v[54:55], v[60:61]
	v_fma_f64 v[24:25], -v[44:45], v[60:61], v[24:25]
	v_fmac_f64_e32 v[10:11], v[132:133], v[60:61]
	;; [unrolled: 2-line block ×4, first 2 shown]
	global_load_b128 v[42:45], v138, s[4:5] offset:48 scale_offset
	v_cvt_f64_f32_e32 v[52:53], v64
	v_cvt_f64_f32_e32 v[54:55], v65
	;; [unrolled: 1-line block ×6, first 2 shown]
	s_wait_loadcnt 0xd
	v_fmac_f64_e32 v[118:119], v[46:47], v[78:79]
	v_fmac_f64_e32 v[0:1], v[50:51], v[78:79]
	;; [unrolled: 1-line block ×8, first 2 shown]
	v_cvt_f64_f32_e32 v[78:79], v76
	v_cvt_f64_f32_e32 v[76:77], v77
	v_fma_f64 v[50:51], -v[50:51], v[80:81], v[118:119]
	v_fmac_f64_e32 v[0:1], v[46:47], v[80:81]
	v_fma_f64 v[24:25], -v[58:59], v[80:81], v[24:25]
	v_fmac_f64_e32 v[10:11], v[56:57], v[80:81]
	;; [unrolled: 2-line block ×4, first 2 shown]
	s_wait_loadcnt 0xa
	v_cvt_f64_f32_e32 v[48:49], v90
	v_cvt_f64_f32_e32 v[56:57], v91
	;; [unrolled: 1-line block ×4, first 2 shown]
	s_wait_loadcnt 0x9
	v_cvt_f64_f32_e32 v[66:67], v94
	v_cvt_f64_f32_e32 v[70:71], v95
	s_wait_loadcnt 0x8
	v_cvt_f64_f32_e32 v[74:75], v98
	v_cvt_f64_f32_e32 v[80:81], v99
	v_fmac_f64_e32 v[50:51], v[52:53], v[82:83]
	v_fmac_f64_e32 v[0:1], v[54:55], v[82:83]
	;; [unrolled: 1-line block ×8, first 2 shown]
	v_fma_f64 v[50:51], -v[54:55], v[84:85], v[50:51]
	v_fmac_f64_e32 v[0:1], v[52:53], v[84:85]
	v_fma_f64 v[24:25], -v[64:65], v[84:85], v[24:25]
	v_fmac_f64_e32 v[10:11], v[60:61], v[84:85]
	;; [unrolled: 2-line block ×4, first 2 shown]
	v_cvt_f64_f32_e32 v[52:53], v93
	v_cvt_f64_f32_e32 v[54:55], v88
	;; [unrolled: 1-line block ×7, first 2 shown]
	s_wait_loadcnt 0x7
	v_fmac_f64_e32 v[50:51], v[48:49], v[20:21]
	v_fmac_f64_e32 v[0:1], v[56:57], v[20:21]
	;; [unrolled: 1-line block ×8, first 2 shown]
	v_cvt_f64_f32_e32 v[20:21], v92
	v_fma_f64 v[50:51], -v[56:57], v[22:23], v[50:51]
	v_fmac_f64_e32 v[0:1], v[48:49], v[22:23]
	v_fma_f64 v[24:25], -v[62:63], v[22:23], v[24:25]
	v_fmac_f64_e32 v[10:11], v[58:59], v[22:23]
	;; [unrolled: 2-line block ×4, first 2 shown]
	s_wait_loadcnt 0x4
	v_cvt_f64_f32_e32 v[22:23], v106
	v_cvt_f64_f32_e32 v[48:49], v102
	;; [unrolled: 1-line block ×3, first 2 shown]
	s_wait_loadcnt 0x3
	v_cvt_f64_f32_e32 v[58:59], v110
	v_cvt_f64_f32_e32 v[62:63], v111
	s_wait_loadcnt 0x2
	v_cvt_f64_f32_e32 v[66:67], v114
	v_cvt_f64_f32_e32 v[70:71], v115
	v_fmac_f64_e32 v[50:51], v[20:21], v[34:35]
	v_fmac_f64_e32 v[0:1], v[52:53], v[34:35]
	;; [unrolled: 1-line block ×8, first 2 shown]
	v_cvt_f64_f32_e32 v[34:35], v107
	v_fma_f64 v[50:51], -v[52:53], v[36:37], v[50:51]
	v_fmac_f64_e32 v[0:1], v[20:21], v[36:37]
	v_fma_f64 v[20:21], -v[60:61], v[36:37], v[24:25]
	v_fmac_f64_e32 v[10:11], v[54:55], v[36:37]
	;; [unrolled: 2-line block ×4, first 2 shown]
	v_cvt_f64_f32_e32 v[36:37], v108
	v_cvt_f64_f32_e32 v[46:47], v104
	;; [unrolled: 1-line block ×7, first 2 shown]
	s_wait_loadcnt 0x1
	v_fmac_f64_e32 v[50:51], v[22:23], v[38:39]
	v_fmac_f64_e32 v[0:1], v[34:35], v[38:39]
	v_fmac_f64_e32 v[20:21], v[48:49], v[38:39]
	v_fmac_f64_e32 v[10:11], v[56:57], v[38:39]
	v_fmac_f64_e32 v[24:25], v[58:59], v[38:39]
	v_fmac_f64_e32 v[12:13], v[62:63], v[38:39]
	v_fmac_f64_e32 v[28:29], v[66:67], v[38:39]
	v_fmac_f64_e32 v[14:15], v[70:71], v[38:39]
	v_cvt_f64_f32_e32 v[38:39], v109
	v_fma_f64 v[34:35], -v[34:35], v[40:41], v[50:51]
	v_fmac_f64_e32 v[0:1], v[22:23], v[40:41]
	v_fma_f64 v[20:21], -v[56:57], v[40:41], v[20:21]
	v_fmac_f64_e32 v[10:11], v[48:49], v[40:41]
	;; [unrolled: 2-line block ×4, first 2 shown]
	s_wait_loadcnt 0x0
	v_fmac_f64_e32 v[34:35], v[36:37], v[42:43]
	v_fmac_f64_e32 v[0:1], v[38:39], v[42:43]
	;; [unrolled: 1-line block ×8, first 2 shown]
	v_fma_f64 v[22:23], -v[38:39], v[44:45], v[34:35]
	v_fmac_f64_e32 v[0:1], v[36:37], v[44:45]
	v_fma_f64 v[24:25], -v[52:53], v[44:45], v[20:21]
	v_fmac_f64_e32 v[10:11], v[46:47], v[44:45]
	;; [unrolled: 2-line block ×4, first 2 shown]
	s_and_not1_b32 exec_lo, exec_lo, s7
	s_cbranch_execnz .LBB169_19
; %bb.20:
	s_or_b32 exec_lo, exec_lo, s7
.LBB169_21:
	s_delay_alu instid0(SALU_CYCLE_1)
	s_or_b32 exec_lo, exec_lo, s6
.LBB169_22:
	s_delay_alu instid0(SALU_CYCLE_1)
	s_or_b32 exec_lo, exec_lo, s3
	s_cbranch_execz .LBB169_24
	s_branch .LBB169_35
.LBB169_23:
                                        ; implicit-def: $vgpr0_vgpr1
                                        ; implicit-def: $vgpr22_vgpr23
                                        ; implicit-def: $vgpr10_vgpr11
                                        ; implicit-def: $vgpr24_vgpr25
                                        ; implicit-def: $vgpr12_vgpr13
                                        ; implicit-def: $vgpr28_vgpr29
                                        ; implicit-def: $vgpr14_vgpr15
                                        ; implicit-def: $vgpr20_vgpr21
.LBB169_24:
	v_mov_b64_e32 v[0:1], 0
	v_mov_b64_e32 v[22:23], 0
	v_mov_b64_e32 v[10:11], 0
	v_mov_b64_e32 v[24:25], 0
	v_mov_b64_e32 v[12:13], 0
	v_mov_b64_e32 v[28:29], 0
	v_mov_b64_e32 v[14:15], 0
	v_mov_b64_e32 v[20:21], 0
	s_and_saveexec_b32 s3, s2
	s_cbranch_execz .LBB169_34
; %bb.25:
	v_add_nc_u32_e32 v0, v32, v27
	v_not_b32_e32 v1, v32
	v_mov_b64_e32 v[20:21], 0
	v_mov_b64_e32 v[14:15], 0
	;; [unrolled: 1-line block ×3, first 2 shown]
	v_subrev_nc_u32_e32 v0, s12, v0
	v_mov_b64_e32 v[12:13], 0
	v_mov_b64_e32 v[24:25], 0
	;; [unrolled: 1-line block ×4, first 2 shown]
	v_add_max_i32_e64 v0, v0, 64, v17
	s_mov_b32 s2, exec_lo
	s_delay_alu instid0(VALU_DEP_1) | instskip(NEXT) | instid1(VALU_DEP_1)
	v_add3_u32 v0, s12, v0, v1
	v_sub_nc_u32_e32 v30, v0, v27
	v_mov_b64_e32 v[0:1], 0
	s_delay_alu instid0(VALU_DEP_2) | instskip(NEXT) | instid1(VALU_DEP_1)
	v_and_b32_e32 v31, 0xc0, v30
	v_cmpx_ne_u32_e32 0xc0, v31
	s_cbranch_execz .LBB169_29
; %bb.26:
	v_lshrrev_b32_e32 v0, 6, v30
	v_mov_b64_e32 v[22:23], 0
	v_mov_b64_e32 v[10:11], 0
	;; [unrolled: 1-line block ×4, first 2 shown]
	v_add_nc_u32_e32 v12, 1, v0
	v_mov_b64_e32 v[0:1], 0
	v_mov_b64_e32 v[14:15], 0
	;; [unrolled: 1-line block ×3, first 2 shown]
	s_mov_b32 s6, 0
	v_and_b32_e32 v31, 3, v12
	v_mov_b64_e32 v[12:13], 0
	s_delay_alu instid0(VALU_DEP_2)
	v_sub_nc_u32_e32 v31, 0, v31
.LBB169_27:                             ; =>This Inner Loop Header: Depth=1
	global_load_b32 v40, v16, s[8:9] scale_offset
	s_clause 0x1
	global_load_b128 v[32:35], v[18:19], off
	global_load_b128 v[36:39], v[18:19], off offset:16
	v_add_co_u32 v31, s7, v31, 1
	s_or_b32 s6, s7, s6
	s_wait_xcnt 0x2
	v_add_nc_u32_e32 v16, 64, v16
	s_wait_loadcnt 0x2
	v_subrev_nc_u32_e32 v40, s12, v40
	s_wait_loadcnt 0x1
	v_cvt_f64_f32_e32 v[82:83], v34
	v_cvt_f64_f32_e32 v[34:35], v35
	s_wait_loadcnt 0x0
	v_cvt_f64_f32_e32 v[84:85], v36
	v_cvt_f64_f32_e32 v[36:37], v37
	v_lshlrev_b32_e32 v80, 2, v40
	s_wait_kmcnt 0x0
	s_clause 0x1
	global_load_b128 v[40:43], v80, s[4:5] scale_offset
	global_load_b128 v[44:47], v80, s[4:5] offset:16 scale_offset
	s_clause 0x3
	global_load_b128 v[48:51], v[18:19], off offset:32
	global_load_b128 v[52:55], v[18:19], off offset:48
	;; [unrolled: 1-line block ×4, first 2 shown]
	s_clause 0x1
	global_load_b128 v[64:67], v80, s[4:5] offset:32 scale_offset
	global_load_b128 v[68:71], v80, s[4:5] offset:48 scale_offset
	s_clause 0x1
	global_load_b128 v[72:75], v[18:19], off offset:96
	global_load_b128 v[76:79], v[18:19], off offset:112
	s_wait_xcnt 0x2
	v_cvt_f64_f32_e32 v[80:81], v32
	v_cvt_f64_f32_e32 v[32:33], v33
	;; [unrolled: 1-line block ×4, first 2 shown]
	s_wait_xcnt 0x0
	v_add_nc_u64_e32 v[18:19], 0x2000, v[18:19]
	s_wait_loadcnt 0x9
	v_fmac_f64_e32 v[22:23], v[80:81], v[40:41]
	v_fmac_f64_e32 v[0:1], v[32:33], v[40:41]
	;; [unrolled: 1-line block ×8, first 2 shown]
	s_wait_loadcnt 0x7
	v_cvt_f64_f32_e32 v[40:41], v48
	v_cvt_f64_f32_e32 v[48:49], v49
	;; [unrolled: 1-line block ×4, first 2 shown]
	s_wait_loadcnt 0x6
	v_cvt_f64_f32_e32 v[90:91], v52
	v_cvt_f64_f32_e32 v[52:53], v53
	;; [unrolled: 1-line block ×4, first 2 shown]
	v_fma_f64 v[22:23], -v[32:33], v[42:43], v[22:23]
	v_fmac_f64_e32 v[0:1], v[80:81], v[42:43]
	v_fma_f64 v[24:25], -v[34:35], v[42:43], v[24:25]
	v_fmac_f64_e32 v[10:11], v[82:83], v[42:43]
	;; [unrolled: 2-line block ×4, first 2 shown]
	s_wait_loadcnt 0x5
	v_cvt_f64_f32_e32 v[32:33], v56
	v_cvt_f64_f32_e32 v[34:35], v57
	;; [unrolled: 1-line block ×4, first 2 shown]
	s_wait_loadcnt 0x4
	v_cvt_f64_f32_e32 v[42:43], v60
	v_cvt_f64_f32_e32 v[56:57], v62
	;; [unrolled: 1-line block ×3, first 2 shown]
	s_wait_loadcnt 0x0
	v_cvt_f64_f32_e32 v[62:63], v79
	v_fmac_f64_e32 v[22:23], v[40:41], v[44:45]
	v_fmac_f64_e32 v[0:1], v[48:49], v[44:45]
	;; [unrolled: 1-line block ×8, first 2 shown]
	v_cvt_f64_f32_e32 v[44:45], v61
	v_cvt_f64_f32_e32 v[60:61], v78
	v_fma_f64 v[22:23], -v[48:49], v[46:47], v[22:23]
	v_fmac_f64_e32 v[0:1], v[40:41], v[46:47]
	v_fma_f64 v[24:25], -v[50:51], v[46:47], v[24:25]
	v_fmac_f64_e32 v[10:11], v[88:89], v[46:47]
	;; [unrolled: 2-line block ×4, first 2 shown]
	v_cvt_f64_f32_e32 v[40:41], v72
	v_cvt_f64_f32_e32 v[46:47], v73
	;; [unrolled: 1-line block ×6, first 2 shown]
	v_fmac_f64_e32 v[22:23], v[32:33], v[64:65]
	v_fmac_f64_e32 v[0:1], v[34:35], v[64:65]
	v_fmac_f64_e32 v[24:25], v[36:37], v[64:65]
	v_fmac_f64_e32 v[10:11], v[38:39], v[64:65]
	v_fmac_f64_e32 v[28:29], v[42:43], v[64:65]
	v_fmac_f64_e32 v[12:13], v[44:45], v[64:65]
	v_fmac_f64_e32 v[20:21], v[56:57], v[64:65]
	v_fmac_f64_e32 v[14:15], v[58:59], v[64:65]
	v_fma_f64 v[22:23], -v[34:35], v[66:67], v[22:23]
	v_fmac_f64_e32 v[0:1], v[32:33], v[66:67]
	v_fma_f64 v[24:25], -v[38:39], v[66:67], v[24:25]
	v_fmac_f64_e32 v[10:11], v[36:37], v[66:67]
	;; [unrolled: 2-line block ×4, first 2 shown]
	v_fmac_f64_e32 v[22:23], v[40:41], v[68:69]
	v_fmac_f64_e32 v[0:1], v[46:47], v[68:69]
	;; [unrolled: 1-line block ×8, first 2 shown]
	v_fma_f64 v[22:23], -v[46:47], v[70:71], v[22:23]
	v_fmac_f64_e32 v[0:1], v[40:41], v[70:71]
	v_fma_f64 v[24:25], -v[50:51], v[70:71], v[24:25]
	v_fmac_f64_e32 v[10:11], v[48:49], v[70:71]
	;; [unrolled: 2-line block ×4, first 2 shown]
	s_and_not1_b32 exec_lo, exec_lo, s6
	s_cbranch_execnz .LBB169_27
; %bb.28:
	s_or_b32 exec_lo, exec_lo, s6
.LBB169_29:
	s_delay_alu instid0(SALU_CYCLE_1) | instskip(NEXT) | instid1(SALU_CYCLE_1)
	s_or_b32 exec_lo, exec_lo, s2
	s_mov_b32 s2, exec_lo
	v_cmpx_lt_u32_e32 0xbf, v30
	s_cbranch_execz .LBB169_33
; %bb.30:
	s_mov_b32 s6, 0
.LBB169_31:                             ; =>This Inner Loop Header: Depth=1
	s_clause 0x1
	global_load_b32 v38, v16, s[8:9] scale_offset
	global_load_b32 v86, v16, s[8:9] offset:256 scale_offset
	s_clause 0x1
	global_load_b128 v[30:33], v[18:19], off
	global_load_b128 v[34:37], v[18:19], off offset:16
	s_clause 0x1
	global_load_b32 v130, v16, s[8:9] offset:512 scale_offset
	global_load_b32 v134, v16, s[8:9] offset:768 scale_offset
	s_wait_xcnt 0x0
	v_add_nc_u32_e32 v16, 0x100, v16
	s_delay_alu instid0(VALU_DEP_1)
	v_cmp_ge_i32_e32 vcc_lo, v16, v17
	s_or_b32 s6, vcc_lo, s6
	s_wait_loadcnt 0x5
	v_subrev_nc_u32_e32 v38, s12, v38
	s_wait_loadcnt 0x4
	v_subrev_nc_u32_e32 v86, s12, v86
	s_wait_loadcnt 0x3
	v_cvt_f64_f32_e32 v[104:105], v31
	v_cvt_f64_f32_e32 v[106:107], v32
	;; [unrolled: 1-line block ×3, first 2 shown]
	v_lshlrev_b32_e32 v87, 2, v38
	v_cvt_f64_f32_e32 v[102:103], v30
	s_wait_loadcnt 0x2
	v_cvt_f64_f32_e32 v[110:111], v34
	v_cvt_f64_f32_e32 v[112:113], v35
	;; [unrolled: 1-line block ×3, first 2 shown]
	s_wait_kmcnt 0x0
	global_load_b128 v[38:41], v87, s[4:5] scale_offset
	s_clause 0x1
	global_load_b128 v[42:45], v[18:19], off offset:32
	global_load_b128 v[46:49], v[18:19], off offset:48
	global_load_b128 v[50:53], v87, s[4:5] offset:16 scale_offset
	s_clause 0x1
	global_load_b128 v[54:57], v[18:19], off offset:64
	global_load_b128 v[58:61], v[18:19], off offset:80
	global_load_b128 v[62:65], v87, s[4:5] offset:32 scale_offset
	;; [unrolled: 4-line block ×3, first 2 shown]
	s_clause 0x1
	global_load_b128 v[78:81], v[18:19], off offset:8192
	global_load_b128 v[82:85], v[18:19], off offset:8208
	v_cvt_f64_f32_e32 v[116:117], v37
	s_wait_loadcnt 0xb
	v_fmac_f64_e32 v[24:25], v[106:107], v[38:39]
	v_lshlrev_b32_e32 v131, 2, v86
	v_fmac_f64_e32 v[22:23], v[102:103], v[38:39]
	v_fmac_f64_e32 v[0:1], v[104:105], v[38:39]
	;; [unrolled: 1-line block ×7, first 2 shown]
	s_wait_loadcnt 0xa
	v_cvt_f64_f32_e32 v[118:119], v42
	v_cvt_f64_f32_e32 v[120:121], v43
	;; [unrolled: 1-line block ×4, first 2 shown]
	s_wait_loadcnt 0x9
	v_cvt_f64_f32_e32 v[126:127], v46
	v_cvt_f64_f32_e32 v[46:47], v47
	;; [unrolled: 1-line block ×4, first 2 shown]
	v_fma_f64 v[24:25], -v[108:109], v[40:41], v[24:25]
	global_load_b128 v[86:89], v131, s[4:5] scale_offset
	s_clause 0x1
	global_load_b128 v[90:93], v[18:19], off offset:8224
	global_load_b128 v[94:97], v[18:19], off offset:8240
	global_load_b128 v[30:33], v131, s[4:5] offset:16 scale_offset
	s_clause 0x1
	global_load_b128 v[34:37], v[18:19], off offset:8256
	global_load_b128 v[98:101], v[18:19], off offset:8272
	v_fma_f64 v[104:105], -v[104:105], v[40:41], v[22:23]
	v_fmac_f64_e32 v[0:1], v[102:103], v[40:41]
	v_fmac_f64_e32 v[10:11], v[106:107], v[40:41]
	v_fma_f64 v[28:29], -v[112:113], v[40:41], v[28:29]
	v_fmac_f64_e32 v[12:13], v[110:111], v[40:41]
	v_fma_f64 v[102:103], -v[116:117], v[40:41], v[20:21]
	v_fmac_f64_e32 v[14:15], v[114:115], v[40:41]
	global_load_b128 v[20:23], v131, s[4:5] offset:32 scale_offset
	s_clause 0x1
	global_load_b128 v[38:41], v[18:19], off offset:8288
	global_load_b128 v[42:45], v[18:19], off offset:8304
	s_wait_loadcnt 0x10
	v_cvt_f64_f32_e32 v[106:107], v54
	v_cvt_f64_f32_e32 v[108:109], v55
	;; [unrolled: 1-line block ×4, first 2 shown]
	s_wait_loadcnt 0xf
	v_cvt_f64_f32_e32 v[114:115], v58
	v_cvt_f64_f32_e32 v[58:59], v59
	;; [unrolled: 1-line block ×4, first 2 shown]
	v_fmac_f64_e32 v[24:25], v[122:123], v[50:51]
	v_fmac_f64_e32 v[104:105], v[118:119], v[50:51]
	;; [unrolled: 1-line block ×8, first 2 shown]
	v_fma_f64 v[24:25], -v[124:125], v[52:53], v[24:25]
	s_wait_loadcnt 0xd
	v_cvt_f64_f32_e32 v[124:125], v69
	v_fma_f64 v[104:105], -v[120:121], v[52:53], v[104:105]
	v_fmac_f64_e32 v[0:1], v[118:119], v[52:53]
	v_fmac_f64_e32 v[10:11], v[122:123], v[52:53]
	v_fma_f64 v[28:29], -v[46:47], v[52:53], v[28:29]
	v_fmac_f64_e32 v[12:13], v[126:127], v[52:53]
	v_fma_f64 v[102:103], -v[48:49], v[52:53], v[102:103]
	v_fmac_f64_e32 v[14:15], v[128:129], v[52:53]
	global_load_b128 v[46:49], v131, s[4:5] offset:48 scale_offset
	s_clause 0x1
	global_load_b128 v[50:53], v[18:19], off offset:16384
	global_load_b128 v[54:57], v[18:19], off offset:16400
	v_cvt_f64_f32_e32 v[118:119], v66
	v_cvt_f64_f32_e32 v[120:121], v67
	v_cvt_f64_f32_e32 v[122:123], v68
	s_wait_loadcnt 0xf
	v_cvt_f64_f32_e32 v[126:127], v70
	v_cvt_f64_f32_e32 v[70:71], v71
	;; [unrolled: 1-line block ×4, first 2 shown]
	v_fmac_f64_e32 v[24:25], v[110:111], v[62:63]
	v_fmac_f64_e32 v[104:105], v[106:107], v[62:63]
	;; [unrolled: 1-line block ×8, first 2 shown]
	v_fma_f64 v[24:25], -v[112:113], v[64:65], v[24:25]
	s_wait_loadcnt 0xd
	v_cvt_f64_f32_e32 v[112:113], v81
	v_fma_f64 v[104:105], -v[108:109], v[64:65], v[104:105]
	v_fmac_f64_e32 v[0:1], v[106:107], v[64:65]
	v_fmac_f64_e32 v[10:11], v[110:111], v[64:65]
	v_fma_f64 v[28:29], -v[58:59], v[64:65], v[28:29]
	v_fmac_f64_e32 v[12:13], v[114:115], v[64:65]
	v_fma_f64 v[102:103], -v[60:61], v[64:65], v[102:103]
	v_fmac_f64_e32 v[14:15], v[116:117], v[64:65]
	v_subrev_nc_u32_e32 v58, s12, v130
	v_cvt_f64_f32_e32 v[106:107], v78
	v_cvt_f64_f32_e32 v[108:109], v79
	;; [unrolled: 1-line block ×3, first 2 shown]
	s_wait_loadcnt 0xc
	v_cvt_f64_f32_e32 v[114:115], v82
	v_lshlrev_b32_e32 v130, 2, v58
	v_cvt_f64_f32_e32 v[82:83], v83
	v_cvt_f64_f32_e32 v[116:117], v84
	;; [unrolled: 1-line block ×3, first 2 shown]
	global_load_b128 v[58:61], v130, s[4:5] scale_offset
	s_clause 0x1
	global_load_b128 v[62:65], v[18:19], off offset:16416
	global_load_b128 v[66:69], v[18:19], off offset:16432
	v_fmac_f64_e32 v[24:25], v[122:123], v[74:75]
	v_fmac_f64_e32 v[104:105], v[118:119], v[74:75]
	;; [unrolled: 1-line block ×8, first 2 shown]
	v_fma_f64 v[24:25], -v[124:125], v[76:77], v[24:25]
	v_fma_f64 v[104:105], -v[120:121], v[76:77], v[104:105]
	v_fmac_f64_e32 v[0:1], v[118:119], v[76:77]
	v_fmac_f64_e32 v[10:11], v[122:123], v[76:77]
	v_fma_f64 v[28:29], -v[70:71], v[76:77], v[28:29]
	v_fmac_f64_e32 v[12:13], v[126:127], v[76:77]
	v_fma_f64 v[102:103], -v[72:73], v[76:77], v[102:103]
	v_fmac_f64_e32 v[14:15], v[128:129], v[76:77]
	global_load_b128 v[70:73], v130, s[4:5] offset:16 scale_offset
	s_clause 0x1
	global_load_b128 v[74:77], v[18:19], off offset:16448
	global_load_b128 v[78:81], v[18:19], off offset:16464
	s_wait_loadcnt 0x11
	v_fmac_f64_e32 v[104:105], v[106:107], v[86:87]
	v_fmac_f64_e32 v[0:1], v[108:109], v[86:87]
	;; [unrolled: 1-line block ×8, first 2 shown]
	s_wait_loadcnt 0x10
	v_cvt_f64_f32_e32 v[118:119], v90
	v_cvt_f64_f32_e32 v[90:91], v91
	;; [unrolled: 1-line block ×4, first 2 shown]
	s_wait_loadcnt 0xf
	v_cvt_f64_f32_e32 v[122:123], v94
	v_cvt_f64_f32_e32 v[94:95], v95
	;; [unrolled: 1-line block ×4, first 2 shown]
	s_wait_loadcnt 0x9
	v_cvt_f64_f32_e32 v[126:127], v42
	v_cvt_f64_f32_e32 v[128:129], v43
	;; [unrolled: 1-line block ×3, first 2 shown]
	v_fma_f64 v[104:105], -v[108:109], v[88:89], v[104:105]
	v_fmac_f64_e32 v[0:1], v[106:107], v[88:89]
	v_fma_f64 v[24:25], -v[112:113], v[88:89], v[24:25]
	v_fmac_f64_e32 v[10:11], v[110:111], v[88:89]
	v_fma_f64 v[106:107], -v[82:83], v[88:89], v[28:29]
	v_fmac_f64_e32 v[12:13], v[114:115], v[88:89]
	v_fma_f64 v[102:103], -v[84:85], v[88:89], v[102:103]
	v_fmac_f64_e32 v[14:15], v[116:117], v[88:89]
	global_load_b128 v[82:85], v130, s[4:5] offset:32 scale_offset
	v_cvt_f64_f32_e32 v[108:109], v34
	v_cvt_f64_f32_e32 v[110:111], v35
	;; [unrolled: 1-line block ×8, first 2 shown]
	v_fmac_f64_e32 v[104:105], v[118:119], v[30:31]
	v_fmac_f64_e32 v[0:1], v[90:91], v[30:31]
	;; [unrolled: 1-line block ×8, first 2 shown]
	s_clause 0x1
	global_load_b128 v[28:31], v[18:19], off offset:16480
	global_load_b128 v[86:89], v[18:19], off offset:16496
	v_fma_f64 v[104:105], -v[90:91], v[32:33], v[104:105]
	v_fmac_f64_e32 v[0:1], v[118:119], v[32:33]
	v_fma_f64 v[24:25], -v[92:93], v[32:33], v[24:25]
	v_fmac_f64_e32 v[10:11], v[120:121], v[32:33]
	;; [unrolled: 2-line block ×4, first 2 shown]
	global_load_b128 v[32:35], v130, s[4:5] offset:48 scale_offset
	s_clause 0x1
	global_load_b128 v[90:93], v[18:19], off offset:24576
	global_load_b128 v[94:97], v[18:19], off offset:24592
	v_cvt_f64_f32_e32 v[118:119], v38
	v_cvt_f64_f32_e32 v[120:121], v39
	;; [unrolled: 1-line block ×4, first 2 shown]
	s_wait_xcnt 0x2
	v_cvt_f64_f32_e32 v[130:131], v44
	v_fmac_f64_e32 v[104:105], v[108:109], v[20:21]
	v_fmac_f64_e32 v[0:1], v[110:111], v[20:21]
	;; [unrolled: 1-line block ×8, first 2 shown]
	v_subrev_nc_u32_e32 v20, s12, v134
	s_delay_alu instid0(VALU_DEP_1)
	v_dual_fma_f64 v[104:105], -v[110:111], v[22:23], v[104:105] :: v_dual_lshlrev_b32 v134, 2, v20
	v_fmac_f64_e32 v[0:1], v[108:109], v[22:23]
	v_fma_f64 v[24:25], -v[36:37], v[22:23], v[24:25]
	v_fmac_f64_e32 v[10:11], v[112:113], v[22:23]
	v_fma_f64 v[98:99], -v[98:99], v[22:23], v[106:107]
	;; [unrolled: 2-line block ×3, first 2 shown]
	v_fmac_f64_e32 v[14:15], v[116:117], v[22:23]
	s_clause 0x1
	global_load_b128 v[20:23], v134, s[4:5] offset:16 scale_offset
	global_load_b128 v[36:39], v134, s[4:5] scale_offset
	s_wait_loadcnt 0xf
	v_cvt_f64_f32_e32 v[102:103], v50
	v_cvt_f64_f32_e32 v[106:107], v51
	;; [unrolled: 1-line block ×4, first 2 shown]
	s_wait_loadcnt 0xe
	v_cvt_f64_f32_e32 v[112:113], v54
	v_cvt_f64_f32_e32 v[114:115], v55
	;; [unrolled: 1-line block ×4, first 2 shown]
	v_fmac_f64_e32 v[104:105], v[118:119], v[46:47]
	v_fmac_f64_e32 v[0:1], v[120:121], v[46:47]
	;; [unrolled: 1-line block ×8, first 2 shown]
	s_clause 0x1
	global_load_b128 v[40:43], v[18:19], off offset:24624
	global_load_b128 v[44:47], v[18:19], off offset:24608
	v_fma_f64 v[104:105], -v[120:121], v[48:49], v[104:105]
	v_fmac_f64_e32 v[0:1], v[118:119], v[48:49]
	v_fma_f64 v[24:25], -v[124:125], v[48:49], v[24:25]
	v_fmac_f64_e32 v[10:11], v[122:123], v[48:49]
	;; [unrolled: 2-line block ×4, first 2 shown]
	s_clause 0x1
	global_load_b128 v[48:51], v[18:19], off offset:24656
	global_load_b128 v[52:55], v[18:19], off offset:24640
	s_wait_loadcnt 0x10
	v_cvt_f64_f32_e32 v[118:119], v62
	v_cvt_f64_f32_e32 v[120:121], v63
	;; [unrolled: 1-line block ×4, first 2 shown]
	s_wait_loadcnt 0xf
	v_cvt_f64_f32_e32 v[126:127], v66
	v_cvt_f64_f32_e32 v[128:129], v67
	;; [unrolled: 1-line block ×4, first 2 shown]
	v_fmac_f64_e32 v[104:105], v[102:103], v[58:59]
	v_fmac_f64_e32 v[0:1], v[106:107], v[58:59]
	;; [unrolled: 1-line block ×8, first 2 shown]
	v_fma_f64 v[104:105], -v[106:107], v[60:61], v[104:105]
	v_fmac_f64_e32 v[0:1], v[102:103], v[60:61]
	v_fma_f64 v[24:25], -v[110:111], v[60:61], v[24:25]
	v_fmac_f64_e32 v[10:11], v[108:109], v[60:61]
	;; [unrolled: 2-line block ×4, first 2 shown]
	s_clause 0x1
	global_load_b128 v[56:59], v134, s[4:5] offset:48 scale_offset
	global_load_b128 v[60:63], v134, s[4:5] offset:32 scale_offset
	s_wait_loadcnt 0xf
	v_cvt_f64_f32_e32 v[102:103], v74
	v_cvt_f64_f32_e32 v[74:75], v75
	;; [unrolled: 1-line block ×4, first 2 shown]
	s_wait_loadcnt 0xe
	v_cvt_f64_f32_e32 v[108:109], v78
	v_cvt_f64_f32_e32 v[78:79], v79
	;; [unrolled: 1-line block ×4, first 2 shown]
	v_fmac_f64_e32 v[104:105], v[118:119], v[70:71]
	v_fmac_f64_e32 v[0:1], v[120:121], v[70:71]
	;; [unrolled: 1-line block ×8, first 2 shown]
	s_clause 0x1
	global_load_b128 v[64:67], v[18:19], off offset:24672
	global_load_b128 v[68:71], v[18:19], off offset:24688
	s_wait_xcnt 0x0
	v_add_nc_u64_e32 v[18:19], 0x8000, v[18:19]
	v_fma_f64 v[104:105], -v[120:121], v[72:73], v[104:105]
	v_fmac_f64_e32 v[0:1], v[118:119], v[72:73]
	v_fma_f64 v[24:25], -v[124:125], v[72:73], v[24:25]
	v_fmac_f64_e32 v[10:11], v[122:123], v[72:73]
	;; [unrolled: 2-line block ×4, first 2 shown]
	s_wait_loadcnt 0xf
	v_fmac_f64_e32 v[104:105], v[102:103], v[82:83]
	v_fmac_f64_e32 v[0:1], v[74:75], v[82:83]
	;; [unrolled: 1-line block ×8, first 2 shown]
	s_wait_loadcnt 0xe
	v_cvt_f64_f32_e32 v[72:73], v28
	v_cvt_f64_f32_e32 v[28:29], v29
	;; [unrolled: 1-line block ×4, first 2 shown]
	s_wait_loadcnt 0xd
	v_cvt_f64_f32_e32 v[112:113], v86
	v_cvt_f64_f32_e32 v[86:87], v87
	;; [unrolled: 1-line block ×4, first 2 shown]
	v_fma_f64 v[74:75], -v[74:75], v[84:85], v[104:105]
	v_fmac_f64_e32 v[0:1], v[102:103], v[84:85]
	v_fma_f64 v[24:25], -v[76:77], v[84:85], v[24:25]
	v_fmac_f64_e32 v[10:11], v[106:107], v[84:85]
	;; [unrolled: 2-line block ×4, first 2 shown]
	s_wait_loadcnt 0xb
	v_cvt_f64_f32_e32 v[80:81], v91
	v_cvt_f64_f32_e32 v[84:85], v92
	s_wait_loadcnt 0xa
	v_cvt_f64_f32_e32 v[98:99], v96
	v_cvt_f64_f32_e32 v[96:97], v97
	v_fmac_f64_e32 v[74:75], v[72:73], v[32:33]
	v_fmac_f64_e32 v[0:1], v[28:29], v[32:33]
	;; [unrolled: 1-line block ×8, first 2 shown]
	v_cvt_f64_f32_e32 v[32:33], v90
	v_cvt_f64_f32_e32 v[90:91], v93
	;; [unrolled: 1-line block ×4, first 2 shown]
	v_fma_f64 v[28:29], -v[28:29], v[34:35], v[74:75]
	v_fmac_f64_e32 v[0:1], v[72:73], v[34:35]
	v_fma_f64 v[24:25], -v[30:31], v[34:35], v[24:25]
	v_fmac_f64_e32 v[10:11], v[82:83], v[34:35]
	;; [unrolled: 2-line block ×4, first 2 shown]
	s_wait_loadcnt 0x8
	v_fmac_f64_e32 v[28:29], v[32:33], v[36:37]
	v_fmac_f64_e32 v[0:1], v[80:81], v[36:37]
	;; [unrolled: 1-line block ×8, first 2 shown]
	s_wait_loadcnt 0x6
	v_cvt_f64_f32_e32 v[34:35], v44
	v_cvt_f64_f32_e32 v[36:37], v45
	;; [unrolled: 1-line block ×8, first 2 shown]
	v_fma_f64 v[28:29], -v[80:81], v[38:39], v[28:29]
	v_fmac_f64_e32 v[0:1], v[32:33], v[38:39]
	v_fma_f64 v[24:25], -v[90:91], v[38:39], v[24:25]
	v_fmac_f64_e32 v[10:11], v[84:85], v[38:39]
	;; [unrolled: 2-line block ×4, first 2 shown]
	s_wait_loadcnt 0x4
	v_cvt_f64_f32_e32 v[38:39], v53
	v_cvt_f64_f32_e32 v[72:73], v48
	;; [unrolled: 1-line block ×5, first 2 shown]
	v_fmac_f64_e32 v[28:29], v[34:35], v[20:21]
	v_fmac_f64_e32 v[0:1], v[36:37], v[20:21]
	;; [unrolled: 1-line block ×8, first 2 shown]
	v_cvt_f64_f32_e32 v[20:21], v52
	v_cvt_f64_f32_e32 v[52:53], v54
	;; [unrolled: 1-line block ×3, first 2 shown]
	v_fma_f64 v[28:29], -v[36:37], v[22:23], v[28:29]
	v_fmac_f64_e32 v[0:1], v[34:35], v[22:23]
	v_fma_f64 v[24:25], -v[46:47], v[22:23], v[24:25]
	v_fmac_f64_e32 v[10:11], v[44:45], v[22:23]
	;; [unrolled: 2-line block ×4, first 2 shown]
	s_wait_loadcnt 0x2
	v_fmac_f64_e32 v[28:29], v[20:21], v[60:61]
	v_fmac_f64_e32 v[0:1], v[38:39], v[60:61]
	;; [unrolled: 1-line block ×8, first 2 shown]
	s_wait_loadcnt 0x1
	v_cvt_f64_f32_e32 v[34:35], v64
	v_cvt_f64_f32_e32 v[22:23], v65
	;; [unrolled: 1-line block ×4, first 2 shown]
	s_wait_loadcnt 0x0
	v_cvt_f64_f32_e32 v[42:43], v68
	v_cvt_f64_f32_e32 v[44:45], v69
	;; [unrolled: 1-line block ×4, first 2 shown]
	v_fma_f64 v[28:29], -v[38:39], v[62:63], v[28:29]
	v_fmac_f64_e32 v[0:1], v[20:21], v[62:63]
	v_fma_f64 v[20:21], -v[54:55], v[62:63], v[24:25]
	v_fmac_f64_e32 v[10:11], v[52:53], v[62:63]
	;; [unrolled: 2-line block ×4, first 2 shown]
	v_fmac_f64_e32 v[28:29], v[34:35], v[56:57]
	v_fmac_f64_e32 v[0:1], v[22:23], v[56:57]
	;; [unrolled: 1-line block ×8, first 2 shown]
	v_fma_f64 v[22:23], -v[22:23], v[58:59], v[28:29]
	v_fmac_f64_e32 v[0:1], v[34:35], v[58:59]
	v_fma_f64 v[24:25], -v[40:41], v[58:59], v[20:21]
	v_fmac_f64_e32 v[10:11], v[36:37], v[58:59]
	;; [unrolled: 2-line block ×4, first 2 shown]
	s_and_not1_b32 exec_lo, exec_lo, s6
	s_cbranch_execnz .LBB169_31
; %bb.32:
	s_or_b32 exec_lo, exec_lo, s6
.LBB169_33:
	s_delay_alu instid0(SALU_CYCLE_1)
	s_or_b32 exec_lo, exec_lo, s2
.LBB169_34:
	s_delay_alu instid0(SALU_CYCLE_1)
	s_or_b32 exec_lo, exec_lo, s3
.LBB169_35:
	v_mbcnt_lo_u32_b32 v46, -1, 0
	s_delay_alu instid0(VALU_DEP_1) | instskip(NEXT) | instid1(VALU_DEP_1)
	v_or_b32_e32 v16, 32, v46
	v_cmp_gt_i32_e32 vcc_lo, 32, v16
	v_cndmask_b32_e32 v16, v46, v16, vcc_lo
	s_delay_alu instid0(VALU_DEP_1)
	v_lshlrev_b32_e32 v41, 2, v16
	ds_bpermute_b32 v18, v41, v0
	ds_bpermute_b32 v19, v41, v1
	;; [unrolled: 1-line block ×4, first 2 shown]
	s_wait_dscnt 0x2
	v_add_f64_e32 v[0:1], v[0:1], v[18:19]
	s_wait_dscnt 0x0
	v_add_f64_e32 v[18:19], v[24:25], v[30:31]
	ds_bpermute_b32 v16, v41, v22
	ds_bpermute_b32 v17, v41, v23
	;; [unrolled: 1-line block ×12, first 2 shown]
	v_xor_b32_e32 v24, 16, v46
	s_delay_alu instid0(VALU_DEP_1)
	v_cmp_gt_i32_e32 vcc_lo, 32, v24
	s_wait_dscnt 0xa
	v_add_f64_e32 v[16:17], v[22:23], v[16:17]
	s_wait_dscnt 0x8
	v_dual_add_f64 v[22:23], v[28:29], v[34:35] :: v_dual_cndmask_b32 v24, v46, v24, vcc_lo
	s_wait_dscnt 0x6
	v_add_f64_e32 v[20:21], v[20:21], v[38:39]
	s_wait_dscnt 0x4
	v_add_f64_e32 v[10:11], v[10:11], v[32:33]
	;; [unrolled: 2-line block ×4, first 2 shown]
	v_lshlrev_b32_e32 v41, 2, v24
	ds_bpermute_b32 v28, v41, v0
	ds_bpermute_b32 v29, v41, v1
	;; [unrolled: 1-line block ×12, first 2 shown]
	s_wait_dscnt 0xa
	v_add_f64_e32 v[0:1], v[0:1], v[28:29]
	ds_bpermute_b32 v40, v41, v14
	s_wait_dscnt 0x7
	v_dual_add_f64 v[16:17], v[16:17], v[24:25] :: v_dual_bitop2_b32 v24, 8, v46 bitop3:0x14
	ds_bpermute_b32 v36, v41, v12
	ds_bpermute_b32 v37, v41, v13
	;; [unrolled: 1-line block ×3, first 2 shown]
	v_cmp_gt_i32_e32 vcc_lo, 32, v24
	s_wait_dscnt 0x6
	v_add_f64_e32 v[20:21], v[20:21], v[38:39]
	s_wait_dscnt 0x4
	v_add_f64_e32 v[10:11], v[10:11], v[32:33]
	v_cndmask_b32_e32 v24, v46, v24, vcc_lo
	v_add_f64_e32 v[18:19], v[18:19], v[30:31]
	s_wait_dscnt 0x1
	v_add_f64_e32 v[12:13], v[12:13], v[36:37]
	s_wait_dscnt 0x0
	v_add_f64_e32 v[14:15], v[14:15], v[40:41]
	v_lshlrev_b32_e32 v41, 2, v24
	ds_bpermute_b32 v28, v41, v0
	ds_bpermute_b32 v29, v41, v1
	;; [unrolled: 1-line block ×10, first 2 shown]
	s_wait_dscnt 0x8
	v_add_f64_e32 v[0:1], v[0:1], v[28:29]
	s_wait_dscnt 0x6
	v_dual_add_f64 v[16:17], v[16:17], v[24:25] :: v_dual_bitop2_b32 v24, 4, v46 bitop3:0x14
	ds_bpermute_b32 v36, v41, v12
	ds_bpermute_b32 v37, v41, v13
	;; [unrolled: 1-line block ×3, first 2 shown]
	v_cmp_gt_i32_e32 vcc_lo, 32, v24
	s_wait_dscnt 0x7
	v_add_f64_e32 v[20:21], v[20:21], v[38:39]
	s_wait_dscnt 0x5
	v_add_f64_e32 v[10:11], v[10:11], v[32:33]
	v_cndmask_b32_e32 v24, v46, v24, vcc_lo
	v_add_f64_e32 v[22:23], v[22:23], v[34:35]
	s_wait_dscnt 0x1
	v_add_f64_e32 v[12:13], v[12:13], v[36:37]
	ds_bpermute_b32 v34, v41, v22
	ds_bpermute_b32 v35, v41, v23
	;; [unrolled: 1-line block ×3, first 2 shown]
	s_wait_dscnt 0x0
	v_add_f64_e32 v[14:15], v[14:15], v[40:41]
	v_dual_add_f64 v[22:23], v[22:23], v[34:35] :: v_dual_lshlrev_b32 v41, 2, v24
	ds_bpermute_b32 v24, v41, v16
	ds_bpermute_b32 v25, v41, v17
	;; [unrolled: 1-line block ×10, first 2 shown]
	s_wait_dscnt 0x8
	v_add_f64_e32 v[16:17], v[16:17], v[24:25]
	s_wait_dscnt 0x6
	v_dual_add_f64 v[24:25], v[0:1], v[28:29] :: v_dual_bitop2_b32 v0, 2, v46 bitop3:0x14
	ds_bpermute_b32 v40, v41, v14
	ds_bpermute_b32 v34, v41, v22
	v_cmp_gt_i32_e32 vcc_lo, 32, v0
	s_wait_dscnt 0x6
	v_add_f64_e32 v[20:21], v[20:21], v[38:39]
	ds_bpermute_b32 v35, v41, v23
	v_cndmask_b32_e32 v0, v46, v0, vcc_lo
	v_add_f64_e32 v[18:19], v[18:19], v[30:31]
	ds_bpermute_b32 v30, v41, v18
	ds_bpermute_b32 v31, v41, v19
	;; [unrolled: 1-line block ×3, first 2 shown]
	s_wait_dscnt 0x1
	v_add_f64_e32 v[18:19], v[18:19], v[30:31]
	v_add_f64_e32 v[30:31], v[10:11], v[32:33]
	;; [unrolled: 1-line block ×4, first 2 shown]
	s_wait_dscnt 0x0
	v_add_f64_e32 v[36:37], v[14:15], v[40:41]
	v_lshlrev_b32_e32 v22, 2, v0
	ds_bpermute_b32 v42, v22, v20
	ds_bpermute_b32 v43, v22, v21
	;; [unrolled: 1-line block ×16, first 2 shown]
	s_wait_dscnt 0xc
	v_add_f64_e32 v[0:1], v[16:17], v[0:1]
	s_wait_dscnt 0x7
	v_add_f64_e32 v[22:23], v[30:31], v[14:15]
	v_add_f64_e32 v[14:15], v[20:21], v[42:43]
	s_wait_dscnt 0x0
	v_dual_add_f64 v[16:17], v[36:37], v[44:45] :: v_dual_bitop2_b32 v20, 1, v46 bitop3:0x14
	s_delay_alu instid0(VALU_DEP_1)
	v_cmp_gt_i32_e32 vcc_lo, 32, v20
	v_add_f64_e32 v[28:29], v[24:25], v[10:11]
	v_add_f64_e32 v[10:11], v[18:19], v[12:13]
	;; [unrolled: 1-line block ×4, first 2 shown]
	v_cndmask_b32_e32 v20, v46, v20, vcc_lo
	v_cmp_eq_u32_e32 vcc_lo, 63, v27
	s_delay_alu instid0(VALU_DEP_2)
	v_lshlrev_b32_e32 v35, 2, v20
	ds_bpermute_b32 v20, v35, v0
	ds_bpermute_b32 v21, v35, v1
	;; [unrolled: 1-line block ×16, first 2 shown]
	s_and_b32 exec_lo, exec_lo, vcc_lo
	s_cbranch_execz .LBB169_8
; %bb.36:
	s_wait_dscnt 0x7
	v_add_f64_e32 v[28:29], v[28:29], v[40:41]
	v_add_f64_e32 v[38:39], v[22:23], v[38:39]
	s_wait_dscnt 0x1
	v_add_f64_e32 v[36:37], v[18:19], v[36:37]
	s_wait_dscnt 0x0
	v_add_f64_e32 v[34:35], v[16:17], v[34:35]
	v_add_f64_e32 v[0:1], v[0:1], v[20:21]
	;; [unrolled: 1-line block ×5, first 2 shown]
	v_cmp_eq_f64_e32 vcc_lo, 0, v[2:3]
	v_cmp_eq_f64_e64 s2, 0, v[4:5]
	s_load_b64 s[0:1], s[0:1], 0x60
	v_mul_f64_e64 v[22:23], v[28:29], -v[8:9]
	v_mul_f64_e32 v[24:25], v[6:7], v[28:29]
	v_mul_f64_e64 v[18:19], v[38:39], -v[8:9]
	v_mul_f64_e32 v[20:21], v[6:7], v[38:39]
	;; [unrolled: 2-line block ×4, first 2 shown]
	s_and_b32 s2, vcc_lo, s2
	v_fmac_f64_e32 v[22:23], v[6:7], v[0:1]
	v_fmac_f64_e32 v[24:25], v[8:9], v[0:1]
	;; [unrolled: 1-line block ×8, first 2 shown]
	v_lshlrev_b32_e32 v0, 2, v26
	s_and_saveexec_b32 s3, s2
	s_delay_alu instid0(SALU_CYCLE_1)
	s_xor_b32 s2, exec_lo, s3
	s_cbranch_execz .LBB169_38
; %bb.37:
	s_wait_kmcnt 0x0
	s_clause 0x3
	global_store_b128 v0, v[22:25], s[0:1] scale_offset
	global_store_b128 v0, v[18:21], s[0:1] offset:16 scale_offset
	global_store_b128 v0, v[14:17], s[0:1] offset:32 scale_offset
	;; [unrolled: 1-line block ×3, first 2 shown]
                                        ; implicit-def: $vgpr4_vgpr5
                                        ; implicit-def: $vgpr22_vgpr23
                                        ; implicit-def: $vgpr0
                                        ; implicit-def: $vgpr18_vgpr19
                                        ; implicit-def: $vgpr14_vgpr15
                                        ; implicit-def: $vgpr10_vgpr11
.LBB169_38:
	s_wait_xcnt 0x0
	s_and_not1_saveexec_b32 s2, s2
	s_cbranch_execz .LBB169_8
; %bb.39:
	s_wait_kmcnt 0x0
	s_clause 0x3
	global_load_b128 v[6:9], v0, s[0:1] scale_offset
	global_load_b128 v[26:29], v0, s[0:1] offset:16 scale_offset
	global_load_b128 v[30:33], v0, s[0:1] offset:32 scale_offset
	global_load_b128 v[34:37], v0, s[0:1] offset:48 scale_offset
	s_wait_loadcnt 0x3
	v_fmac_f64_e32 v[22:23], v[2:3], v[6:7]
	v_fmac_f64_e32 v[24:25], v[4:5], v[6:7]
	s_wait_loadcnt 0x2
	v_fmac_f64_e32 v[18:19], v[2:3], v[26:27]
	v_fmac_f64_e32 v[20:21], v[4:5], v[26:27]
	;; [unrolled: 3-line block ×4, first 2 shown]
	v_fma_f64 v[22:23], -v[4:5], v[8:9], v[22:23]
	v_fmac_f64_e32 v[24:25], v[2:3], v[8:9]
	v_fma_f64 v[18:19], -v[4:5], v[28:29], v[18:19]
	v_fmac_f64_e32 v[20:21], v[2:3], v[28:29]
	;; [unrolled: 2-line block ×4, first 2 shown]
	s_clause 0x3
	global_store_b128 v0, v[22:25], s[0:1] scale_offset
	global_store_b128 v0, v[18:21], s[0:1] offset:16 scale_offset
	global_store_b128 v0, v[14:17], s[0:1] offset:32 scale_offset
	;; [unrolled: 1-line block ×3, first 2 shown]
	s_sendmsg sendmsg(MSG_DEALLOC_VGPRS)
	s_endpgm
	.section	.rodata,"a",@progbits
	.p2align	6, 0x0
	.amdhsa_kernel _ZN9rocsparseL18bsrxmvn_4x4_kernelILj128ELj64E21rocsparse_complex_numIdEiiS1_IfES2_S2_EEvT3_20rocsparse_direction_NS_24const_host_device_scalarIT1_EES4_PKS4_PKT2_SD_SA_PKT4_PKT5_S8_PT6_21rocsparse_index_base_b
		.amdhsa_group_segment_fixed_size 0
		.amdhsa_private_segment_fixed_size 0
		.amdhsa_kernarg_size 112
		.amdhsa_user_sgpr_count 2
		.amdhsa_user_sgpr_dispatch_ptr 0
		.amdhsa_user_sgpr_queue_ptr 0
		.amdhsa_user_sgpr_kernarg_segment_ptr 1
		.amdhsa_user_sgpr_dispatch_id 0
		.amdhsa_user_sgpr_kernarg_preload_length 0
		.amdhsa_user_sgpr_kernarg_preload_offset 0
		.amdhsa_user_sgpr_private_segment_size 0
		.amdhsa_wavefront_size32 1
		.amdhsa_uses_dynamic_stack 0
		.amdhsa_enable_private_segment 0
		.amdhsa_system_sgpr_workgroup_id_x 1
		.amdhsa_system_sgpr_workgroup_id_y 0
		.amdhsa_system_sgpr_workgroup_id_z 0
		.amdhsa_system_sgpr_workgroup_info 0
		.amdhsa_system_vgpr_workitem_id 0
		.amdhsa_next_free_vgpr 140
		.amdhsa_next_free_sgpr 14
		.amdhsa_named_barrier_count 0
		.amdhsa_reserve_vcc 1
		.amdhsa_float_round_mode_32 0
		.amdhsa_float_round_mode_16_64 0
		.amdhsa_float_denorm_mode_32 3
		.amdhsa_float_denorm_mode_16_64 3
		.amdhsa_fp16_overflow 0
		.amdhsa_memory_ordered 1
		.amdhsa_forward_progress 1
		.amdhsa_inst_pref_size 75
		.amdhsa_round_robin_scheduling 0
		.amdhsa_exception_fp_ieee_invalid_op 0
		.amdhsa_exception_fp_denorm_src 0
		.amdhsa_exception_fp_ieee_div_zero 0
		.amdhsa_exception_fp_ieee_overflow 0
		.amdhsa_exception_fp_ieee_underflow 0
		.amdhsa_exception_fp_ieee_inexact 0
		.amdhsa_exception_int_div_zero 0
	.end_amdhsa_kernel
	.section	.text._ZN9rocsparseL18bsrxmvn_4x4_kernelILj128ELj64E21rocsparse_complex_numIdEiiS1_IfES2_S2_EEvT3_20rocsparse_direction_NS_24const_host_device_scalarIT1_EES4_PKS4_PKT2_SD_SA_PKT4_PKT5_S8_PT6_21rocsparse_index_base_b,"axG",@progbits,_ZN9rocsparseL18bsrxmvn_4x4_kernelILj128ELj64E21rocsparse_complex_numIdEiiS1_IfES2_S2_EEvT3_20rocsparse_direction_NS_24const_host_device_scalarIT1_EES4_PKS4_PKT2_SD_SA_PKT4_PKT5_S8_PT6_21rocsparse_index_base_b,comdat
.Lfunc_end169:
	.size	_ZN9rocsparseL18bsrxmvn_4x4_kernelILj128ELj64E21rocsparse_complex_numIdEiiS1_IfES2_S2_EEvT3_20rocsparse_direction_NS_24const_host_device_scalarIT1_EES4_PKS4_PKT2_SD_SA_PKT4_PKT5_S8_PT6_21rocsparse_index_base_b, .Lfunc_end169-_ZN9rocsparseL18bsrxmvn_4x4_kernelILj128ELj64E21rocsparse_complex_numIdEiiS1_IfES2_S2_EEvT3_20rocsparse_direction_NS_24const_host_device_scalarIT1_EES4_PKS4_PKT2_SD_SA_PKT4_PKT5_S8_PT6_21rocsparse_index_base_b
                                        ; -- End function
	.set _ZN9rocsparseL18bsrxmvn_4x4_kernelILj128ELj64E21rocsparse_complex_numIdEiiS1_IfES2_S2_EEvT3_20rocsparse_direction_NS_24const_host_device_scalarIT1_EES4_PKS4_PKT2_SD_SA_PKT4_PKT5_S8_PT6_21rocsparse_index_base_b.num_vgpr, 140
	.set _ZN9rocsparseL18bsrxmvn_4x4_kernelILj128ELj64E21rocsparse_complex_numIdEiiS1_IfES2_S2_EEvT3_20rocsparse_direction_NS_24const_host_device_scalarIT1_EES4_PKS4_PKT2_SD_SA_PKT4_PKT5_S8_PT6_21rocsparse_index_base_b.num_agpr, 0
	.set _ZN9rocsparseL18bsrxmvn_4x4_kernelILj128ELj64E21rocsparse_complex_numIdEiiS1_IfES2_S2_EEvT3_20rocsparse_direction_NS_24const_host_device_scalarIT1_EES4_PKS4_PKT2_SD_SA_PKT4_PKT5_S8_PT6_21rocsparse_index_base_b.numbered_sgpr, 14
	.set _ZN9rocsparseL18bsrxmvn_4x4_kernelILj128ELj64E21rocsparse_complex_numIdEiiS1_IfES2_S2_EEvT3_20rocsparse_direction_NS_24const_host_device_scalarIT1_EES4_PKS4_PKT2_SD_SA_PKT4_PKT5_S8_PT6_21rocsparse_index_base_b.num_named_barrier, 0
	.set _ZN9rocsparseL18bsrxmvn_4x4_kernelILj128ELj64E21rocsparse_complex_numIdEiiS1_IfES2_S2_EEvT3_20rocsparse_direction_NS_24const_host_device_scalarIT1_EES4_PKS4_PKT2_SD_SA_PKT4_PKT5_S8_PT6_21rocsparse_index_base_b.private_seg_size, 0
	.set _ZN9rocsparseL18bsrxmvn_4x4_kernelILj128ELj64E21rocsparse_complex_numIdEiiS1_IfES2_S2_EEvT3_20rocsparse_direction_NS_24const_host_device_scalarIT1_EES4_PKS4_PKT2_SD_SA_PKT4_PKT5_S8_PT6_21rocsparse_index_base_b.uses_vcc, 1
	.set _ZN9rocsparseL18bsrxmvn_4x4_kernelILj128ELj64E21rocsparse_complex_numIdEiiS1_IfES2_S2_EEvT3_20rocsparse_direction_NS_24const_host_device_scalarIT1_EES4_PKS4_PKT2_SD_SA_PKT4_PKT5_S8_PT6_21rocsparse_index_base_b.uses_flat_scratch, 0
	.set _ZN9rocsparseL18bsrxmvn_4x4_kernelILj128ELj64E21rocsparse_complex_numIdEiiS1_IfES2_S2_EEvT3_20rocsparse_direction_NS_24const_host_device_scalarIT1_EES4_PKS4_PKT2_SD_SA_PKT4_PKT5_S8_PT6_21rocsparse_index_base_b.has_dyn_sized_stack, 0
	.set _ZN9rocsparseL18bsrxmvn_4x4_kernelILj128ELj64E21rocsparse_complex_numIdEiiS1_IfES2_S2_EEvT3_20rocsparse_direction_NS_24const_host_device_scalarIT1_EES4_PKS4_PKT2_SD_SA_PKT4_PKT5_S8_PT6_21rocsparse_index_base_b.has_recursion, 0
	.set _ZN9rocsparseL18bsrxmvn_4x4_kernelILj128ELj64E21rocsparse_complex_numIdEiiS1_IfES2_S2_EEvT3_20rocsparse_direction_NS_24const_host_device_scalarIT1_EES4_PKS4_PKT2_SD_SA_PKT4_PKT5_S8_PT6_21rocsparse_index_base_b.has_indirect_call, 0
	.section	.AMDGPU.csdata,"",@progbits
; Kernel info:
; codeLenInByte = 9584
; TotalNumSgprs: 16
; NumVgprs: 140
; ScratchSize: 0
; MemoryBound: 0
; FloatMode: 240
; IeeeMode: 1
; LDSByteSize: 0 bytes/workgroup (compile time only)
; SGPRBlocks: 0
; VGPRBlocks: 8
; NumSGPRsForWavesPerEU: 16
; NumVGPRsForWavesPerEU: 140
; NamedBarCnt: 0
; Occupancy: 7
; WaveLimiterHint : 1
; COMPUTE_PGM_RSRC2:SCRATCH_EN: 0
; COMPUTE_PGM_RSRC2:USER_SGPR: 2
; COMPUTE_PGM_RSRC2:TRAP_HANDLER: 0
; COMPUTE_PGM_RSRC2:TGID_X_EN: 1
; COMPUTE_PGM_RSRC2:TGID_Y_EN: 0
; COMPUTE_PGM_RSRC2:TGID_Z_EN: 0
; COMPUTE_PGM_RSRC2:TIDIG_COMP_CNT: 0
	.section	.text._ZN9rocsparseL18bsrxmvn_4x4_kernelILj128ELj4E21rocsparse_complex_numIdEliS1_IfES2_S2_EEvT3_20rocsparse_direction_NS_24const_host_device_scalarIT1_EES4_PKS4_PKT2_SD_SA_PKT4_PKT5_S8_PT6_21rocsparse_index_base_b,"axG",@progbits,_ZN9rocsparseL18bsrxmvn_4x4_kernelILj128ELj4E21rocsparse_complex_numIdEliS1_IfES2_S2_EEvT3_20rocsparse_direction_NS_24const_host_device_scalarIT1_EES4_PKS4_PKT2_SD_SA_PKT4_PKT5_S8_PT6_21rocsparse_index_base_b,comdat
	.globl	_ZN9rocsparseL18bsrxmvn_4x4_kernelILj128ELj4E21rocsparse_complex_numIdEliS1_IfES2_S2_EEvT3_20rocsparse_direction_NS_24const_host_device_scalarIT1_EES4_PKS4_PKT2_SD_SA_PKT4_PKT5_S8_PT6_21rocsparse_index_base_b ; -- Begin function _ZN9rocsparseL18bsrxmvn_4x4_kernelILj128ELj4E21rocsparse_complex_numIdEliS1_IfES2_S2_EEvT3_20rocsparse_direction_NS_24const_host_device_scalarIT1_EES4_PKS4_PKT2_SD_SA_PKT4_PKT5_S8_PT6_21rocsparse_index_base_b
	.p2align	8
	.type	_ZN9rocsparseL18bsrxmvn_4x4_kernelILj128ELj4E21rocsparse_complex_numIdEliS1_IfES2_S2_EEvT3_20rocsparse_direction_NS_24const_host_device_scalarIT1_EES4_PKS4_PKT2_SD_SA_PKT4_PKT5_S8_PT6_21rocsparse_index_base_b,@function
_ZN9rocsparseL18bsrxmvn_4x4_kernelILj128ELj4E21rocsparse_complex_numIdEliS1_IfES2_S2_EEvT3_20rocsparse_direction_NS_24const_host_device_scalarIT1_EES4_PKS4_PKT2_SD_SA_PKT4_PKT5_S8_PT6_21rocsparse_index_base_b: ; @_ZN9rocsparseL18bsrxmvn_4x4_kernelILj128ELj4E21rocsparse_complex_numIdEliS1_IfES2_S2_EEvT3_20rocsparse_direction_NS_24const_host_device_scalarIT1_EES4_PKS4_PKT2_SD_SA_PKT4_PKT5_S8_PT6_21rocsparse_index_base_b
; %bb.0:
	s_clause 0x1
	s_load_b64 s[12:13], s[0:1], 0x68
	s_load_b64 s[2:3], s[0:1], 0x8
	v_mov_b32_e32 v1, 0
	s_add_nc_u64 s[4:5], s[0:1], 8
	s_load_b64 s[6:7], s[0:1], 0x50
	s_wait_kmcnt 0x0
	s_bitcmp1_b32 s13, 0
	s_cselect_b32 s3, s5, s3
	s_cselect_b32 s2, s4, s2
	flat_load_b128 v[6:9], v1, s[2:3]
	s_wait_xcnt 0x0
	s_add_nc_u64 s[2:3], s[0:1], 0x50
	s_delay_alu instid0(SALU_CYCLE_1)
	s_cselect_b32 s3, s3, s7
	s_cselect_b32 s2, s2, s6
	flat_load_b128 v[2:5], v1, s[2:3]
	s_wait_loadcnt_dscnt 0x101
	v_cmp_eq_f64_e32 vcc_lo, 0, v[6:7]
	s_wait_xcnt 0x0
	v_cmp_eq_f64_e64 s2, 0, v[8:9]
	s_and_b32 s4, vcc_lo, s2
	s_mov_b32 s2, -1
	s_and_saveexec_b32 s3, s4
	s_cbranch_execz .LBB170_2
; %bb.1:
	s_wait_loadcnt_dscnt 0x0
	v_cmp_neq_f64_e32 vcc_lo, 1.0, v[2:3]
	v_cmp_neq_f64_e64 s2, 0, v[4:5]
	s_or_b32 s2, vcc_lo, s2
	s_delay_alu instid0(SALU_CYCLE_1)
	s_or_not1_b32 s2, s2, exec_lo
.LBB170_2:
	s_or_b32 exec_lo, exec_lo, s3
	s_and_saveexec_b32 s3, s2
	s_cbranch_execz .LBB170_8
; %bb.3:
	s_clause 0x1
	s_load_b64 s[4:5], s[0:1], 0x20
	s_load_b64 s[2:3], s[0:1], 0x0
	s_bfe_u32 s6, ttmp6, 0x4000c
	s_and_b32 s7, ttmp6, 15
	s_add_co_i32 s6, s6, 1
	s_getreg_b32 s8, hwreg(HW_REG_IB_STS2, 6, 4)
	s_mul_i32 s6, ttmp9, s6
	v_lshrrev_b32_e32 v1, 2, v0
	s_add_co_i32 s7, s7, s6
	s_cmp_eq_u32 s8, 0
	s_cselect_b32 s6, ttmp9, s7
	s_delay_alu instid0(VALU_DEP_1) | instid1(SALU_CYCLE_1)
	v_lshl_or_b32 v26, s6, 5, v1
	s_mov_b32 s6, 0
	s_wait_kmcnt 0x0
	s_cmp_lg_u64 s[4:5], 0
	s_cbranch_scc0 .LBB170_9
; %bb.4:
	s_load_b32 s6, s[0:1], 0x18
	s_mov_b32 s7, 0
                                        ; implicit-def: $vgpr1
	s_wait_kmcnt 0x0
	v_cmp_gt_i32_e32 vcc_lo, s6, v26
	s_mov_b32 s6, 0
	s_and_saveexec_b32 s8, vcc_lo
	s_delay_alu instid0(SALU_CYCLE_1)
	s_xor_b32 s8, exec_lo, s8
	s_cbranch_execz .LBB170_6
; %bb.5:
	global_load_b32 v1, v26, s[4:5] scale_offset
	s_mov_b32 s6, exec_lo
	s_wait_loadcnt 0x0
	v_subrev_nc_u32_e32 v1, s12, v1
.LBB170_6:
	s_or_b32 exec_lo, exec_lo, s8
	s_delay_alu instid0(SALU_CYCLE_1)
	s_and_b32 vcc_lo, exec_lo, s7
	s_cbranch_vccz .LBB170_10
.LBB170_7:
	v_cmp_gt_i32_e32 vcc_lo, s2, v26
	s_and_not1_b32 s2, s6, exec_lo
	s_and_b32 s4, vcc_lo, exec_lo
	s_delay_alu instid0(SALU_CYCLE_1) | instskip(NEXT) | instid1(SALU_CYCLE_1)
	s_or_b32 s6, s2, s4
	s_and_b32 exec_lo, exec_lo, s6
	s_cbranch_execnz .LBB170_11
.LBB170_8:
	s_sendmsg sendmsg(MSG_DEALLOC_VGPRS)
	s_endpgm
.LBB170_9:
                                        ; implicit-def: $vgpr1
	s_cbranch_execnz .LBB170_7
.LBB170_10:
	s_delay_alu instid0(VALU_DEP_1)
	v_mov_b32_e32 v26, v1
	s_and_b32 exec_lo, exec_lo, s6
	s_cbranch_execz .LBB170_8
.LBB170_11:
	s_load_b256 s[4:11], s[0:1], 0x28
	s_mov_b32 s13, 0
	v_dual_mov_b32 v1, 0 :: v_dual_bitop2_b32 v0, 3, v0 bitop3:0x40
	s_wait_kmcnt 0x0
	s_cmp_eq_u64 s[6:7], 0
	global_load_b64 v[34:35], v26, s[4:5] scale_offset
	s_cselect_b32 vcc_lo, -1, 0
	v_ashrrev_i32_e32 v27, 31, v26
	s_cmp_eq_u32 s3, 1
	s_delay_alu instid0(VALU_DEP_1) | instskip(NEXT) | instid1(VALU_DEP_1)
	v_lshlrev_b64_e32 v[10:11], 3, v[26:27]
	v_add_nc_u64_e32 v[12:13], s[4:5], v[10:11]
	v_add_nc_u64_e32 v[10:11], s[6:7], v[10:11]
	s_wait_xcnt 0x0
	s_load_b64 s[4:5], s[0:1], 0x48
	s_delay_alu instid0(VALU_DEP_2) | instskip(NEXT) | instid1(VALU_DEP_1)
	v_add_nc_u64_e32 v[12:13], 8, v[12:13]
	v_dual_cndmask_b32 v11, v11, v13 :: v_dual_cndmask_b32 v10, v10, v12
	global_load_b64 v[10:11], v[10:11], off
	s_wait_loadcnt 0x1
	v_sub_nc_u64_e64 v[12:13], v[34:35], s[12:13]
	s_delay_alu instid0(VALU_DEP_1) | instskip(NEXT) | instid1(VALU_DEP_1)
	v_add_nc_u64_e32 v[12:13], v[12:13], v[0:1]
	v_lshlrev_b64_e32 v[16:17], 7, v[12:13]
	s_delay_alu instid0(VALU_DEP_1) | instskip(SKIP_2) | instid1(VALU_DEP_1)
	v_add_nc_u64_e32 v[16:17], s[10:11], v[16:17]
	s_wait_loadcnt 0x0
	v_sub_nc_u64_e64 v[14:15], v[10:11], s[12:13]
	v_cmp_lt_i64_e64 s2, v[12:13], v[14:15]
	s_cbranch_scc1 .LBB170_23
; %bb.12:
	v_mov_b64_e32 v[10:11], 0
	v_mov_b64_e32 v[28:29], 0
	;; [unrolled: 1-line block ×8, first 2 shown]
	s_and_saveexec_b32 s3, s2
	s_cbranch_execz .LBB170_22
; %bb.13:
	v_dual_mov_b32 v11, v1 :: v_dual_bitop2_b32 v10, 4, v0 bitop3:0x54
	v_sub_nc_u64_e32 v[18:19], s[12:13], v[0:1]
	v_not_b32_e32 v21, v35
	v_not_b32_e32 v20, v34
	v_mov_b64_e32 v[24:25], 0
	v_sub_nc_u64_e64 v[10:11], v[10:11], s[12:13]
	v_mov_b64_e32 v[22:23], 0
	v_mov_b64_e32 v[32:33], 0
	v_add_nc_u64_e32 v[18:19], v[18:19], v[20:21]
	v_mov_b64_e32 v[20:21], 0
	v_mov_b64_e32 v[30:31], 0
	v_mov_b64_e32 v[28:29], 0
	v_add_nc_u64_e32 v[10:11], v[10:11], v[34:35]
	v_mov_b64_e32 v[36:37], v[16:17]
	v_mov_b64_e32 v[38:39], v[12:13]
	s_mov_b32 s6, exec_lo
	s_delay_alu instid0(VALU_DEP_3) | instskip(NEXT) | instid1(VALU_DEP_1)
	v_max_i64 v[10:11], v[10:11], v[14:15]
	v_add_nc_u64_e32 v[40:41], v[18:19], v[10:11]
	v_mov_b64_e32 v[18:19], 0
	v_mov_b64_e32 v[10:11], 0
	s_delay_alu instid0(VALU_DEP_3) | instskip(NEXT) | instid1(VALU_DEP_1)
	v_dual_mov_b32 v45, 0 :: v_dual_bitop2_b32 v44, 12, v40 bitop3:0x40
	v_cmpx_ne_u64_e32 12, v[44:45]
	s_cbranch_execz .LBB170_17
; %bb.14:
	v_lshrrev_b32_e32 v10, 2, v40
	v_mov_b64_e32 v[28:29], 0
	v_mov_b64_e32 v[18:19], 0
	v_mov_b64_e32 v[30:31], 0
	v_mov_b64_e32 v[32:33], 0
	v_add_nc_u32_e32 v20, 1, v10
	v_mov_b64_e32 v[10:11], 0
	v_mov_b64_e32 v[22:23], 0
	;; [unrolled: 1-line block ×4, first 2 shown]
	v_and_b32_e32 v44, 3, v20
	v_mov_b64_e32 v[20:21], 0
	v_mov_b64_e32 v[36:37], v[16:17]
	v_lshl_add_u64 v[42:43], v[12:13], 2, s[8:9]
	s_mov_b32 s7, 0
	v_sub_nc_u64_e32 v[44:45], 0, v[44:45]
.LBB170_15:                             ; =>This Inner Loop Header: Depth=1
	global_load_b32 v27, v[42:43], off
	s_clause 0x3
	global_load_b128 v[46:49], v[36:37], off
	global_load_b128 v[50:53], v[36:37], off offset:32
	global_load_b128 v[54:57], v[36:37], off offset:64
	;; [unrolled: 1-line block ×3, first 2 shown]
	v_add_nc_u64_e32 v[44:45], 1, v[44:45]
	v_add_nc_u64_e32 v[38:39], 4, v[38:39]
	s_wait_xcnt 0x4
	v_add_nc_u64_e32 v[42:43], 16, v[42:43]
	s_delay_alu instid0(VALU_DEP_3)
	v_cmp_eq_u64_e32 vcc_lo, 0, v[44:45]
	s_or_b32 s7, vcc_lo, s7
	s_wait_loadcnt 0x4
	v_subrev_nc_u32_e32 v27, s12, v27
	s_wait_loadcnt 0x3
	v_cvt_f64_f32_e32 v[94:95], v46
	v_cvt_f64_f32_e32 v[46:47], v47
	s_wait_loadcnt 0x2
	v_cvt_f64_f32_e32 v[96:97], v50
	v_cvt_f64_f32_e32 v[50:51], v51
	v_lshlrev_b32_e32 v27, 2, v27
	s_wait_loadcnt 0x1
	v_cvt_f64_f32_e32 v[98:99], v54
	v_cvt_f64_f32_e32 v[54:55], v55
	s_wait_loadcnt 0x0
	v_cvt_f64_f32_e32 v[100:101], v58
	v_cvt_f64_f32_e32 v[58:59], v59
	s_wait_kmcnt 0x0
	s_clause 0x1
	global_load_b128 v[62:65], v27, s[4:5] scale_offset
	global_load_b128 v[66:69], v27, s[4:5] offset:16 scale_offset
	s_clause 0x3
	global_load_b128 v[70:73], v[36:37], off offset:16
	global_load_b128 v[74:77], v[36:37], off offset:48
	;; [unrolled: 1-line block ×4, first 2 shown]
	s_clause 0x1
	global_load_b128 v[86:89], v27, s[4:5] offset:32 scale_offset
	global_load_b128 v[90:93], v27, s[4:5] offset:48 scale_offset
	v_cvt_f64_f32_e32 v[102:103], v52
	v_cvt_f64_f32_e32 v[52:53], v53
	;; [unrolled: 1-line block ×6, first 2 shown]
	s_wait_xcnt 0x2
	v_add_nc_u64_e32 v[36:37], 0x200, v[36:37]
	s_wait_loadcnt 0x7
	v_fmac_f64_e32 v[28:29], v[94:95], v[62:63]
	v_fmac_f64_e32 v[10:11], v[46:47], v[62:63]
	v_fmac_f64_e32 v[30:31], v[96:97], v[62:63]
	v_fmac_f64_e32 v[18:19], v[50:51], v[62:63]
	v_fmac_f64_e32 v[32:33], v[98:99], v[62:63]
	v_fmac_f64_e32 v[20:21], v[54:55], v[62:63]
	v_fmac_f64_e32 v[24:25], v[100:101], v[62:63]
	v_fmac_f64_e32 v[22:23], v[58:59], v[62:63]
	v_cvt_f64_f32_e32 v[62:63], v48
	v_cvt_f64_f32_e32 v[48:49], v49
	v_fma_f64 v[28:29], -v[46:47], v[64:65], v[28:29]
	v_fmac_f64_e32 v[10:11], v[94:95], v[64:65]
	v_fma_f64 v[30:31], -v[50:51], v[64:65], v[30:31]
	v_fmac_f64_e32 v[18:19], v[96:97], v[64:65]
	;; [unrolled: 2-line block ×4, first 2 shown]
	s_wait_loadcnt 0x5
	v_cvt_f64_f32_e32 v[46:47], v70
	v_cvt_f64_f32_e32 v[50:51], v71
	s_wait_loadcnt 0x4
	v_cvt_f64_f32_e32 v[54:55], v74
	v_cvt_f64_f32_e32 v[58:59], v75
	s_wait_loadcnt 0x3
	v_cvt_f64_f32_e32 v[64:65], v78
	s_wait_loadcnt 0x2
	v_cvt_f64_f32_e32 v[70:71], v82
	v_cvt_f64_f32_e32 v[74:75], v83
	v_fmac_f64_e32 v[28:29], v[62:63], v[66:67]
	v_fmac_f64_e32 v[10:11], v[48:49], v[66:67]
	v_fmac_f64_e32 v[30:31], v[102:103], v[66:67]
	v_fmac_f64_e32 v[18:19], v[52:53], v[66:67]
	v_fmac_f64_e32 v[32:33], v[104:105], v[66:67]
	v_fmac_f64_e32 v[20:21], v[56:57], v[66:67]
	v_fmac_f64_e32 v[24:25], v[106:107], v[66:67]
	v_fmac_f64_e32 v[22:23], v[60:61], v[66:67]
	v_cvt_f64_f32_e32 v[66:67], v79
	v_fma_f64 v[28:29], -v[48:49], v[68:69], v[28:29]
	v_fmac_f64_e32 v[10:11], v[62:63], v[68:69]
	v_fma_f64 v[30:31], -v[52:53], v[68:69], v[30:31]
	v_fmac_f64_e32 v[18:19], v[102:103], v[68:69]
	;; [unrolled: 2-line block ×4, first 2 shown]
	v_cvt_f64_f32_e32 v[48:49], v72
	v_cvt_f64_f32_e32 v[52:53], v73
	;; [unrolled: 1-line block ×8, first 2 shown]
	s_wait_loadcnt 0x1
	v_fmac_f64_e32 v[28:29], v[46:47], v[86:87]
	v_fmac_f64_e32 v[10:11], v[50:51], v[86:87]
	;; [unrolled: 1-line block ×8, first 2 shown]
	v_fma_f64 v[28:29], -v[50:51], v[88:89], v[28:29]
	v_fmac_f64_e32 v[10:11], v[46:47], v[88:89]
	v_fma_f64 v[30:31], -v[58:59], v[88:89], v[30:31]
	v_fmac_f64_e32 v[18:19], v[54:55], v[88:89]
	;; [unrolled: 2-line block ×4, first 2 shown]
	s_wait_loadcnt 0x0
	v_fmac_f64_e32 v[28:29], v[48:49], v[90:91]
	v_fmac_f64_e32 v[10:11], v[52:53], v[90:91]
	;; [unrolled: 1-line block ×8, first 2 shown]
	v_fma_f64 v[28:29], -v[52:53], v[92:93], v[28:29]
	v_fmac_f64_e32 v[10:11], v[48:49], v[92:93]
	v_fma_f64 v[30:31], -v[60:61], v[92:93], v[30:31]
	v_fmac_f64_e32 v[18:19], v[56:57], v[92:93]
	;; [unrolled: 2-line block ×4, first 2 shown]
	s_and_not1_b32 exec_lo, exec_lo, s7
	s_cbranch_execnz .LBB170_15
; %bb.16:
	s_or_b32 exec_lo, exec_lo, s7
.LBB170_17:
	s_delay_alu instid0(SALU_CYCLE_1) | instskip(NEXT) | instid1(SALU_CYCLE_1)
	s_or_b32 exec_lo, exec_lo, s6
	s_mov_b32 s6, exec_lo
	v_cmpx_lt_u64_e32 11, v[40:41]
	s_cbranch_execz .LBB170_21
; %bb.18:
	v_lshl_add_u64 v[40:41], v[38:39], 2, s[8:9]
	s_mov_b32 s7, 0
	s_delay_alu instid0(VALU_DEP_1)
	v_add_nc_u64_e32 v[40:41], 32, v[40:41]
.LBB170_19:                             ; =>This Inner Loop Header: Depth=1
	s_clause 0x1
	global_load_b32 v27, v[40:41], off offset:-32
	global_load_b32 v106, v[40:41], off offset:-16
	s_clause 0x3
	global_load_b128 v[42:45], v[36:37], off
	global_load_b128 v[46:49], v[36:37], off offset:32
	global_load_b128 v[50:53], v[36:37], off offset:64
	;; [unrolled: 1-line block ×3, first 2 shown]
	s_clause 0x1
	global_load_b32 v146, v[40:41], off
	global_load_b32 v147, v[40:41], off offset:16
	v_add_nc_u64_e32 v[38:39], 16, v[38:39]
	s_wait_xcnt 0x0
	v_add_nc_u64_e32 v[40:41], 64, v[40:41]
	s_delay_alu instid0(VALU_DEP_2)
	v_cmp_ge_i64_e32 vcc_lo, v[38:39], v[14:15]
	s_or_b32 s7, vcc_lo, s7
	s_wait_loadcnt 0x7
	v_subrev_nc_u32_e32 v27, s12, v27
	s_wait_loadcnt 0x5
	v_cvt_f64_f32_e32 v[130:131], v42
	v_cvt_f64_f32_e32 v[42:43], v43
	s_wait_loadcnt 0x4
	v_cvt_f64_f32_e32 v[132:133], v46
	v_lshlrev_b32_e32 v27, 2, v27
	v_cvt_f64_f32_e32 v[46:47], v47
	s_wait_loadcnt 0x3
	v_cvt_f64_f32_e32 v[134:135], v50
	v_cvt_f64_f32_e32 v[50:51], v51
	s_wait_loadcnt 0x2
	v_cvt_f64_f32_e32 v[136:137], v54
	s_wait_kmcnt 0x0
	s_clause 0x1
	global_load_b128 v[58:61], v27, s[4:5] scale_offset
	global_load_b128 v[62:65], v27, s[4:5] offset:16 scale_offset
	s_clause 0x3
	global_load_b128 v[66:69], v[36:37], off offset:16
	global_load_b128 v[70:73], v[36:37], off offset:48
	;; [unrolled: 1-line block ×4, first 2 shown]
	s_clause 0x1
	global_load_b128 v[82:85], v27, s[4:5] offset:32 scale_offset
	global_load_b128 v[86:89], v27, s[4:5] offset:48 scale_offset
	s_clause 0x3
	global_load_b128 v[90:93], v[36:37], off offset:512
	global_load_b128 v[94:97], v[36:37], off offset:544
	;; [unrolled: 1-line block ×4, first 2 shown]
	s_wait_xcnt 0x4
	v_subrev_nc_u32_e32 v27, s12, v106
	v_cvt_f64_f32_e32 v[54:55], v55
	v_cvt_f64_f32_e32 v[138:139], v48
	;; [unrolled: 1-line block ×7, first 2 shown]
	s_wait_loadcnt 0xb
	v_fmac_f64_e32 v[30:31], v[132:133], v[58:59]
	v_lshlrev_b32_e32 v27, 2, v27
	v_fmac_f64_e32 v[28:29], v[130:131], v[58:59]
	v_fmac_f64_e32 v[18:19], v[46:47], v[58:59]
	;; [unrolled: 1-line block ×7, first 2 shown]
	v_cvt_f64_f32_e32 v[58:59], v44
	v_cvt_f64_f32_e32 v[44:45], v45
	v_fma_f64 v[46:47], -v[46:47], v[60:61], v[30:31]
	s_clause 0x1
	global_load_b128 v[106:109], v27, s[4:5] scale_offset
	global_load_b128 v[110:113], v27, s[4:5] offset:16 scale_offset
	v_fma_f64 v[42:43], -v[42:43], v[60:61], v[28:29]
	v_fmac_f64_e32 v[10:11], v[130:131], v[60:61]
	s_clause 0x3
	global_load_b128 v[114:117], v[36:37], off offset:528
	global_load_b128 v[118:121], v[36:37], off offset:560
	;; [unrolled: 1-line block ×4, first 2 shown]
	v_fmac_f64_e32 v[18:19], v[132:133], v[60:61]
	v_fmac_f64_e32 v[20:21], v[134:135], v[60:61]
	v_fma_f64 v[24:25], -v[54:55], v[60:61], v[24:25]
	v_fmac_f64_e32 v[22:23], v[136:137], v[60:61]
	global_load_b128 v[28:31], v27, s[4:5] offset:32 scale_offset
	s_wait_loadcnt 0xf
	v_cvt_f64_f32_e32 v[130:131], v70
	v_cvt_f64_f32_e32 v[70:71], v71
	s_wait_loadcnt 0xe
	v_cvt_f64_f32_e32 v[132:133], v74
	v_cvt_f64_f32_e32 v[74:75], v75
	;; [unrolled: 3-line block ×3, first 2 shown]
	v_fmac_f64_e32 v[46:47], v[138:139], v[62:63]
	v_fmac_f64_e32 v[42:43], v[58:59], v[62:63]
	;; [unrolled: 1-line block ×7, first 2 shown]
	v_fma_f64 v[144:145], -v[48:49], v[64:65], v[46:47]
	v_fma_f64 v[136:137], -v[44:45], v[64:65], v[42:43]
	global_load_b128 v[42:45], v27, s[4:5] offset:48 scale_offset
	s_wait_xcnt 0x0
	v_subrev_nc_u32_e32 v27, s12, v146
	v_fma_f64 v[32:33], -v[50:51], v[60:61], v[32:33]
	v_fmac_f64_e32 v[10:11], v[58:59], v[64:65]
	v_fmac_f64_e32 v[18:19], v[138:139], v[64:65]
	;; [unrolled: 1-line block ×3, first 2 shown]
	v_dual_fma_f64 v[24:25], -v[56:57], v[64:65], v[24:25] :: v_dual_lshlrev_b32 v27, 2, v27
	v_fmac_f64_e32 v[22:23], v[142:143], v[64:65]
	v_cvt_f64_f32_e32 v[138:139], v72
	v_cvt_f64_f32_e32 v[72:73], v73
	;; [unrolled: 1-line block ×4, first 2 shown]
	s_wait_loadcnt 0xd
	v_fmac_f64_e32 v[144:145], v[130:131], v[82:83]
	v_fmac_f64_e32 v[32:33], v[140:141], v[62:63]
	v_cvt_f64_f32_e32 v[62:63], v66
	v_cvt_f64_f32_e32 v[66:67], v67
	v_fmac_f64_e32 v[18:19], v[70:71], v[82:83]
	v_fmac_f64_e32 v[20:21], v[74:75], v[82:83]
	;; [unrolled: 1-line block ×4, first 2 shown]
	v_cvt_f64_f32_e32 v[140:141], v76
	v_cvt_f64_f32_e32 v[76:77], v77
	v_fma_f64 v[70:71], -v[70:71], v[84:85], v[144:145]
	v_fma_f64 v[32:33], -v[52:53], v[64:65], v[32:33]
	v_fmac_f64_e32 v[136:137], v[62:63], v[82:83]
	v_fmac_f64_e32 v[10:11], v[66:67], v[82:83]
	s_clause 0x3
	global_load_b128 v[46:49], v[36:37], off offset:1024
	global_load_b128 v[50:53], v[36:37], off offset:1056
	;; [unrolled: 1-line block ×4, first 2 shown]
	v_fmac_f64_e32 v[18:19], v[130:131], v[84:85]
	v_fmac_f64_e32 v[20:21], v[132:133], v[84:85]
	v_fma_f64 v[24:25], -v[78:79], v[84:85], v[24:25]
	v_fmac_f64_e32 v[22:23], v[134:135], v[84:85]
	s_wait_loadcnt 0xe
	v_cvt_f64_f32_e32 v[130:131], v94
	v_cvt_f64_f32_e32 v[94:95], v95
	s_wait_loadcnt 0xc
	v_cvt_f64_f32_e32 v[134:135], v102
	v_cvt_f64_f32_e32 v[102:103], v103
	v_fmac_f64_e32 v[70:71], v[138:139], v[86:87]
	v_fmac_f64_e32 v[32:33], v[132:133], v[82:83]
	v_cvt_f64_f32_e32 v[82:83], v68
	v_cvt_f64_f32_e32 v[68:69], v69
	v_fma_f64 v[66:67], -v[66:67], v[84:85], v[136:137]
	v_fmac_f64_e32 v[10:11], v[62:63], v[84:85]
	global_load_b128 v[62:65], v27, s[4:5] scale_offset
	v_fmac_f64_e32 v[18:19], v[72:73], v[86:87]
	v_fmac_f64_e32 v[20:21], v[76:77], v[86:87]
	;; [unrolled: 1-line block ×4, first 2 shown]
	v_cvt_f64_f32_e32 v[132:133], v98
	v_cvt_f64_f32_e32 v[98:99], v99
	v_fma_f64 v[144:145], -v[72:73], v[88:89], v[70:71]
	v_fma_f64 v[32:33], -v[74:75], v[84:85], v[32:33]
	v_fmac_f64_e32 v[66:67], v[82:83], v[86:87]
	v_fmac_f64_e32 v[10:11], v[68:69], v[86:87]
	;; [unrolled: 1-line block ×4, first 2 shown]
	v_fma_f64 v[24:25], -v[80:81], v[88:89], v[24:25]
	v_fmac_f64_e32 v[22:23], v[142:143], v[88:89]
	v_cvt_f64_f32_e32 v[138:139], v96
	v_cvt_f64_f32_e32 v[96:97], v97
	;; [unrolled: 1-line block ×4, first 2 shown]
	v_fmac_f64_e32 v[32:33], v[140:141], v[86:87]
	v_cvt_f64_f32_e32 v[86:87], v90
	v_cvt_f64_f32_e32 v[90:91], v91
	v_fma_f64 v[136:137], -v[68:69], v[88:89], v[66:67]
	v_fmac_f64_e32 v[10:11], v[82:83], v[88:89]
	global_load_b128 v[66:69], v27, s[4:5] offset:16 scale_offset
	v_cvt_f64_f32_e32 v[140:141], v100
	v_cvt_f64_f32_e32 v[100:101], v101
	v_fma_f64 v[32:33], -v[76:77], v[88:89], v[32:33]
	s_clause 0x3
	global_load_b128 v[70:73], v[36:37], off offset:1072
	global_load_b128 v[74:77], v[36:37], off offset:1040
	;; [unrolled: 1-line block ×4, first 2 shown]
	s_wait_loadcnt 0x11
	v_fmac_f64_e32 v[136:137], v[86:87], v[106:107]
	v_fmac_f64_e32 v[10:11], v[90:91], v[106:107]
	;; [unrolled: 1-line block ×8, first 2 shown]
	v_cvt_f64_f32_e32 v[106:107], v92
	v_cvt_f64_f32_e32 v[92:93], v93
	v_fma_f64 v[90:91], -v[90:91], v[108:109], v[136:137]
	v_fmac_f64_e32 v[10:11], v[86:87], v[108:109]
	v_fma_f64 v[94:95], -v[94:95], v[108:109], v[144:145]
	v_fmac_f64_e32 v[18:19], v[130:131], v[108:109]
	v_fma_f64 v[32:33], -v[98:99], v[108:109], v[32:33]
	v_fmac_f64_e32 v[20:21], v[132:133], v[108:109]
	v_fma_f64 v[24:25], -v[102:103], v[108:109], v[24:25]
	v_fmac_f64_e32 v[22:23], v[134:135], v[108:109]
	global_load_b128 v[86:89], v27, s[4:5] offset:32 scale_offset
	s_wait_loadcnt 0xf
	v_cvt_f64_f32_e32 v[130:131], v118
	v_cvt_f64_f32_e32 v[118:119], v119
	s_wait_loadcnt 0xe
	v_cvt_f64_f32_e32 v[132:133], v122
	v_cvt_f64_f32_e32 v[122:123], v123
	;; [unrolled: 3-line block ×3, first 2 shown]
	v_fmac_f64_e32 v[90:91], v[106:107], v[110:111]
	v_fmac_f64_e32 v[10:11], v[92:93], v[110:111]
	;; [unrolled: 1-line block ×8, first 2 shown]
	v_cvt_f64_f32_e32 v[110:111], v114
	v_cvt_f64_f32_e32 v[114:115], v115
	v_fma_f64 v[136:137], -v[92:93], v[112:113], v[90:91]
	v_fmac_f64_e32 v[10:11], v[106:107], v[112:113]
	v_fma_f64 v[144:145], -v[96:97], v[112:113], v[94:95]
	v_fmac_f64_e32 v[18:19], v[138:139], v[112:113]
	;; [unrolled: 2-line block ×4, first 2 shown]
	global_load_b128 v[90:93], v27, s[4:5] offset:48 scale_offset
	s_clause 0x3
	global_load_b128 v[94:97], v[36:37], off offset:1568
	global_load_b128 v[98:101], v[36:37], off offset:1536
	;; [unrolled: 1-line block ×4, first 2 shown]
	v_cvt_f64_f32_e32 v[112:113], v116
	v_cvt_f64_f32_e32 v[116:117], v117
	;; [unrolled: 1-line block ×8, first 2 shown]
	s_wait_xcnt 0x4
	v_subrev_nc_u32_e32 v27, s12, v147
	s_delay_alu instid0(VALU_DEP_1)
	v_lshlrev_b32_e32 v27, 2, v27
	s_wait_loadcnt 0x11
	v_fmac_f64_e32 v[136:137], v[110:111], v[28:29]
	v_fmac_f64_e32 v[10:11], v[114:115], v[28:29]
	;; [unrolled: 1-line block ×8, first 2 shown]
	v_fma_f64 v[114:115], -v[114:115], v[30:31], v[136:137]
	v_fmac_f64_e32 v[10:11], v[110:111], v[30:31]
	v_fma_f64 v[110:111], -v[118:119], v[30:31], v[144:145]
	v_fmac_f64_e32 v[18:19], v[130:131], v[30:31]
	;; [unrolled: 2-line block ×4, first 2 shown]
	global_load_b128 v[28:31], v27, s[4:5] scale_offset
	s_wait_loadcnt 0x10
	v_cvt_f64_f32_e32 v[126:127], v46
	v_cvt_f64_f32_e32 v[46:47], v47
	s_wait_loadcnt 0xf
	v_cvt_f64_f32_e32 v[130:131], v50
	v_cvt_f64_f32_e32 v[50:51], v51
	;; [unrolled: 3-line block ×4, first 2 shown]
	v_fmac_f64_e32 v[114:115], v[112:113], v[42:43]
	v_fmac_f64_e32 v[10:11], v[116:117], v[42:43]
	v_fmac_f64_e32 v[110:111], v[138:139], v[42:43]
	v_fmac_f64_e32 v[18:19], v[120:121], v[42:43]
	v_fmac_f64_e32 v[32:33], v[140:141], v[42:43]
	v_fmac_f64_e32 v[20:21], v[124:125], v[42:43]
	v_fmac_f64_e32 v[24:25], v[142:143], v[42:43]
	v_fmac_f64_e32 v[22:23], v[128:129], v[42:43]
	v_fma_f64 v[136:137], -v[116:117], v[44:45], v[114:115]
	v_fmac_f64_e32 v[10:11], v[112:113], v[44:45]
	v_fma_f64 v[144:145], -v[120:121], v[44:45], v[110:111]
	v_fmac_f64_e32 v[18:19], v[138:139], v[44:45]
	;; [unrolled: 2-line block ×4, first 2 shown]
	global_load_b128 v[42:45], v27, s[4:5] offset:16 scale_offset
	s_clause 0x3
	global_load_b128 v[110:113], v[36:37], off offset:1584
	global_load_b128 v[114:117], v[36:37], off offset:1552
	;; [unrolled: 1-line block ×4, first 2 shown]
	v_cvt_f64_f32_e32 v[128:129], v49
	v_cvt_f64_f32_e32 v[138:139], v52
	;; [unrolled: 1-line block ×7, first 2 shown]
	s_wait_xcnt 0x0
	v_add_nc_u64_e32 v[36:37], 0x800, v[36:37]
	s_wait_loadcnt 0x11
	v_fmac_f64_e32 v[136:137], v[126:127], v[62:63]
	v_fmac_f64_e32 v[10:11], v[46:47], v[62:63]
	;; [unrolled: 1-line block ×8, first 2 shown]
	v_cvt_f64_f32_e32 v[62:63], v48
	v_fma_f64 v[136:137], -v[46:47], v[64:65], v[136:137]
	v_fmac_f64_e32 v[10:11], v[126:127], v[64:65]
	v_fma_f64 v[50:51], -v[50:51], v[64:65], v[144:145]
	v_fmac_f64_e32 v[18:19], v[130:131], v[64:65]
	;; [unrolled: 2-line block ×4, first 2 shown]
	global_load_b128 v[46:49], v27, s[4:5] offset:32 scale_offset
	s_wait_loadcnt 0xf
	v_cvt_f64_f32_e32 v[54:55], v74
	v_cvt_f64_f32_e32 v[58:59], v75
	;; [unrolled: 1-line block ×3, first 2 shown]
	s_wait_loadcnt 0xe
	v_cvt_f64_f32_e32 v[74:75], v79
	v_fmac_f64_e32 v[136:137], v[62:63], v[66:67]
	v_fmac_f64_e32 v[10:11], v[128:129], v[66:67]
	;; [unrolled: 1-line block ×8, first 2 shown]
	v_cvt_f64_f32_e32 v[66:67], v71
	v_cvt_f64_f32_e32 v[70:71], v78
	s_wait_loadcnt 0xd
	v_cvt_f64_f32_e32 v[78:79], v82
	v_cvt_f64_f32_e32 v[82:83], v83
	v_fma_f64 v[126:127], -v[128:129], v[68:69], v[136:137]
	v_fmac_f64_e32 v[10:11], v[62:63], v[68:69]
	v_fma_f64 v[62:63], -v[52:53], v[68:69], v[50:51]
	v_fmac_f64_e32 v[18:19], v[138:139], v[68:69]
	;; [unrolled: 2-line block ×4, first 2 shown]
	global_load_b128 v[50:53], v27, s[4:5] offset:48 scale_offset
	v_cvt_f64_f32_e32 v[56:57], v76
	v_cvt_f64_f32_e32 v[60:61], v77
	;; [unrolled: 1-line block ×6, first 2 shown]
	s_wait_loadcnt 0xd
	v_fmac_f64_e32 v[126:127], v[54:55], v[86:87]
	v_fmac_f64_e32 v[10:11], v[58:59], v[86:87]
	;; [unrolled: 1-line block ×8, first 2 shown]
	v_cvt_f64_f32_e32 v[86:87], v84
	v_cvt_f64_f32_e32 v[84:85], v85
	v_fma_f64 v[58:59], -v[58:59], v[88:89], v[126:127]
	v_fmac_f64_e32 v[10:11], v[54:55], v[88:89]
	v_fma_f64 v[54:55], -v[66:67], v[88:89], v[62:63]
	v_fmac_f64_e32 v[18:19], v[64:65], v[88:89]
	;; [unrolled: 2-line block ×4, first 2 shown]
	s_wait_loadcnt 0xa
	v_cvt_f64_f32_e32 v[62:63], v98
	v_cvt_f64_f32_e32 v[64:65], v99
	;; [unrolled: 1-line block ×4, first 2 shown]
	s_wait_loadcnt 0x8
	v_cvt_f64_f32_e32 v[74:75], v106
	v_cvt_f64_f32_e32 v[78:79], v107
	v_cvt_f64_f32_e32 v[82:83], v102
	v_cvt_f64_f32_e32 v[88:89], v103
	v_fmac_f64_e32 v[58:59], v[56:57], v[90:91]
	v_fmac_f64_e32 v[10:11], v[60:61], v[90:91]
	;; [unrolled: 1-line block ×8, first 2 shown]
	v_fma_f64 v[58:59], -v[60:61], v[92:93], v[58:59]
	v_fmac_f64_e32 v[10:11], v[56:57], v[92:93]
	v_fma_f64 v[54:55], -v[72:73], v[92:93], v[54:55]
	v_fmac_f64_e32 v[18:19], v[68:69], v[92:93]
	;; [unrolled: 2-line block ×4, first 2 shown]
	v_cvt_f64_f32_e32 v[56:57], v101
	v_cvt_f64_f32_e32 v[60:61], v96
	;; [unrolled: 1-line block ×7, first 2 shown]
	s_wait_loadcnt 0x7
	v_fmac_f64_e32 v[58:59], v[62:63], v[28:29]
	v_fmac_f64_e32 v[10:11], v[64:65], v[28:29]
	;; [unrolled: 1-line block ×8, first 2 shown]
	v_cvt_f64_f32_e32 v[28:29], v100
	v_fma_f64 v[58:59], -v[64:65], v[30:31], v[58:59]
	v_fmac_f64_e32 v[10:11], v[62:63], v[30:31]
	v_fma_f64 v[54:55], -v[70:71], v[30:31], v[54:55]
	v_fmac_f64_e32 v[18:19], v[66:67], v[30:31]
	;; [unrolled: 2-line block ×4, first 2 shown]
	s_wait_loadcnt 0x4
	v_cvt_f64_f32_e32 v[30:31], v114
	v_cvt_f64_f32_e32 v[62:63], v110
	;; [unrolled: 1-line block ×3, first 2 shown]
	s_wait_loadcnt 0x2
	v_cvt_f64_f32_e32 v[66:67], v122
	v_cvt_f64_f32_e32 v[70:71], v123
	;; [unrolled: 1-line block ×4, first 2 shown]
	v_fmac_f64_e32 v[58:59], v[28:29], v[42:43]
	v_fmac_f64_e32 v[10:11], v[56:57], v[42:43]
	;; [unrolled: 1-line block ×8, first 2 shown]
	v_cvt_f64_f32_e32 v[42:43], v115
	v_fma_f64 v[56:57], -v[56:57], v[44:45], v[58:59]
	v_fmac_f64_e32 v[10:11], v[28:29], v[44:45]
	v_fma_f64 v[28:29], -v[68:69], v[44:45], v[54:55]
	v_fmac_f64_e32 v[18:19], v[60:61], v[44:45]
	;; [unrolled: 2-line block ×4, first 2 shown]
	v_cvt_f64_f32_e32 v[44:45], v116
	v_cvt_f64_f32_e32 v[54:55], v112
	;; [unrolled: 1-line block ×7, first 2 shown]
	s_wait_loadcnt 0x1
	v_fmac_f64_e32 v[56:57], v[30:31], v[46:47]
	v_fmac_f64_e32 v[10:11], v[42:43], v[46:47]
	;; [unrolled: 1-line block ×8, first 2 shown]
	v_cvt_f64_f32_e32 v[46:47], v117
	v_fma_f64 v[42:43], -v[42:43], v[48:49], v[56:57]
	v_fmac_f64_e32 v[10:11], v[30:31], v[48:49]
	v_fma_f64 v[30:31], -v[64:65], v[48:49], v[28:29]
	v_fmac_f64_e32 v[18:19], v[62:63], v[48:49]
	;; [unrolled: 2-line block ×4, first 2 shown]
	s_wait_loadcnt 0x0
	v_fmac_f64_e32 v[42:43], v[44:45], v[50:51]
	v_fmac_f64_e32 v[10:11], v[46:47], v[50:51]
	;; [unrolled: 1-line block ×8, first 2 shown]
	v_fma_f64 v[28:29], -v[46:47], v[52:53], v[42:43]
	v_fmac_f64_e32 v[10:11], v[44:45], v[52:53]
	v_fma_f64 v[30:31], -v[58:59], v[52:53], v[30:31]
	v_fmac_f64_e32 v[18:19], v[54:55], v[52:53]
	;; [unrolled: 2-line block ×4, first 2 shown]
	s_and_not1_b32 exec_lo, exec_lo, s7
	s_cbranch_execnz .LBB170_19
; %bb.20:
	s_or_b32 exec_lo, exec_lo, s7
.LBB170_21:
	s_delay_alu instid0(SALU_CYCLE_1)
	s_or_b32 exec_lo, exec_lo, s6
.LBB170_22:
	s_delay_alu instid0(SALU_CYCLE_1)
	s_or_b32 exec_lo, exec_lo, s3
	s_cbranch_execz .LBB170_24
	s_branch .LBB170_35
.LBB170_23:
                                        ; implicit-def: $vgpr10_vgpr11
                                        ; implicit-def: $vgpr28_vgpr29
                                        ; implicit-def: $vgpr18_vgpr19
                                        ; implicit-def: $vgpr30_vgpr31
                                        ; implicit-def: $vgpr20_vgpr21
                                        ; implicit-def: $vgpr32_vgpr33
                                        ; implicit-def: $vgpr22_vgpr23
                                        ; implicit-def: $vgpr24_vgpr25
.LBB170_24:
	v_mov_b64_e32 v[10:11], 0
	v_mov_b64_e32 v[28:29], 0
	;; [unrolled: 1-line block ×8, first 2 shown]
	s_and_saveexec_b32 s3, s2
	s_cbranch_execz .LBB170_34
; %bb.25:
	v_dual_mov_b32 v11, v1 :: v_dual_bitop2_b32 v10, 4, v0 bitop3:0x54
	v_sub_nc_u64_e32 v[18:19], s[12:13], v[0:1]
	v_not_b32_e32 v21, v35
	v_not_b32_e32 v20, v34
	v_mov_b64_e32 v[24:25], 0
	v_sub_nc_u64_e64 v[10:11], v[10:11], s[12:13]
	v_mov_b64_e32 v[22:23], 0
	v_mov_b64_e32 v[32:33], 0
	v_add_nc_u64_e32 v[18:19], v[18:19], v[20:21]
	v_mov_b64_e32 v[20:21], 0
	v_mov_b64_e32 v[30:31], 0
	;; [unrolled: 1-line block ×3, first 2 shown]
	v_add_nc_u64_e32 v[10:11], v[10:11], v[34:35]
	s_mov_b32 s2, exec_lo
	s_delay_alu instid0(VALU_DEP_1) | instskip(NEXT) | instid1(VALU_DEP_1)
	v_max_i64 v[10:11], v[10:11], v[14:15]
	v_add_nc_u64_e32 v[34:35], v[18:19], v[10:11]
	v_mov_b64_e32 v[18:19], 0
	v_mov_b64_e32 v[10:11], 0
	s_delay_alu instid0(VALU_DEP_3) | instskip(NEXT) | instid1(VALU_DEP_1)
	v_dual_mov_b32 v37, 0 :: v_dual_bitop2_b32 v36, 12, v34 bitop3:0x40
	v_cmpx_ne_u64_e32 12, v[36:37]
	s_cbranch_execz .LBB170_29
; %bb.26:
	v_lshrrev_b32_e32 v1, 2, v34
	v_mov_b64_e32 v[10:11], 0
	v_mov_b64_e32 v[28:29], 0
	;; [unrolled: 1-line block ×4, first 2 shown]
	v_add_nc_u32_e32 v1, 1, v1
	v_mov_b64_e32 v[20:21], 0
	v_mov_b64_e32 v[32:33], 0
	v_mov_b64_e32 v[22:23], 0
	v_mov_b64_e32 v[24:25], 0
	v_and_b32_e32 v36, 3, v1
	v_lshl_add_u64 v[38:39], v[12:13], 2, s[8:9]
	s_mov_b32 s6, 0
	s_delay_alu instid0(VALU_DEP_2)
	v_sub_nc_u64_e32 v[36:37], 0, v[36:37]
.LBB170_27:                             ; =>This Inner Loop Header: Depth=1
	global_load_b32 v1, v[38:39], off
	s_clause 0x1
	global_load_b128 v[40:43], v[16:17], off
	global_load_b128 v[44:47], v[16:17], off offset:16
	v_add_nc_u64_e32 v[36:37], 1, v[36:37]
	v_add_nc_u64_e32 v[12:13], 4, v[12:13]
	s_wait_xcnt 0x2
	v_add_nc_u64_e32 v[38:39], 16, v[38:39]
	s_delay_alu instid0(VALU_DEP_3)
	v_cmp_eq_u64_e32 vcc_lo, 0, v[36:37]
	s_or_b32 s6, vcc_lo, s6
	s_wait_loadcnt 0x2
	v_subrev_nc_u32_e32 v1, s12, v1
	s_wait_loadcnt 0x1
	v_cvt_f64_f32_e32 v[88:89], v40
	v_cvt_f64_f32_e32 v[40:41], v41
	;; [unrolled: 1-line block ×4, first 2 shown]
	v_lshlrev_b32_e32 v1, 2, v1
	s_wait_loadcnt 0x0
	v_cvt_f64_f32_e32 v[92:93], v44
	v_cvt_f64_f32_e32 v[44:45], v45
	;; [unrolled: 1-line block ×4, first 2 shown]
	s_wait_kmcnt 0x0
	s_clause 0x1
	global_load_b128 v[48:51], v1, s[4:5] scale_offset
	global_load_b128 v[52:55], v1, s[4:5] offset:16 scale_offset
	s_clause 0x3
	global_load_b128 v[56:59], v[16:17], off offset:32
	global_load_b128 v[60:63], v[16:17], off offset:48
	;; [unrolled: 1-line block ×4, first 2 shown]
	s_clause 0x1
	global_load_b128 v[72:75], v1, s[4:5] offset:32 scale_offset
	global_load_b128 v[76:79], v1, s[4:5] offset:48 scale_offset
	s_clause 0x1
	global_load_b128 v[80:83], v[16:17], off offset:96
	global_load_b128 v[84:87], v[16:17], off offset:112
	s_wait_xcnt 0x0
	v_add_nc_u64_e32 v[16:17], 0x200, v[16:17]
	s_wait_loadcnt 0x9
	v_fmac_f64_e32 v[28:29], v[88:89], v[48:49]
	v_fmac_f64_e32 v[10:11], v[40:41], v[48:49]
	;; [unrolled: 1-line block ×8, first 2 shown]
	s_wait_loadcnt 0x7
	v_cvt_f64_f32_e32 v[48:49], v56
	v_cvt_f64_f32_e32 v[56:57], v57
	v_cvt_f64_f32_e32 v[96:97], v58
	v_cvt_f64_f32_e32 v[58:59], v59
	s_wait_loadcnt 0x6
	v_cvt_f64_f32_e32 v[98:99], v60
	v_cvt_f64_f32_e32 v[60:61], v61
	;; [unrolled: 1-line block ×4, first 2 shown]
	v_fma_f64 v[28:29], -v[40:41], v[50:51], v[28:29]
	v_fmac_f64_e32 v[10:11], v[88:89], v[50:51]
	v_fma_f64 v[30:31], -v[42:43], v[50:51], v[30:31]
	v_fmac_f64_e32 v[18:19], v[90:91], v[50:51]
	;; [unrolled: 2-line block ×4, first 2 shown]
	s_wait_loadcnt 0x5
	v_cvt_f64_f32_e32 v[40:41], v64
	v_cvt_f64_f32_e32 v[42:43], v65
	;; [unrolled: 1-line block ×4, first 2 shown]
	s_wait_loadcnt 0x4
	v_cvt_f64_f32_e32 v[50:51], v68
	v_cvt_f64_f32_e32 v[64:65], v70
	;; [unrolled: 1-line block ×3, first 2 shown]
	s_wait_loadcnt 0x0
	v_cvt_f64_f32_e32 v[70:71], v87
	v_fmac_f64_e32 v[28:29], v[48:49], v[52:53]
	v_fmac_f64_e32 v[10:11], v[56:57], v[52:53]
	v_fmac_f64_e32 v[30:31], v[96:97], v[52:53]
	v_fmac_f64_e32 v[18:19], v[58:59], v[52:53]
	v_fmac_f64_e32 v[32:33], v[98:99], v[52:53]
	v_fmac_f64_e32 v[20:21], v[60:61], v[52:53]
	v_fmac_f64_e32 v[24:25], v[100:101], v[52:53]
	v_fmac_f64_e32 v[22:23], v[62:63], v[52:53]
	v_cvt_f64_f32_e32 v[52:53], v69
	v_cvt_f64_f32_e32 v[68:69], v86
	v_fma_f64 v[28:29], -v[56:57], v[54:55], v[28:29]
	v_fmac_f64_e32 v[10:11], v[48:49], v[54:55]
	v_fma_f64 v[30:31], -v[58:59], v[54:55], v[30:31]
	v_fmac_f64_e32 v[18:19], v[96:97], v[54:55]
	;; [unrolled: 2-line block ×4, first 2 shown]
	v_cvt_f64_f32_e32 v[48:49], v80
	v_cvt_f64_f32_e32 v[54:55], v81
	;; [unrolled: 1-line block ×6, first 2 shown]
	v_fmac_f64_e32 v[28:29], v[40:41], v[72:73]
	v_fmac_f64_e32 v[10:11], v[42:43], v[72:73]
	;; [unrolled: 1-line block ×8, first 2 shown]
	v_fma_f64 v[28:29], -v[42:43], v[74:75], v[28:29]
	v_fmac_f64_e32 v[10:11], v[40:41], v[74:75]
	v_fma_f64 v[30:31], -v[46:47], v[74:75], v[30:31]
	v_fmac_f64_e32 v[18:19], v[44:45], v[74:75]
	;; [unrolled: 2-line block ×4, first 2 shown]
	v_fmac_f64_e32 v[28:29], v[48:49], v[76:77]
	v_fmac_f64_e32 v[10:11], v[54:55], v[76:77]
	v_fmac_f64_e32 v[30:31], v[56:57], v[76:77]
	v_fmac_f64_e32 v[18:19], v[58:59], v[76:77]
	v_fmac_f64_e32 v[32:33], v[60:61], v[76:77]
	v_fmac_f64_e32 v[20:21], v[62:63], v[76:77]
	v_fmac_f64_e32 v[24:25], v[68:69], v[76:77]
	v_fmac_f64_e32 v[22:23], v[70:71], v[76:77]
	v_fma_f64 v[28:29], -v[54:55], v[78:79], v[28:29]
	v_fmac_f64_e32 v[10:11], v[48:49], v[78:79]
	v_fma_f64 v[30:31], -v[58:59], v[78:79], v[30:31]
	v_fmac_f64_e32 v[18:19], v[56:57], v[78:79]
	;; [unrolled: 2-line block ×4, first 2 shown]
	s_and_not1_b32 exec_lo, exec_lo, s6
	s_cbranch_execnz .LBB170_27
; %bb.28:
	s_or_b32 exec_lo, exec_lo, s6
.LBB170_29:
	s_delay_alu instid0(SALU_CYCLE_1) | instskip(NEXT) | instid1(SALU_CYCLE_1)
	s_or_b32 exec_lo, exec_lo, s2
	s_mov_b32 s2, exec_lo
	v_cmpx_lt_u64_e32 11, v[34:35]
	s_cbranch_execz .LBB170_33
; %bb.30:
	v_lshl_add_u64 v[34:35], v[12:13], 2, s[8:9]
	s_mov_b32 s6, 0
	s_delay_alu instid0(VALU_DEP_1)
	v_add_nc_u64_e32 v[34:35], 32, v[34:35]
.LBB170_31:                             ; =>This Inner Loop Header: Depth=1
	s_clause 0x1
	global_load_b32 v1, v[34:35], off offset:-32
	global_load_b32 v27, v[34:35], off offset:-16
	s_clause 0x1
	global_load_b128 v[36:39], v[16:17], off
	global_load_b128 v[40:43], v[16:17], off offset:16
	s_clause 0x1
	global_load_b32 v136, v[34:35], off
	global_load_b32 v140, v[34:35], off offset:16
	v_add_nc_u64_e32 v[12:13], 16, v[12:13]
	s_wait_xcnt 0x0
	v_add_nc_u64_e32 v[34:35], 64, v[34:35]
	s_delay_alu instid0(VALU_DEP_2)
	v_cmp_ge_i64_e32 vcc_lo, v[12:13], v[14:15]
	s_or_b32 s6, vcc_lo, s6
	s_wait_loadcnt 0x5
	v_subrev_nc_u32_e32 v1, s12, v1
	s_wait_loadcnt 0x3
	v_cvt_f64_f32_e32 v[110:111], v37
	v_cvt_f64_f32_e32 v[112:113], v38
	v_cvt_f64_f32_e32 v[108:109], v36
	v_lshlrev_b32_e32 v1, 2, v1
	v_cvt_f64_f32_e32 v[114:115], v39
	s_wait_loadcnt 0x2
	v_cvt_f64_f32_e32 v[116:117], v40
	v_cvt_f64_f32_e32 v[118:119], v41
	;; [unrolled: 1-line block ×3, first 2 shown]
	s_wait_kmcnt 0x0
	global_load_b128 v[44:47], v1, s[4:5] scale_offset
	s_clause 0x1
	global_load_b128 v[48:51], v[16:17], off offset:32
	global_load_b128 v[52:55], v[16:17], off offset:48
	global_load_b128 v[56:59], v1, s[4:5] offset:16 scale_offset
	s_clause 0x1
	global_load_b128 v[60:63], v[16:17], off offset:64
	global_load_b128 v[64:67], v[16:17], off offset:80
	global_load_b128 v[68:71], v1, s[4:5] offset:32 scale_offset
	;; [unrolled: 4-line block ×3, first 2 shown]
	s_clause 0x1
	global_load_b128 v[84:87], v[16:17], off offset:512
	global_load_b128 v[88:91], v[16:17], off offset:528
	s_wait_xcnt 0x2
	v_subrev_nc_u32_e32 v1, s12, v27
	v_cvt_f64_f32_e32 v[122:123], v43
	s_wait_loadcnt 0xb
	v_fmac_f64_e32 v[10:11], v[110:111], v[44:45]
	v_fmac_f64_e32 v[30:31], v[112:113], v[44:45]
	v_lshlrev_b32_e32 v1, 2, v1
	v_fmac_f64_e32 v[28:29], v[108:109], v[44:45]
	v_fmac_f64_e32 v[18:19], v[114:115], v[44:45]
	;; [unrolled: 1-line block ×6, first 2 shown]
	s_wait_loadcnt 0xa
	v_cvt_f64_f32_e32 v[124:125], v48
	v_cvt_f64_f32_e32 v[126:127], v49
	;; [unrolled: 1-line block ×4, first 2 shown]
	s_wait_loadcnt 0x9
	v_cvt_f64_f32_e32 v[132:133], v52
	v_cvt_f64_f32_e32 v[52:53], v53
	;; [unrolled: 1-line block ×4, first 2 shown]
	v_fmac_f64_e32 v[10:11], v[108:109], v[46:47]
	v_fma_f64 v[108:109], -v[114:115], v[46:47], v[30:31]
	global_load_b128 v[92:95], v1, s[4:5] scale_offset
	s_clause 0x1
	global_load_b128 v[96:99], v[16:17], off offset:544
	global_load_b128 v[100:103], v[16:17], off offset:560
	global_load_b128 v[36:39], v1, s[4:5] offset:16 scale_offset
	s_clause 0x1
	global_load_b128 v[40:43], v[16:17], off offset:576
	global_load_b128 v[104:107], v[16:17], off offset:592
	v_fma_f64 v[110:111], -v[110:111], v[46:47], v[28:29]
	v_fmac_f64_e32 v[18:19], v[112:113], v[46:47]
	v_fma_f64 v[32:33], -v[118:119], v[46:47], v[32:33]
	v_fmac_f64_e32 v[20:21], v[116:117], v[46:47]
	v_fma_f64 v[24:25], -v[122:123], v[46:47], v[24:25]
	v_fmac_f64_e32 v[22:23], v[120:121], v[46:47]
	global_load_b128 v[28:31], v1, s[4:5] offset:32 scale_offset
	s_clause 0x1
	global_load_b128 v[44:47], v[16:17], off offset:608
	global_load_b128 v[48:51], v[16:17], off offset:624
	s_wait_loadcnt 0x10
	v_cvt_f64_f32_e32 v[112:113], v60
	v_cvt_f64_f32_e32 v[114:115], v61
	;; [unrolled: 1-line block ×4, first 2 shown]
	s_wait_loadcnt 0xf
	v_cvt_f64_f32_e32 v[120:121], v64
	v_cvt_f64_f32_e32 v[64:65], v65
	v_cvt_f64_f32_e32 v[122:123], v66
	v_cvt_f64_f32_e32 v[66:67], v67
	v_fmac_f64_e32 v[10:11], v[126:127], v[56:57]
	v_fmac_f64_e32 v[108:109], v[128:129], v[56:57]
	;; [unrolled: 1-line block ×9, first 2 shown]
	v_fma_f64 v[108:109], -v[130:131], v[58:59], v[108:109]
	s_wait_loadcnt 0xd
	v_cvt_f64_f32_e32 v[124:125], v72
	v_cvt_f64_f32_e32 v[130:131], v75
	v_fma_f64 v[110:111], -v[126:127], v[58:59], v[110:111]
	v_fmac_f64_e32 v[18:19], v[128:129], v[58:59]
	v_fma_f64 v[32:33], -v[52:53], v[58:59], v[32:33]
	v_fmac_f64_e32 v[20:21], v[132:133], v[58:59]
	;; [unrolled: 2-line block ×3, first 2 shown]
	global_load_b128 v[52:55], v1, s[4:5] offset:48 scale_offset
	s_clause 0x1
	global_load_b128 v[56:59], v[16:17], off offset:1024
	global_load_b128 v[60:63], v[16:17], off offset:1040
	v_cvt_f64_f32_e32 v[126:127], v73
	v_cvt_f64_f32_e32 v[128:129], v74
	s_wait_loadcnt 0xf
	v_cvt_f64_f32_e32 v[132:133], v76
	v_cvt_f64_f32_e32 v[76:77], v77
	;; [unrolled: 1-line block ×4, first 2 shown]
	s_wait_xcnt 0x2
	v_subrev_nc_u32_e32 v1, s12, v136
	s_delay_alu instid0(VALU_DEP_1)
	v_lshlrev_b32_e32 v1, 2, v1
	v_fmac_f64_e32 v[10:11], v[114:115], v[68:69]
	v_fmac_f64_e32 v[108:109], v[116:117], v[68:69]
	;; [unrolled: 1-line block ×9, first 2 shown]
	v_fma_f64 v[108:109], -v[118:119], v[70:71], v[108:109]
	s_wait_loadcnt 0xd
	v_cvt_f64_f32_e32 v[112:113], v84
	v_cvt_f64_f32_e32 v[118:119], v87
	v_fma_f64 v[110:111], -v[114:115], v[70:71], v[110:111]
	v_fmac_f64_e32 v[18:19], v[116:117], v[70:71]
	v_fma_f64 v[32:33], -v[64:65], v[70:71], v[32:33]
	v_fmac_f64_e32 v[20:21], v[120:121], v[70:71]
	;; [unrolled: 2-line block ×3, first 2 shown]
	global_load_b128 v[64:67], v1, s[4:5] scale_offset
	s_clause 0x1
	global_load_b128 v[68:71], v[16:17], off offset:1056
	global_load_b128 v[72:75], v[16:17], off offset:1072
	v_cvt_f64_f32_e32 v[114:115], v85
	v_cvt_f64_f32_e32 v[116:117], v86
	s_wait_loadcnt 0xf
	v_cvt_f64_f32_e32 v[120:121], v88
	v_cvt_f64_f32_e32 v[88:89], v89
	;; [unrolled: 1-line block ×4, first 2 shown]
	v_fmac_f64_e32 v[10:11], v[126:127], v[80:81]
	v_fmac_f64_e32 v[108:109], v[128:129], v[80:81]
	v_fmac_f64_e32 v[110:111], v[124:125], v[80:81]
	v_fmac_f64_e32 v[18:19], v[130:131], v[80:81]
	v_fmac_f64_e32 v[32:33], v[132:133], v[80:81]
	v_fmac_f64_e32 v[20:21], v[76:77], v[80:81]
	v_fmac_f64_e32 v[24:25], v[134:135], v[80:81]
	v_fmac_f64_e32 v[22:23], v[78:79], v[80:81]
	v_fmac_f64_e32 v[10:11], v[124:125], v[82:83]
	v_fma_f64 v[108:109], -v[130:131], v[82:83], v[108:109]
	v_fma_f64 v[110:111], -v[126:127], v[82:83], v[110:111]
	v_fmac_f64_e32 v[18:19], v[128:129], v[82:83]
	v_fma_f64 v[32:33], -v[76:77], v[82:83], v[32:33]
	v_fmac_f64_e32 v[20:21], v[132:133], v[82:83]
	;; [unrolled: 2-line block ×3, first 2 shown]
	global_load_b128 v[76:79], v1, s[4:5] offset:16 scale_offset
	s_clause 0x1
	global_load_b128 v[80:83], v[16:17], off offset:1088
	global_load_b128 v[84:87], v[16:17], off offset:1104
	s_wait_loadcnt 0x11
	v_fmac_f64_e32 v[110:111], v[112:113], v[92:93]
	v_fmac_f64_e32 v[10:11], v[114:115], v[92:93]
	;; [unrolled: 1-line block ×8, first 2 shown]
	s_wait_loadcnt 0x10
	v_cvt_f64_f32_e32 v[124:125], v96
	v_cvt_f64_f32_e32 v[126:127], v97
	v_cvt_f64_f32_e32 v[128:129], v98
	v_cvt_f64_f32_e32 v[130:131], v99
	s_wait_loadcnt 0xf
	v_cvt_f64_f32_e32 v[132:133], v100
	v_cvt_f64_f32_e32 v[100:101], v101
	;; [unrolled: 1-line block ×4, first 2 shown]
	s_wait_loadcnt 0x9
	v_cvt_f64_f32_e32 v[136:137], v50
	v_cvt_f64_f32_e32 v[138:139], v51
	v_fma_f64 v[110:111], -v[114:115], v[94:95], v[110:111]
	v_fmac_f64_e32 v[10:11], v[112:113], v[94:95]
	v_fma_f64 v[108:109], -v[118:119], v[94:95], v[108:109]
	v_fmac_f64_e32 v[18:19], v[116:117], v[94:95]
	;; [unrolled: 2-line block ×4, first 2 shown]
	global_load_b128 v[88:91], v1, s[4:5] offset:32 scale_offset
	s_clause 0x1
	global_load_b128 v[92:95], v[16:17], off offset:1120
	global_load_b128 v[96:99], v[16:17], off offset:1136
	v_cvt_f64_f32_e32 v[112:113], v40
	v_cvt_f64_f32_e32 v[114:115], v41
	;; [unrolled: 1-line block ×8, first 2 shown]
	v_fmac_f64_e32 v[110:111], v[124:125], v[36:37]
	v_fmac_f64_e32 v[10:11], v[126:127], v[36:37]
	;; [unrolled: 1-line block ×8, first 2 shown]
	v_fma_f64 v[110:111], -v[126:127], v[38:39], v[110:111]
	v_fmac_f64_e32 v[10:11], v[124:125], v[38:39]
	v_fma_f64 v[108:109], -v[130:131], v[38:39], v[108:109]
	v_fmac_f64_e32 v[18:19], v[128:129], v[38:39]
	;; [unrolled: 2-line block ×4, first 2 shown]
	global_load_b128 v[36:39], v1, s[4:5] offset:48 scale_offset
	s_clause 0x1
	global_load_b128 v[40:43], v[16:17], off offset:1552
	global_load_b128 v[100:103], v[16:17], off offset:1536
	v_cvt_f64_f32_e32 v[124:125], v44
	v_cvt_f64_f32_e32 v[126:127], v45
	;; [unrolled: 1-line block ×6, first 2 shown]
	s_wait_xcnt 0x2
	v_subrev_nc_u32_e32 v1, s12, v140
	s_delay_alu instid0(VALU_DEP_1)
	v_lshlrev_b32_e32 v1, 2, v1
	v_fmac_f64_e32 v[110:111], v[112:113], v[28:29]
	v_fmac_f64_e32 v[10:11], v[114:115], v[28:29]
	;; [unrolled: 1-line block ×8, first 2 shown]
	v_fma_f64 v[110:111], -v[114:115], v[30:31], v[110:111]
	v_fmac_f64_e32 v[10:11], v[112:113], v[30:31]
	v_fma_f64 v[108:109], -v[118:119], v[30:31], v[108:109]
	v_fmac_f64_e32 v[18:19], v[116:117], v[30:31]
	;; [unrolled: 2-line block ×4, first 2 shown]
	s_clause 0x1
	global_load_b128 v[28:31], v1, s[4:5] offset:16 scale_offset
	global_load_b128 v[44:47], v1, s[4:5] scale_offset
	s_clause 0x1
	global_load_b128 v[48:51], v[16:17], off offset:1584
	global_load_b128 v[104:107], v[16:17], off offset:1568
	s_wait_loadcnt 0x11
	v_cvt_f64_f32_e32 v[112:113], v56
	v_cvt_f64_f32_e32 v[114:115], v57
	;; [unrolled: 1-line block ×4, first 2 shown]
	s_wait_loadcnt 0x10
	v_cvt_f64_f32_e32 v[120:121], v60
	v_cvt_f64_f32_e32 v[60:61], v61
	;; [unrolled: 1-line block ×4, first 2 shown]
	v_fmac_f64_e32 v[110:111], v[124:125], v[52:53]
	v_fmac_f64_e32 v[10:11], v[126:127], v[52:53]
	;; [unrolled: 1-line block ×8, first 2 shown]
	v_fma_f64 v[110:111], -v[126:127], v[54:55], v[110:111]
	v_fmac_f64_e32 v[10:11], v[124:125], v[54:55]
	v_fma_f64 v[108:109], -v[130:131], v[54:55], v[108:109]
	v_fmac_f64_e32 v[18:19], v[128:129], v[54:55]
	;; [unrolled: 2-line block ×4, first 2 shown]
	s_clause 0x1
	global_load_b128 v[52:55], v[16:17], off offset:1616
	global_load_b128 v[56:59], v[16:17], off offset:1600
	s_wait_loadcnt 0x10
	v_cvt_f64_f32_e32 v[124:125], v68
	v_cvt_f64_f32_e32 v[126:127], v69
	;; [unrolled: 1-line block ×4, first 2 shown]
	s_wait_loadcnt 0xf
	v_cvt_f64_f32_e32 v[132:133], v72
	v_cvt_f64_f32_e32 v[134:135], v73
	v_cvt_f64_f32_e32 v[136:137], v74
	v_cvt_f64_f32_e32 v[138:139], v75
	v_fmac_f64_e32 v[110:111], v[112:113], v[64:65]
	v_fmac_f64_e32 v[10:11], v[114:115], v[64:65]
	;; [unrolled: 1-line block ×8, first 2 shown]
	v_fma_f64 v[110:111], -v[114:115], v[66:67], v[110:111]
	v_fmac_f64_e32 v[10:11], v[112:113], v[66:67]
	v_fma_f64 v[108:109], -v[118:119], v[66:67], v[108:109]
	v_fmac_f64_e32 v[18:19], v[116:117], v[66:67]
	;; [unrolled: 2-line block ×4, first 2 shown]
	s_clause 0x1
	global_load_b128 v[60:63], v1, s[4:5] offset:48 scale_offset
	global_load_b128 v[64:67], v1, s[4:5] offset:32 scale_offset
	s_clause 0x1
	global_load_b128 v[68:71], v[16:17], off offset:1632
	global_load_b128 v[72:75], v[16:17], off offset:1648
	s_wait_loadcnt 0x11
	v_cvt_f64_f32_e32 v[112:113], v82
	v_cvt_f64_f32_e32 v[82:83], v83
	s_wait_loadcnt 0x10
	v_cvt_f64_f32_e32 v[114:115], v84
	v_cvt_f64_f32_e32 v[84:85], v85
	;; [unrolled: 1-line block ×4, first 2 shown]
	s_wait_xcnt 0x0
	v_add_nc_u64_e32 v[16:17], 0x800, v[16:17]
	v_fmac_f64_e32 v[110:111], v[124:125], v[76:77]
	v_fmac_f64_e32 v[10:11], v[126:127], v[76:77]
	;; [unrolled: 1-line block ×8, first 2 shown]
	v_cvt_f64_f32_e32 v[76:77], v80
	v_cvt_f64_f32_e32 v[80:81], v81
	v_fma_f64 v[110:111], -v[126:127], v[78:79], v[110:111]
	v_fmac_f64_e32 v[10:11], v[124:125], v[78:79]
	v_fma_f64 v[108:109], -v[130:131], v[78:79], v[108:109]
	v_fmac_f64_e32 v[18:19], v[128:129], v[78:79]
	;; [unrolled: 2-line block ×4, first 2 shown]
	s_wait_loadcnt 0xe
	v_cvt_f64_f32_e32 v[78:79], v92
	s_wait_loadcnt 0xd
	v_cvt_f64_f32_e32 v[118:119], v96
	v_cvt_f64_f32_e32 v[96:97], v97
	;; [unrolled: 1-line block ×4, first 2 shown]
	v_fmac_f64_e32 v[110:111], v[76:77], v[88:89]
	v_fmac_f64_e32 v[10:11], v[80:81], v[88:89]
	;; [unrolled: 1-line block ×8, first 2 shown]
	v_cvt_f64_f32_e32 v[88:89], v93
	v_cvt_f64_f32_e32 v[92:93], v94
	;; [unrolled: 1-line block ×3, first 2 shown]
	v_fma_f64 v[80:81], -v[80:81], v[90:91], v[110:111]
	v_fmac_f64_e32 v[10:11], v[76:77], v[90:91]
	v_fma_f64 v[76:77], -v[82:83], v[90:91], v[108:109]
	v_fmac_f64_e32 v[18:19], v[112:113], v[90:91]
	;; [unrolled: 2-line block ×4, first 2 shown]
	s_wait_loadcnt 0xb
	v_cvt_f64_f32_e32 v[90:91], v40
	s_wait_loadcnt 0xa
	v_cvt_f64_f32_e32 v[82:83], v101
	v_cvt_f64_f32_e32 v[84:85], v102
	;; [unrolled: 1-line block ×4, first 2 shown]
	v_fmac_f64_e32 v[80:81], v[78:79], v[36:37]
	v_fmac_f64_e32 v[10:11], v[88:89], v[36:37]
	;; [unrolled: 1-line block ×8, first 2 shown]
	v_cvt_f64_f32_e32 v[36:37], v100
	v_cvt_f64_f32_e32 v[100:101], v42
	;; [unrolled: 1-line block ×3, first 2 shown]
	v_fma_f64 v[80:81], -v[88:89], v[38:39], v[80:81]
	v_fmac_f64_e32 v[10:11], v[78:79], v[38:39]
	v_fma_f64 v[76:77], -v[94:95], v[38:39], v[76:77]
	v_fmac_f64_e32 v[18:19], v[92:93], v[38:39]
	;; [unrolled: 2-line block ×4, first 2 shown]
	s_wait_loadcnt 0x7
	v_cvt_f64_f32_e32 v[92:93], v48
	s_wait_loadcnt 0x6
	v_cvt_f64_f32_e32 v[38:39], v104
	v_cvt_f64_f32_e32 v[78:79], v106
	;; [unrolled: 1-line block ×6, first 2 shown]
	v_fmac_f64_e32 v[80:81], v[36:37], v[44:45]
	v_fmac_f64_e32 v[10:11], v[82:83], v[44:45]
	;; [unrolled: 1-line block ×8, first 2 shown]
	v_cvt_f64_f32_e32 v[44:45], v105
	v_fma_f64 v[80:81], -v[82:83], v[46:47], v[80:81]
	v_fmac_f64_e32 v[10:11], v[36:37], v[46:47]
	v_fma_f64 v[36:37], -v[86:87], v[46:47], v[76:77]
	v_fmac_f64_e32 v[18:19], v[84:85], v[46:47]
	;; [unrolled: 2-line block ×4, first 2 shown]
	s_wait_loadcnt 0x4
	v_cvt_f64_f32_e32 v[40:41], v57
	v_cvt_f64_f32_e32 v[42:43], v58
	;; [unrolled: 1-line block ×5, first 2 shown]
	v_fmac_f64_e32 v[80:81], v[38:39], v[28:29]
	v_fmac_f64_e32 v[10:11], v[44:45], v[28:29]
	;; [unrolled: 1-line block ×8, first 2 shown]
	v_cvt_f64_f32_e32 v[28:29], v56
	v_cvt_f64_f32_e32 v[56:57], v52
	v_cvt_f64_f32_e32 v[52:53], v53
	v_fma_f64 v[44:45], -v[44:45], v[30:31], v[80:81]
	v_fmac_f64_e32 v[10:11], v[38:39], v[30:31]
	v_fma_f64 v[36:37], -v[88:89], v[30:31], v[36:37]
	v_fmac_f64_e32 v[18:19], v[78:79], v[30:31]
	;; [unrolled: 2-line block ×4, first 2 shown]
	s_wait_loadcnt 0x1
	v_cvt_f64_f32_e32 v[30:31], v68
	v_cvt_f64_f32_e32 v[38:39], v69
	;; [unrolled: 1-line block ×4, first 2 shown]
	s_wait_loadcnt 0x0
	v_cvt_f64_f32_e32 v[68:69], v73
	v_cvt_f64_f32_e32 v[70:71], v74
	v_fmac_f64_e32 v[44:45], v[28:29], v[64:65]
	v_fmac_f64_e32 v[10:11], v[40:41], v[64:65]
	v_fmac_f64_e32 v[36:37], v[42:43], v[64:65]
	v_fmac_f64_e32 v[18:19], v[46:47], v[64:65]
	v_fmac_f64_e32 v[32:33], v[56:57], v[64:65]
	v_fmac_f64_e32 v[20:21], v[52:53], v[64:65]
	v_fmac_f64_e32 v[24:25], v[58:59], v[64:65]
	v_fmac_f64_e32 v[22:23], v[54:55], v[64:65]
	v_cvt_f64_f32_e32 v[64:65], v72
	v_cvt_f64_f32_e32 v[72:73], v75
	v_fma_f64 v[40:41], -v[40:41], v[66:67], v[44:45]
	v_fmac_f64_e32 v[10:11], v[28:29], v[66:67]
	v_fma_f64 v[36:37], -v[46:47], v[66:67], v[36:37]
	v_fmac_f64_e32 v[18:19], v[42:43], v[66:67]
	;; [unrolled: 2-line block ×4, first 2 shown]
	v_fmac_f64_e32 v[40:41], v[30:31], v[60:61]
	v_fmac_f64_e32 v[10:11], v[38:39], v[60:61]
	;; [unrolled: 1-line block ×8, first 2 shown]
	v_fma_f64 v[28:29], -v[38:39], v[62:63], v[40:41]
	v_fmac_f64_e32 v[10:11], v[30:31], v[62:63]
	v_fma_f64 v[30:31], -v[50:51], v[62:63], v[36:37]
	v_fmac_f64_e32 v[18:19], v[48:49], v[62:63]
	;; [unrolled: 2-line block ×4, first 2 shown]
	s_and_not1_b32 exec_lo, exec_lo, s6
	s_cbranch_execnz .LBB170_31
; %bb.32:
	s_or_b32 exec_lo, exec_lo, s6
.LBB170_33:
	s_delay_alu instid0(SALU_CYCLE_1)
	s_or_b32 exec_lo, exec_lo, s2
.LBB170_34:
	s_delay_alu instid0(SALU_CYCLE_1)
	s_or_b32 exec_lo, exec_lo, s3
.LBB170_35:
	v_mbcnt_lo_u32_b32 v1, -1, 0
	s_delay_alu instid0(VALU_DEP_1) | instskip(NEXT) | instid1(VALU_DEP_1)
	v_xor_b32_e32 v12, 2, v1
	v_cmp_gt_i32_e32 vcc_lo, 32, v12
	v_cndmask_b32_e32 v12, v1, v12, vcc_lo
	s_delay_alu instid0(VALU_DEP_1)
	v_lshlrev_b32_e32 v27, 2, v12
	ds_bpermute_b32 v14, v27, v10
	ds_bpermute_b32 v15, v27, v11
	;; [unrolled: 1-line block ×4, first 2 shown]
	s_wait_dscnt 0x2
	v_add_f64_e32 v[34:35], v[10:11], v[14:15]
	s_wait_dscnt 0x0
	v_add_f64_e32 v[14:15], v[32:33], v[38:39]
	ds_bpermute_b32 v12, v27, v28
	ds_bpermute_b32 v13, v27, v29
	;; [unrolled: 1-line block ×12, first 2 shown]
	s_wait_dscnt 0xa
	v_add_f64_e32 v[12:13], v[28:29], v[12:13]
	s_wait_dscnt 0x8
	v_add_f64_e32 v[28:29], v[18:19], v[36:37]
	;; [unrolled: 2-line block ×3, first 2 shown]
	v_xor_b32_e32 v22, 1, v1
	s_wait_dscnt 0x2
	v_add_f64_e32 v[20:21], v[20:21], v[40:41]
	s_delay_alu instid0(VALU_DEP_2) | instskip(SKIP_4) | instid1(VALU_DEP_3)
	v_cmp_gt_i32_e32 vcc_lo, 32, v22
	v_dual_add_f64 v[10:11], v[30:31], v[16:17] :: v_dual_cndmask_b32 v1, v1, v22, vcc_lo
	s_wait_dscnt 0x0
	v_add_f64_e32 v[16:17], v[24:25], v[42:43]
	v_cmp_eq_u32_e32 vcc_lo, 3, v0
	v_lshlrev_b32_e32 v1, 2, v1
	ds_bpermute_b32 v42, v1, v34
	ds_bpermute_b32 v43, v1, v35
	;; [unrolled: 1-line block ×16, first 2 shown]
	s_and_b32 exec_lo, exec_lo, vcc_lo
	s_cbranch_execz .LBB170_8
; %bb.36:
	s_wait_dscnt 0xe
	v_add_f64_e32 v[0:1], v[34:35], v[42:43]
	s_wait_dscnt 0x8
	v_add_f64_e32 v[28:29], v[28:29], v[40:41]
	;; [unrolled: 2-line block ×3, first 2 shown]
	v_add_f64_e32 v[36:37], v[18:19], v[36:37]
	v_add_f64_e32 v[38:39], v[12:13], v[22:23]
	s_wait_dscnt 0x2
	v_add_f64_e32 v[40:41], v[10:11], v[24:25]
	v_add_f64_e32 v[30:31], v[14:15], v[30:31]
	s_wait_dscnt 0x0
	v_add_f64_e32 v[32:33], v[16:17], v[32:33]
	v_cmp_eq_f64_e32 vcc_lo, 0, v[2:3]
	v_cmp_eq_f64_e64 s2, 0, v[4:5]
	s_load_b64 s[0:1], s[0:1], 0x60
	v_mul_f64_e64 v[22:23], v[0:1], -v[8:9]
	v_mul_f64_e32 v[24:25], v[6:7], v[0:1]
	v_mul_f64_e64 v[14:15], v[34:35], -v[8:9]
	v_mul_f64_e32 v[16:17], v[6:7], v[34:35]
	v_mul_f64_e64 v[10:11], v[36:37], -v[8:9]
	v_dual_mul_f64 v[12:13], v[6:7], v[36:37] :: v_dual_lshlrev_b32 v0, 2, v26
	v_mul_f64_e64 v[18:19], v[28:29], -v[8:9]
	v_mul_f64_e32 v[20:21], v[6:7], v[28:29]
	s_and_b32 s2, vcc_lo, s2
	v_fmac_f64_e32 v[22:23], v[6:7], v[38:39]
	v_fmac_f64_e32 v[24:25], v[8:9], v[38:39]
	;; [unrolled: 1-line block ×8, first 2 shown]
	s_and_saveexec_b32 s3, s2
	s_delay_alu instid0(SALU_CYCLE_1)
	s_xor_b32 s2, exec_lo, s3
	s_cbranch_execz .LBB170_38
; %bb.37:
	s_wait_kmcnt 0x0
	s_clause 0x3
	global_store_b128 v0, v[22:25], s[0:1] scale_offset
	global_store_b128 v0, v[18:21], s[0:1] offset:16 scale_offset
	global_store_b128 v0, v[14:17], s[0:1] offset:32 scale_offset
	;; [unrolled: 1-line block ×3, first 2 shown]
                                        ; implicit-def: $vgpr4_vgpr5
                                        ; implicit-def: $vgpr22_vgpr23
                                        ; implicit-def: $vgpr0
                                        ; implicit-def: $vgpr18_vgpr19
                                        ; implicit-def: $vgpr14_vgpr15
                                        ; implicit-def: $vgpr10_vgpr11
.LBB170_38:
	s_wait_xcnt 0x0
	s_and_not1_saveexec_b32 s2, s2
	s_cbranch_execz .LBB170_8
; %bb.39:
	s_wait_kmcnt 0x0
	s_clause 0x3
	global_load_b128 v[6:9], v0, s[0:1] scale_offset
	global_load_b128 v[26:29], v0, s[0:1] offset:16 scale_offset
	global_load_b128 v[30:33], v0, s[0:1] offset:32 scale_offset
	;; [unrolled: 1-line block ×3, first 2 shown]
	s_wait_loadcnt 0x3
	v_fmac_f64_e32 v[22:23], v[2:3], v[6:7]
	v_fmac_f64_e32 v[24:25], v[4:5], v[6:7]
	s_wait_loadcnt 0x2
	v_fmac_f64_e32 v[18:19], v[2:3], v[26:27]
	v_fmac_f64_e32 v[20:21], v[4:5], v[26:27]
	s_wait_loadcnt 0x1
	v_fmac_f64_e32 v[14:15], v[2:3], v[30:31]
	v_fmac_f64_e32 v[16:17], v[4:5], v[30:31]
	s_wait_loadcnt 0x0
	v_fmac_f64_e32 v[10:11], v[2:3], v[34:35]
	v_fmac_f64_e32 v[12:13], v[4:5], v[34:35]
	v_fma_f64 v[22:23], -v[4:5], v[8:9], v[22:23]
	v_fmac_f64_e32 v[24:25], v[2:3], v[8:9]
	v_fma_f64 v[18:19], -v[4:5], v[28:29], v[18:19]
	v_fmac_f64_e32 v[20:21], v[2:3], v[28:29]
	;; [unrolled: 2-line block ×4, first 2 shown]
	s_clause 0x3
	global_store_b128 v0, v[22:25], s[0:1] scale_offset
	global_store_b128 v0, v[18:21], s[0:1] offset:16 scale_offset
	global_store_b128 v0, v[14:17], s[0:1] offset:32 scale_offset
	global_store_b128 v0, v[10:13], s[0:1] offset:48 scale_offset
	s_sendmsg sendmsg(MSG_DEALLOC_VGPRS)
	s_endpgm
	.section	.rodata,"a",@progbits
	.p2align	6, 0x0
	.amdhsa_kernel _ZN9rocsparseL18bsrxmvn_4x4_kernelILj128ELj4E21rocsparse_complex_numIdEliS1_IfES2_S2_EEvT3_20rocsparse_direction_NS_24const_host_device_scalarIT1_EES4_PKS4_PKT2_SD_SA_PKT4_PKT5_S8_PT6_21rocsparse_index_base_b
		.amdhsa_group_segment_fixed_size 0
		.amdhsa_private_segment_fixed_size 0
		.amdhsa_kernarg_size 112
		.amdhsa_user_sgpr_count 2
		.amdhsa_user_sgpr_dispatch_ptr 0
		.amdhsa_user_sgpr_queue_ptr 0
		.amdhsa_user_sgpr_kernarg_segment_ptr 1
		.amdhsa_user_sgpr_dispatch_id 0
		.amdhsa_user_sgpr_kernarg_preload_length 0
		.amdhsa_user_sgpr_kernarg_preload_offset 0
		.amdhsa_user_sgpr_private_segment_size 0
		.amdhsa_wavefront_size32 1
		.amdhsa_uses_dynamic_stack 0
		.amdhsa_enable_private_segment 0
		.amdhsa_system_sgpr_workgroup_id_x 1
		.amdhsa_system_sgpr_workgroup_id_y 0
		.amdhsa_system_sgpr_workgroup_id_z 0
		.amdhsa_system_sgpr_workgroup_info 0
		.amdhsa_system_vgpr_workitem_id 0
		.amdhsa_next_free_vgpr 148
		.amdhsa_next_free_sgpr 14
		.amdhsa_named_barrier_count 0
		.amdhsa_reserve_vcc 1
		.amdhsa_float_round_mode_32 0
		.amdhsa_float_round_mode_16_64 0
		.amdhsa_float_denorm_mode_32 3
		.amdhsa_float_denorm_mode_16_64 3
		.amdhsa_fp16_overflow 0
		.amdhsa_memory_ordered 1
		.amdhsa_forward_progress 1
		.amdhsa_inst_pref_size 70
		.amdhsa_round_robin_scheduling 0
		.amdhsa_exception_fp_ieee_invalid_op 0
		.amdhsa_exception_fp_denorm_src 0
		.amdhsa_exception_fp_ieee_div_zero 0
		.amdhsa_exception_fp_ieee_overflow 0
		.amdhsa_exception_fp_ieee_underflow 0
		.amdhsa_exception_fp_ieee_inexact 0
		.amdhsa_exception_int_div_zero 0
	.end_amdhsa_kernel
	.section	.text._ZN9rocsparseL18bsrxmvn_4x4_kernelILj128ELj4E21rocsparse_complex_numIdEliS1_IfES2_S2_EEvT3_20rocsparse_direction_NS_24const_host_device_scalarIT1_EES4_PKS4_PKT2_SD_SA_PKT4_PKT5_S8_PT6_21rocsparse_index_base_b,"axG",@progbits,_ZN9rocsparseL18bsrxmvn_4x4_kernelILj128ELj4E21rocsparse_complex_numIdEliS1_IfES2_S2_EEvT3_20rocsparse_direction_NS_24const_host_device_scalarIT1_EES4_PKS4_PKT2_SD_SA_PKT4_PKT5_S8_PT6_21rocsparse_index_base_b,comdat
.Lfunc_end170:
	.size	_ZN9rocsparseL18bsrxmvn_4x4_kernelILj128ELj4E21rocsparse_complex_numIdEliS1_IfES2_S2_EEvT3_20rocsparse_direction_NS_24const_host_device_scalarIT1_EES4_PKS4_PKT2_SD_SA_PKT4_PKT5_S8_PT6_21rocsparse_index_base_b, .Lfunc_end170-_ZN9rocsparseL18bsrxmvn_4x4_kernelILj128ELj4E21rocsparse_complex_numIdEliS1_IfES2_S2_EEvT3_20rocsparse_direction_NS_24const_host_device_scalarIT1_EES4_PKS4_PKT2_SD_SA_PKT4_PKT5_S8_PT6_21rocsparse_index_base_b
                                        ; -- End function
	.set _ZN9rocsparseL18bsrxmvn_4x4_kernelILj128ELj4E21rocsparse_complex_numIdEliS1_IfES2_S2_EEvT3_20rocsparse_direction_NS_24const_host_device_scalarIT1_EES4_PKS4_PKT2_SD_SA_PKT4_PKT5_S8_PT6_21rocsparse_index_base_b.num_vgpr, 148
	.set _ZN9rocsparseL18bsrxmvn_4x4_kernelILj128ELj4E21rocsparse_complex_numIdEliS1_IfES2_S2_EEvT3_20rocsparse_direction_NS_24const_host_device_scalarIT1_EES4_PKS4_PKT2_SD_SA_PKT4_PKT5_S8_PT6_21rocsparse_index_base_b.num_agpr, 0
	.set _ZN9rocsparseL18bsrxmvn_4x4_kernelILj128ELj4E21rocsparse_complex_numIdEliS1_IfES2_S2_EEvT3_20rocsparse_direction_NS_24const_host_device_scalarIT1_EES4_PKS4_PKT2_SD_SA_PKT4_PKT5_S8_PT6_21rocsparse_index_base_b.numbered_sgpr, 14
	.set _ZN9rocsparseL18bsrxmvn_4x4_kernelILj128ELj4E21rocsparse_complex_numIdEliS1_IfES2_S2_EEvT3_20rocsparse_direction_NS_24const_host_device_scalarIT1_EES4_PKS4_PKT2_SD_SA_PKT4_PKT5_S8_PT6_21rocsparse_index_base_b.num_named_barrier, 0
	.set _ZN9rocsparseL18bsrxmvn_4x4_kernelILj128ELj4E21rocsparse_complex_numIdEliS1_IfES2_S2_EEvT3_20rocsparse_direction_NS_24const_host_device_scalarIT1_EES4_PKS4_PKT2_SD_SA_PKT4_PKT5_S8_PT6_21rocsparse_index_base_b.private_seg_size, 0
	.set _ZN9rocsparseL18bsrxmvn_4x4_kernelILj128ELj4E21rocsparse_complex_numIdEliS1_IfES2_S2_EEvT3_20rocsparse_direction_NS_24const_host_device_scalarIT1_EES4_PKS4_PKT2_SD_SA_PKT4_PKT5_S8_PT6_21rocsparse_index_base_b.uses_vcc, 1
	.set _ZN9rocsparseL18bsrxmvn_4x4_kernelILj128ELj4E21rocsparse_complex_numIdEliS1_IfES2_S2_EEvT3_20rocsparse_direction_NS_24const_host_device_scalarIT1_EES4_PKS4_PKT2_SD_SA_PKT4_PKT5_S8_PT6_21rocsparse_index_base_b.uses_flat_scratch, 0
	.set _ZN9rocsparseL18bsrxmvn_4x4_kernelILj128ELj4E21rocsparse_complex_numIdEliS1_IfES2_S2_EEvT3_20rocsparse_direction_NS_24const_host_device_scalarIT1_EES4_PKS4_PKT2_SD_SA_PKT4_PKT5_S8_PT6_21rocsparse_index_base_b.has_dyn_sized_stack, 0
	.set _ZN9rocsparseL18bsrxmvn_4x4_kernelILj128ELj4E21rocsparse_complex_numIdEliS1_IfES2_S2_EEvT3_20rocsparse_direction_NS_24const_host_device_scalarIT1_EES4_PKS4_PKT2_SD_SA_PKT4_PKT5_S8_PT6_21rocsparse_index_base_b.has_recursion, 0
	.set _ZN9rocsparseL18bsrxmvn_4x4_kernelILj128ELj4E21rocsparse_complex_numIdEliS1_IfES2_S2_EEvT3_20rocsparse_direction_NS_24const_host_device_scalarIT1_EES4_PKS4_PKT2_SD_SA_PKT4_PKT5_S8_PT6_21rocsparse_index_base_b.has_indirect_call, 0
	.section	.AMDGPU.csdata,"",@progbits
; Kernel info:
; codeLenInByte = 8864
; TotalNumSgprs: 16
; NumVgprs: 148
; ScratchSize: 0
; MemoryBound: 0
; FloatMode: 240
; IeeeMode: 1
; LDSByteSize: 0 bytes/workgroup (compile time only)
; SGPRBlocks: 0
; VGPRBlocks: 9
; NumSGPRsForWavesPerEU: 16
; NumVGPRsForWavesPerEU: 148
; NamedBarCnt: 0
; Occupancy: 6
; WaveLimiterHint : 1
; COMPUTE_PGM_RSRC2:SCRATCH_EN: 0
; COMPUTE_PGM_RSRC2:USER_SGPR: 2
; COMPUTE_PGM_RSRC2:TRAP_HANDLER: 0
; COMPUTE_PGM_RSRC2:TGID_X_EN: 1
; COMPUTE_PGM_RSRC2:TGID_Y_EN: 0
; COMPUTE_PGM_RSRC2:TGID_Z_EN: 0
; COMPUTE_PGM_RSRC2:TIDIG_COMP_CNT: 0
	.section	.text._ZN9rocsparseL18bsrxmvn_4x4_kernelILj128ELj8E21rocsparse_complex_numIdEliS1_IfES2_S2_EEvT3_20rocsparse_direction_NS_24const_host_device_scalarIT1_EES4_PKS4_PKT2_SD_SA_PKT4_PKT5_S8_PT6_21rocsparse_index_base_b,"axG",@progbits,_ZN9rocsparseL18bsrxmvn_4x4_kernelILj128ELj8E21rocsparse_complex_numIdEliS1_IfES2_S2_EEvT3_20rocsparse_direction_NS_24const_host_device_scalarIT1_EES4_PKS4_PKT2_SD_SA_PKT4_PKT5_S8_PT6_21rocsparse_index_base_b,comdat
	.globl	_ZN9rocsparseL18bsrxmvn_4x4_kernelILj128ELj8E21rocsparse_complex_numIdEliS1_IfES2_S2_EEvT3_20rocsparse_direction_NS_24const_host_device_scalarIT1_EES4_PKS4_PKT2_SD_SA_PKT4_PKT5_S8_PT6_21rocsparse_index_base_b ; -- Begin function _ZN9rocsparseL18bsrxmvn_4x4_kernelILj128ELj8E21rocsparse_complex_numIdEliS1_IfES2_S2_EEvT3_20rocsparse_direction_NS_24const_host_device_scalarIT1_EES4_PKS4_PKT2_SD_SA_PKT4_PKT5_S8_PT6_21rocsparse_index_base_b
	.p2align	8
	.type	_ZN9rocsparseL18bsrxmvn_4x4_kernelILj128ELj8E21rocsparse_complex_numIdEliS1_IfES2_S2_EEvT3_20rocsparse_direction_NS_24const_host_device_scalarIT1_EES4_PKS4_PKT2_SD_SA_PKT4_PKT5_S8_PT6_21rocsparse_index_base_b,@function
_ZN9rocsparseL18bsrxmvn_4x4_kernelILj128ELj8E21rocsparse_complex_numIdEliS1_IfES2_S2_EEvT3_20rocsparse_direction_NS_24const_host_device_scalarIT1_EES4_PKS4_PKT2_SD_SA_PKT4_PKT5_S8_PT6_21rocsparse_index_base_b: ; @_ZN9rocsparseL18bsrxmvn_4x4_kernelILj128ELj8E21rocsparse_complex_numIdEliS1_IfES2_S2_EEvT3_20rocsparse_direction_NS_24const_host_device_scalarIT1_EES4_PKS4_PKT2_SD_SA_PKT4_PKT5_S8_PT6_21rocsparse_index_base_b
; %bb.0:
	s_clause 0x1
	s_load_b64 s[12:13], s[0:1], 0x68
	s_load_b64 s[2:3], s[0:1], 0x8
	v_mov_b32_e32 v1, 0
	s_add_nc_u64 s[4:5], s[0:1], 8
	s_load_b64 s[6:7], s[0:1], 0x50
	s_wait_kmcnt 0x0
	s_bitcmp1_b32 s13, 0
	s_cselect_b32 s3, s5, s3
	s_cselect_b32 s2, s4, s2
	flat_load_b128 v[6:9], v1, s[2:3]
	s_wait_xcnt 0x0
	s_add_nc_u64 s[2:3], s[0:1], 0x50
	s_delay_alu instid0(SALU_CYCLE_1)
	s_cselect_b32 s3, s3, s7
	s_cselect_b32 s2, s2, s6
	flat_load_b128 v[2:5], v1, s[2:3]
	s_wait_loadcnt_dscnt 0x101
	v_cmp_eq_f64_e32 vcc_lo, 0, v[6:7]
	s_wait_xcnt 0x0
	v_cmp_eq_f64_e64 s2, 0, v[8:9]
	s_and_b32 s4, vcc_lo, s2
	s_mov_b32 s2, -1
	s_and_saveexec_b32 s3, s4
	s_cbranch_execz .LBB171_2
; %bb.1:
	s_wait_loadcnt_dscnt 0x0
	v_cmp_neq_f64_e32 vcc_lo, 1.0, v[2:3]
	v_cmp_neq_f64_e64 s2, 0, v[4:5]
	s_or_b32 s2, vcc_lo, s2
	s_delay_alu instid0(SALU_CYCLE_1)
	s_or_not1_b32 s2, s2, exec_lo
.LBB171_2:
	s_or_b32 exec_lo, exec_lo, s3
	s_and_saveexec_b32 s3, s2
	s_cbranch_execz .LBB171_8
; %bb.3:
	s_clause 0x1
	s_load_b64 s[4:5], s[0:1], 0x20
	s_load_b64 s[2:3], s[0:1], 0x0
	s_bfe_u32 s6, ttmp6, 0x4000c
	s_and_b32 s7, ttmp6, 15
	s_add_co_i32 s6, s6, 1
	s_getreg_b32 s8, hwreg(HW_REG_IB_STS2, 6, 4)
	s_mul_i32 s6, ttmp9, s6
	v_lshrrev_b32_e32 v1, 3, v0
	s_add_co_i32 s7, s7, s6
	s_cmp_eq_u32 s8, 0
	s_cselect_b32 s6, ttmp9, s7
	s_delay_alu instid0(VALU_DEP_1) | instid1(SALU_CYCLE_1)
	v_lshl_or_b32 v26, s6, 4, v1
	s_mov_b32 s6, 0
	s_wait_kmcnt 0x0
	s_cmp_lg_u64 s[4:5], 0
	s_cbranch_scc0 .LBB171_9
; %bb.4:
	s_load_b32 s6, s[0:1], 0x18
	s_mov_b32 s7, 0
                                        ; implicit-def: $vgpr1
	s_wait_kmcnt 0x0
	v_cmp_gt_i32_e32 vcc_lo, s6, v26
	s_mov_b32 s6, 0
	s_and_saveexec_b32 s8, vcc_lo
	s_delay_alu instid0(SALU_CYCLE_1)
	s_xor_b32 s8, exec_lo, s8
	s_cbranch_execz .LBB171_6
; %bb.5:
	global_load_b32 v1, v26, s[4:5] scale_offset
	s_mov_b32 s6, exec_lo
	s_wait_loadcnt 0x0
	v_subrev_nc_u32_e32 v1, s12, v1
.LBB171_6:
	s_or_b32 exec_lo, exec_lo, s8
	s_delay_alu instid0(SALU_CYCLE_1)
	s_and_b32 vcc_lo, exec_lo, s7
	s_cbranch_vccz .LBB171_10
.LBB171_7:
	v_cmp_gt_i32_e32 vcc_lo, s2, v26
	s_and_not1_b32 s2, s6, exec_lo
	s_and_b32 s4, vcc_lo, exec_lo
	s_delay_alu instid0(SALU_CYCLE_1) | instskip(NEXT) | instid1(SALU_CYCLE_1)
	s_or_b32 s6, s2, s4
	s_and_b32 exec_lo, exec_lo, s6
	s_cbranch_execnz .LBB171_11
.LBB171_8:
	s_sendmsg sendmsg(MSG_DEALLOC_VGPRS)
	s_endpgm
.LBB171_9:
                                        ; implicit-def: $vgpr1
	s_cbranch_execnz .LBB171_7
.LBB171_10:
	s_delay_alu instid0(VALU_DEP_1)
	v_mov_b32_e32 v26, v1
	s_and_b32 exec_lo, exec_lo, s6
	s_cbranch_execz .LBB171_8
.LBB171_11:
	s_load_b256 s[4:11], s[0:1], 0x28
	s_mov_b32 s13, 0
	v_dual_mov_b32 v1, 0 :: v_dual_bitop2_b32 v0, 7, v0 bitop3:0x40
	s_wait_kmcnt 0x0
	s_cmp_eq_u64 s[6:7], 0
	global_load_b64 v[34:35], v26, s[4:5] scale_offset
	s_cselect_b32 vcc_lo, -1, 0
	v_ashrrev_i32_e32 v27, 31, v26
	s_cmp_eq_u32 s3, 1
	s_delay_alu instid0(VALU_DEP_1) | instskip(NEXT) | instid1(VALU_DEP_1)
	v_lshlrev_b64_e32 v[10:11], 3, v[26:27]
	v_add_nc_u64_e32 v[12:13], s[4:5], v[10:11]
	v_add_nc_u64_e32 v[10:11], s[6:7], v[10:11]
	s_wait_xcnt 0x0
	s_load_b64 s[4:5], s[0:1], 0x48
	s_delay_alu instid0(VALU_DEP_2) | instskip(NEXT) | instid1(VALU_DEP_1)
	v_add_nc_u64_e32 v[12:13], 8, v[12:13]
	v_dual_cndmask_b32 v11, v11, v13 :: v_dual_cndmask_b32 v10, v10, v12
	global_load_b64 v[10:11], v[10:11], off
	s_wait_loadcnt 0x1
	v_sub_nc_u64_e64 v[12:13], v[34:35], s[12:13]
	s_delay_alu instid0(VALU_DEP_1) | instskip(NEXT) | instid1(VALU_DEP_1)
	v_add_nc_u64_e32 v[18:19], v[12:13], v[0:1]
	v_lshlrev_b64_e32 v[12:13], 7, v[18:19]
	s_delay_alu instid0(VALU_DEP_1) | instskip(SKIP_2) | instid1(VALU_DEP_1)
	v_add_nc_u64_e32 v[22:23], s[10:11], v[12:13]
	s_wait_loadcnt 0x0
	v_sub_nc_u64_e64 v[20:21], v[10:11], s[12:13]
	v_cmp_lt_i64_e64 s2, v[18:19], v[20:21]
	s_cbranch_scc1 .LBB171_23
; %bb.12:
	v_mov_b64_e32 v[10:11], 0
	v_mov_b64_e32 v[28:29], 0
	v_mov_b64_e32 v[12:13], 0
	v_mov_b64_e32 v[30:31], 0
	v_mov_b64_e32 v[14:15], 0
	v_mov_b64_e32 v[32:33], 0
	v_mov_b64_e32 v[16:17], 0
	v_mov_b64_e32 v[24:25], 0
	s_and_saveexec_b32 s3, s2
	s_cbranch_execz .LBB171_22
; %bb.13:
	v_dual_mov_b32 v11, v1 :: v_dual_bitop2_b32 v10, 8, v0 bitop3:0x54
	v_sub_nc_u64_e32 v[12:13], s[12:13], v[0:1]
	v_not_b32_e32 v15, v35
	v_not_b32_e32 v14, v34
	v_mov_b64_e32 v[24:25], 0
	v_sub_nc_u64_e64 v[10:11], v[10:11], s[12:13]
	v_mov_b64_e32 v[16:17], 0
	v_mov_b64_e32 v[32:33], 0
	v_add_nc_u64_e32 v[12:13], v[12:13], v[14:15]
	v_mov_b64_e32 v[14:15], 0
	v_mov_b64_e32 v[30:31], 0
	;; [unrolled: 1-line block ×3, first 2 shown]
	v_add_nc_u64_e32 v[10:11], v[10:11], v[34:35]
	v_mov_b64_e32 v[36:37], v[22:23]
	v_mov_b64_e32 v[38:39], v[18:19]
	s_mov_b32 s6, exec_lo
	s_delay_alu instid0(VALU_DEP_3) | instskip(NEXT) | instid1(VALU_DEP_1)
	v_max_i64 v[10:11], v[10:11], v[20:21]
	v_add_nc_u64_e32 v[40:41], v[12:13], v[10:11]
	v_mov_b64_e32 v[12:13], 0
	v_mov_b64_e32 v[10:11], 0
	s_delay_alu instid0(VALU_DEP_3) | instskip(NEXT) | instid1(VALU_DEP_1)
	v_dual_mov_b32 v45, 0 :: v_dual_bitop2_b32 v44, 24, v40 bitop3:0x40
	v_cmpx_ne_u64_e32 24, v[44:45]
	s_cbranch_execz .LBB171_17
; %bb.14:
	v_lshrrev_b32_e32 v10, 3, v40
	v_mov_b64_e32 v[28:29], 0
	v_mov_b64_e32 v[12:13], 0
	;; [unrolled: 1-line block ×4, first 2 shown]
	v_add_nc_u32_e32 v14, 1, v10
	v_mov_b64_e32 v[10:11], 0
	v_mov_b64_e32 v[16:17], 0
	;; [unrolled: 1-line block ×4, first 2 shown]
	v_and_b32_e32 v44, 3, v14
	v_mov_b64_e32 v[14:15], 0
	v_mov_b64_e32 v[36:37], v[22:23]
	v_lshl_add_u64 v[42:43], v[18:19], 2, s[8:9]
	s_mov_b32 s7, 0
	v_sub_nc_u64_e32 v[44:45], 0, v[44:45]
.LBB171_15:                             ; =>This Inner Loop Header: Depth=1
	global_load_b32 v27, v[42:43], off
	s_clause 0x3
	global_load_b128 v[46:49], v[36:37], off
	global_load_b128 v[50:53], v[36:37], off offset:32
	global_load_b128 v[54:57], v[36:37], off offset:64
	;; [unrolled: 1-line block ×3, first 2 shown]
	v_add_nc_u64_e32 v[44:45], 1, v[44:45]
	v_add_nc_u64_e32 v[38:39], 8, v[38:39]
	s_wait_xcnt 0x4
	v_add_nc_u64_e32 v[42:43], 32, v[42:43]
	s_delay_alu instid0(VALU_DEP_3)
	v_cmp_eq_u64_e32 vcc_lo, 0, v[44:45]
	s_or_b32 s7, vcc_lo, s7
	s_wait_loadcnt 0x4
	v_subrev_nc_u32_e32 v27, s12, v27
	s_wait_loadcnt 0x3
	v_cvt_f64_f32_e32 v[94:95], v46
	v_cvt_f64_f32_e32 v[46:47], v47
	s_wait_loadcnt 0x2
	v_cvt_f64_f32_e32 v[96:97], v50
	v_cvt_f64_f32_e32 v[50:51], v51
	v_lshlrev_b32_e32 v27, 2, v27
	s_wait_loadcnt 0x1
	v_cvt_f64_f32_e32 v[98:99], v54
	v_cvt_f64_f32_e32 v[54:55], v55
	s_wait_loadcnt 0x0
	v_cvt_f64_f32_e32 v[100:101], v58
	v_cvt_f64_f32_e32 v[58:59], v59
	s_wait_kmcnt 0x0
	s_clause 0x1
	global_load_b128 v[62:65], v27, s[4:5] scale_offset
	global_load_b128 v[66:69], v27, s[4:5] offset:16 scale_offset
	s_clause 0x3
	global_load_b128 v[70:73], v[36:37], off offset:16
	global_load_b128 v[74:77], v[36:37], off offset:48
	;; [unrolled: 1-line block ×4, first 2 shown]
	s_clause 0x1
	global_load_b128 v[86:89], v27, s[4:5] offset:32 scale_offset
	global_load_b128 v[90:93], v27, s[4:5] offset:48 scale_offset
	v_cvt_f64_f32_e32 v[102:103], v52
	v_cvt_f64_f32_e32 v[52:53], v53
	;; [unrolled: 1-line block ×6, first 2 shown]
	s_wait_xcnt 0x2
	v_add_nc_u64_e32 v[36:37], 0x400, v[36:37]
	s_wait_loadcnt 0x7
	v_fmac_f64_e32 v[28:29], v[94:95], v[62:63]
	v_fmac_f64_e32 v[10:11], v[46:47], v[62:63]
	;; [unrolled: 1-line block ×8, first 2 shown]
	v_cvt_f64_f32_e32 v[62:63], v48
	v_cvt_f64_f32_e32 v[48:49], v49
	v_fma_f64 v[28:29], -v[46:47], v[64:65], v[28:29]
	v_fmac_f64_e32 v[10:11], v[94:95], v[64:65]
	v_fma_f64 v[30:31], -v[50:51], v[64:65], v[30:31]
	v_fmac_f64_e32 v[12:13], v[96:97], v[64:65]
	;; [unrolled: 2-line block ×4, first 2 shown]
	s_wait_loadcnt 0x5
	v_cvt_f64_f32_e32 v[46:47], v70
	v_cvt_f64_f32_e32 v[50:51], v71
	s_wait_loadcnt 0x4
	v_cvt_f64_f32_e32 v[54:55], v74
	v_cvt_f64_f32_e32 v[58:59], v75
	s_wait_loadcnt 0x3
	v_cvt_f64_f32_e32 v[64:65], v78
	s_wait_loadcnt 0x2
	v_cvt_f64_f32_e32 v[70:71], v82
	v_cvt_f64_f32_e32 v[74:75], v83
	v_fmac_f64_e32 v[28:29], v[62:63], v[66:67]
	v_fmac_f64_e32 v[10:11], v[48:49], v[66:67]
	;; [unrolled: 1-line block ×8, first 2 shown]
	v_cvt_f64_f32_e32 v[66:67], v79
	v_fma_f64 v[28:29], -v[48:49], v[68:69], v[28:29]
	v_fmac_f64_e32 v[10:11], v[62:63], v[68:69]
	v_fma_f64 v[30:31], -v[52:53], v[68:69], v[30:31]
	v_fmac_f64_e32 v[12:13], v[102:103], v[68:69]
	;; [unrolled: 2-line block ×4, first 2 shown]
	v_cvt_f64_f32_e32 v[48:49], v72
	v_cvt_f64_f32_e32 v[52:53], v73
	;; [unrolled: 1-line block ×8, first 2 shown]
	s_wait_loadcnt 0x1
	v_fmac_f64_e32 v[28:29], v[46:47], v[86:87]
	v_fmac_f64_e32 v[10:11], v[50:51], v[86:87]
	;; [unrolled: 1-line block ×8, first 2 shown]
	v_fma_f64 v[28:29], -v[50:51], v[88:89], v[28:29]
	v_fmac_f64_e32 v[10:11], v[46:47], v[88:89]
	v_fma_f64 v[30:31], -v[58:59], v[88:89], v[30:31]
	v_fmac_f64_e32 v[12:13], v[54:55], v[88:89]
	;; [unrolled: 2-line block ×4, first 2 shown]
	s_wait_loadcnt 0x0
	v_fmac_f64_e32 v[28:29], v[48:49], v[90:91]
	v_fmac_f64_e32 v[10:11], v[52:53], v[90:91]
	;; [unrolled: 1-line block ×8, first 2 shown]
	v_fma_f64 v[28:29], -v[52:53], v[92:93], v[28:29]
	v_fmac_f64_e32 v[10:11], v[48:49], v[92:93]
	v_fma_f64 v[30:31], -v[60:61], v[92:93], v[30:31]
	v_fmac_f64_e32 v[12:13], v[56:57], v[92:93]
	;; [unrolled: 2-line block ×4, first 2 shown]
	s_and_not1_b32 exec_lo, exec_lo, s7
	s_cbranch_execnz .LBB171_15
; %bb.16:
	s_or_b32 exec_lo, exec_lo, s7
.LBB171_17:
	s_delay_alu instid0(SALU_CYCLE_1) | instskip(NEXT) | instid1(SALU_CYCLE_1)
	s_or_b32 exec_lo, exec_lo, s6
	s_mov_b32 s6, exec_lo
	v_cmpx_lt_u64_e32 23, v[40:41]
	s_cbranch_execz .LBB171_21
; %bb.18:
	v_lshl_add_u64 v[40:41], v[38:39], 2, s[8:9]
	s_mov_b32 s7, 0
	s_delay_alu instid0(VALU_DEP_1)
	v_add_nc_u64_e32 v[40:41], 64, v[40:41]
.LBB171_19:                             ; =>This Inner Loop Header: Depth=1
	s_clause 0x1
	global_load_b32 v27, v[40:41], off offset:-64
	global_load_b32 v106, v[40:41], off offset:-32
	s_clause 0x3
	global_load_b128 v[42:45], v[36:37], off
	global_load_b128 v[46:49], v[36:37], off offset:32
	global_load_b128 v[50:53], v[36:37], off offset:64
	;; [unrolled: 1-line block ×3, first 2 shown]
	s_clause 0x1
	global_load_b32 v146, v[40:41], off
	global_load_b32 v147, v[40:41], off offset:32
	v_add_nc_u64_e32 v[38:39], 32, v[38:39]
	s_wait_xcnt 0x0
	v_add_nc_u64_e32 v[40:41], 0x80, v[40:41]
	s_delay_alu instid0(VALU_DEP_2)
	v_cmp_ge_i64_e32 vcc_lo, v[38:39], v[20:21]
	s_or_b32 s7, vcc_lo, s7
	s_wait_loadcnt 0x7
	v_subrev_nc_u32_e32 v27, s12, v27
	s_wait_loadcnt 0x5
	v_cvt_f64_f32_e32 v[130:131], v42
	v_cvt_f64_f32_e32 v[42:43], v43
	s_wait_loadcnt 0x4
	v_cvt_f64_f32_e32 v[132:133], v46
	v_lshlrev_b32_e32 v27, 2, v27
	v_cvt_f64_f32_e32 v[46:47], v47
	s_wait_loadcnt 0x3
	v_cvt_f64_f32_e32 v[134:135], v50
	v_cvt_f64_f32_e32 v[50:51], v51
	s_wait_loadcnt 0x2
	v_cvt_f64_f32_e32 v[136:137], v54
	s_wait_kmcnt 0x0
	s_clause 0x1
	global_load_b128 v[58:61], v27, s[4:5] scale_offset
	global_load_b128 v[62:65], v27, s[4:5] offset:16 scale_offset
	s_clause 0x3
	global_load_b128 v[66:69], v[36:37], off offset:16
	global_load_b128 v[70:73], v[36:37], off offset:48
	;; [unrolled: 1-line block ×4, first 2 shown]
	s_clause 0x1
	global_load_b128 v[82:85], v27, s[4:5] offset:32 scale_offset
	global_load_b128 v[86:89], v27, s[4:5] offset:48 scale_offset
	s_clause 0x3
	global_load_b128 v[90:93], v[36:37], off offset:1024
	global_load_b128 v[94:97], v[36:37], off offset:1056
	;; [unrolled: 1-line block ×4, first 2 shown]
	s_wait_xcnt 0x4
	v_subrev_nc_u32_e32 v27, s12, v106
	v_cvt_f64_f32_e32 v[54:55], v55
	v_cvt_f64_f32_e32 v[138:139], v48
	;; [unrolled: 1-line block ×7, first 2 shown]
	s_wait_loadcnt 0xb
	v_fmac_f64_e32 v[30:31], v[132:133], v[58:59]
	v_lshlrev_b32_e32 v27, 2, v27
	v_fmac_f64_e32 v[28:29], v[130:131], v[58:59]
	v_fmac_f64_e32 v[12:13], v[46:47], v[58:59]
	;; [unrolled: 1-line block ×7, first 2 shown]
	v_cvt_f64_f32_e32 v[58:59], v44
	v_cvt_f64_f32_e32 v[44:45], v45
	v_fma_f64 v[46:47], -v[46:47], v[60:61], v[30:31]
	s_clause 0x1
	global_load_b128 v[106:109], v27, s[4:5] scale_offset
	global_load_b128 v[110:113], v27, s[4:5] offset:16 scale_offset
	v_fma_f64 v[42:43], -v[42:43], v[60:61], v[28:29]
	v_fmac_f64_e32 v[10:11], v[130:131], v[60:61]
	s_clause 0x3
	global_load_b128 v[114:117], v[36:37], off offset:1040
	global_load_b128 v[118:121], v[36:37], off offset:1072
	;; [unrolled: 1-line block ×4, first 2 shown]
	v_fmac_f64_e32 v[12:13], v[132:133], v[60:61]
	v_fmac_f64_e32 v[14:15], v[134:135], v[60:61]
	v_fma_f64 v[24:25], -v[54:55], v[60:61], v[24:25]
	v_fmac_f64_e32 v[16:17], v[136:137], v[60:61]
	global_load_b128 v[28:31], v27, s[4:5] offset:32 scale_offset
	s_wait_loadcnt 0xf
	v_cvt_f64_f32_e32 v[130:131], v70
	v_cvt_f64_f32_e32 v[70:71], v71
	s_wait_loadcnt 0xe
	v_cvt_f64_f32_e32 v[132:133], v74
	v_cvt_f64_f32_e32 v[74:75], v75
	;; [unrolled: 3-line block ×3, first 2 shown]
	v_fmac_f64_e32 v[46:47], v[138:139], v[62:63]
	v_fmac_f64_e32 v[42:43], v[58:59], v[62:63]
	;; [unrolled: 1-line block ×7, first 2 shown]
	v_fma_f64 v[144:145], -v[48:49], v[64:65], v[46:47]
	v_fma_f64 v[136:137], -v[44:45], v[64:65], v[42:43]
	global_load_b128 v[42:45], v27, s[4:5] offset:48 scale_offset
	s_wait_xcnt 0x0
	v_subrev_nc_u32_e32 v27, s12, v146
	v_fma_f64 v[32:33], -v[50:51], v[60:61], v[32:33]
	v_fmac_f64_e32 v[10:11], v[58:59], v[64:65]
	v_fmac_f64_e32 v[12:13], v[138:139], v[64:65]
	;; [unrolled: 1-line block ×3, first 2 shown]
	v_dual_fma_f64 v[24:25], -v[56:57], v[64:65], v[24:25] :: v_dual_lshlrev_b32 v27, 2, v27
	v_fmac_f64_e32 v[16:17], v[142:143], v[64:65]
	v_cvt_f64_f32_e32 v[138:139], v72
	v_cvt_f64_f32_e32 v[72:73], v73
	;; [unrolled: 1-line block ×4, first 2 shown]
	s_wait_loadcnt 0xd
	v_fmac_f64_e32 v[144:145], v[130:131], v[82:83]
	v_fmac_f64_e32 v[32:33], v[140:141], v[62:63]
	v_cvt_f64_f32_e32 v[62:63], v66
	v_cvt_f64_f32_e32 v[66:67], v67
	v_fmac_f64_e32 v[12:13], v[70:71], v[82:83]
	v_fmac_f64_e32 v[14:15], v[74:75], v[82:83]
	;; [unrolled: 1-line block ×4, first 2 shown]
	v_cvt_f64_f32_e32 v[140:141], v76
	v_cvt_f64_f32_e32 v[76:77], v77
	v_fma_f64 v[70:71], -v[70:71], v[84:85], v[144:145]
	v_fma_f64 v[32:33], -v[52:53], v[64:65], v[32:33]
	v_fmac_f64_e32 v[136:137], v[62:63], v[82:83]
	v_fmac_f64_e32 v[10:11], v[66:67], v[82:83]
	s_clause 0x3
	global_load_b128 v[46:49], v[36:37], off offset:2048
	global_load_b128 v[50:53], v[36:37], off offset:2080
	;; [unrolled: 1-line block ×4, first 2 shown]
	v_fmac_f64_e32 v[12:13], v[130:131], v[84:85]
	v_fmac_f64_e32 v[14:15], v[132:133], v[84:85]
	v_fma_f64 v[24:25], -v[78:79], v[84:85], v[24:25]
	v_fmac_f64_e32 v[16:17], v[134:135], v[84:85]
	s_wait_loadcnt 0xe
	v_cvt_f64_f32_e32 v[130:131], v94
	v_cvt_f64_f32_e32 v[94:95], v95
	s_wait_loadcnt 0xc
	v_cvt_f64_f32_e32 v[134:135], v102
	v_cvt_f64_f32_e32 v[102:103], v103
	v_fmac_f64_e32 v[70:71], v[138:139], v[86:87]
	v_fmac_f64_e32 v[32:33], v[132:133], v[82:83]
	v_cvt_f64_f32_e32 v[82:83], v68
	v_cvt_f64_f32_e32 v[68:69], v69
	v_fma_f64 v[66:67], -v[66:67], v[84:85], v[136:137]
	v_fmac_f64_e32 v[10:11], v[62:63], v[84:85]
	global_load_b128 v[62:65], v27, s[4:5] scale_offset
	v_fmac_f64_e32 v[12:13], v[72:73], v[86:87]
	v_fmac_f64_e32 v[14:15], v[76:77], v[86:87]
	;; [unrolled: 1-line block ×4, first 2 shown]
	v_cvt_f64_f32_e32 v[132:133], v98
	v_cvt_f64_f32_e32 v[98:99], v99
	v_fma_f64 v[144:145], -v[72:73], v[88:89], v[70:71]
	v_fma_f64 v[32:33], -v[74:75], v[84:85], v[32:33]
	v_fmac_f64_e32 v[66:67], v[82:83], v[86:87]
	v_fmac_f64_e32 v[10:11], v[68:69], v[86:87]
	;; [unrolled: 1-line block ×4, first 2 shown]
	v_fma_f64 v[24:25], -v[80:81], v[88:89], v[24:25]
	v_fmac_f64_e32 v[16:17], v[142:143], v[88:89]
	v_cvt_f64_f32_e32 v[138:139], v96
	v_cvt_f64_f32_e32 v[96:97], v97
	v_cvt_f64_f32_e32 v[142:143], v104
	v_cvt_f64_f32_e32 v[104:105], v105
	v_fmac_f64_e32 v[32:33], v[140:141], v[86:87]
	v_cvt_f64_f32_e32 v[86:87], v90
	v_cvt_f64_f32_e32 v[90:91], v91
	v_fma_f64 v[136:137], -v[68:69], v[88:89], v[66:67]
	v_fmac_f64_e32 v[10:11], v[82:83], v[88:89]
	global_load_b128 v[66:69], v27, s[4:5] offset:16 scale_offset
	v_cvt_f64_f32_e32 v[140:141], v100
	v_cvt_f64_f32_e32 v[100:101], v101
	v_fma_f64 v[32:33], -v[76:77], v[88:89], v[32:33]
	s_clause 0x3
	global_load_b128 v[70:73], v[36:37], off offset:2096
	global_load_b128 v[74:77], v[36:37], off offset:2064
	;; [unrolled: 1-line block ×4, first 2 shown]
	s_wait_loadcnt 0x11
	v_fmac_f64_e32 v[136:137], v[86:87], v[106:107]
	v_fmac_f64_e32 v[10:11], v[90:91], v[106:107]
	;; [unrolled: 1-line block ×8, first 2 shown]
	v_cvt_f64_f32_e32 v[106:107], v92
	v_cvt_f64_f32_e32 v[92:93], v93
	v_fma_f64 v[90:91], -v[90:91], v[108:109], v[136:137]
	v_fmac_f64_e32 v[10:11], v[86:87], v[108:109]
	v_fma_f64 v[94:95], -v[94:95], v[108:109], v[144:145]
	v_fmac_f64_e32 v[12:13], v[130:131], v[108:109]
	;; [unrolled: 2-line block ×4, first 2 shown]
	global_load_b128 v[86:89], v27, s[4:5] offset:32 scale_offset
	s_wait_loadcnt 0xf
	v_cvt_f64_f32_e32 v[130:131], v118
	v_cvt_f64_f32_e32 v[118:119], v119
	s_wait_loadcnt 0xe
	v_cvt_f64_f32_e32 v[132:133], v122
	v_cvt_f64_f32_e32 v[122:123], v123
	;; [unrolled: 3-line block ×3, first 2 shown]
	v_fmac_f64_e32 v[90:91], v[106:107], v[110:111]
	v_fmac_f64_e32 v[10:11], v[92:93], v[110:111]
	;; [unrolled: 1-line block ×8, first 2 shown]
	v_cvt_f64_f32_e32 v[110:111], v114
	v_cvt_f64_f32_e32 v[114:115], v115
	v_fma_f64 v[136:137], -v[92:93], v[112:113], v[90:91]
	v_fmac_f64_e32 v[10:11], v[106:107], v[112:113]
	v_fma_f64 v[144:145], -v[96:97], v[112:113], v[94:95]
	v_fmac_f64_e32 v[12:13], v[138:139], v[112:113]
	;; [unrolled: 2-line block ×4, first 2 shown]
	global_load_b128 v[90:93], v27, s[4:5] offset:48 scale_offset
	s_clause 0x3
	global_load_b128 v[94:97], v[36:37], off offset:3104
	global_load_b128 v[98:101], v[36:37], off offset:3072
	;; [unrolled: 1-line block ×4, first 2 shown]
	v_cvt_f64_f32_e32 v[112:113], v116
	v_cvt_f64_f32_e32 v[116:117], v117
	;; [unrolled: 1-line block ×8, first 2 shown]
	s_wait_xcnt 0x4
	v_subrev_nc_u32_e32 v27, s12, v147
	s_delay_alu instid0(VALU_DEP_1)
	v_lshlrev_b32_e32 v27, 2, v27
	s_wait_loadcnt 0x11
	v_fmac_f64_e32 v[136:137], v[110:111], v[28:29]
	v_fmac_f64_e32 v[10:11], v[114:115], v[28:29]
	;; [unrolled: 1-line block ×8, first 2 shown]
	v_fma_f64 v[114:115], -v[114:115], v[30:31], v[136:137]
	v_fmac_f64_e32 v[10:11], v[110:111], v[30:31]
	v_fma_f64 v[110:111], -v[118:119], v[30:31], v[144:145]
	v_fmac_f64_e32 v[12:13], v[130:131], v[30:31]
	;; [unrolled: 2-line block ×4, first 2 shown]
	global_load_b128 v[28:31], v27, s[4:5] scale_offset
	s_wait_loadcnt 0x10
	v_cvt_f64_f32_e32 v[126:127], v46
	v_cvt_f64_f32_e32 v[46:47], v47
	s_wait_loadcnt 0xf
	v_cvt_f64_f32_e32 v[130:131], v50
	v_cvt_f64_f32_e32 v[50:51], v51
	s_wait_loadcnt 0xe
	v_cvt_f64_f32_e32 v[132:133], v54
	v_cvt_f64_f32_e32 v[54:55], v55
	s_wait_loadcnt 0xd
	v_cvt_f64_f32_e32 v[134:135], v58
	v_cvt_f64_f32_e32 v[58:59], v59
	v_fmac_f64_e32 v[114:115], v[112:113], v[42:43]
	v_fmac_f64_e32 v[10:11], v[116:117], v[42:43]
	;; [unrolled: 1-line block ×8, first 2 shown]
	v_fma_f64 v[136:137], -v[116:117], v[44:45], v[114:115]
	v_fmac_f64_e32 v[10:11], v[112:113], v[44:45]
	v_fma_f64 v[144:145], -v[120:121], v[44:45], v[110:111]
	v_fmac_f64_e32 v[12:13], v[138:139], v[44:45]
	;; [unrolled: 2-line block ×4, first 2 shown]
	global_load_b128 v[42:45], v27, s[4:5] offset:16 scale_offset
	s_clause 0x3
	global_load_b128 v[110:113], v[36:37], off offset:3120
	global_load_b128 v[114:117], v[36:37], off offset:3088
	;; [unrolled: 1-line block ×4, first 2 shown]
	v_cvt_f64_f32_e32 v[128:129], v49
	v_cvt_f64_f32_e32 v[138:139], v52
	;; [unrolled: 1-line block ×7, first 2 shown]
	s_wait_xcnt 0x0
	v_add_nc_u64_e32 v[36:37], 0x1000, v[36:37]
	s_wait_loadcnt 0x11
	v_fmac_f64_e32 v[136:137], v[126:127], v[62:63]
	v_fmac_f64_e32 v[10:11], v[46:47], v[62:63]
	;; [unrolled: 1-line block ×8, first 2 shown]
	v_cvt_f64_f32_e32 v[62:63], v48
	v_fma_f64 v[136:137], -v[46:47], v[64:65], v[136:137]
	v_fmac_f64_e32 v[10:11], v[126:127], v[64:65]
	v_fma_f64 v[50:51], -v[50:51], v[64:65], v[144:145]
	v_fmac_f64_e32 v[12:13], v[130:131], v[64:65]
	;; [unrolled: 2-line block ×4, first 2 shown]
	global_load_b128 v[46:49], v27, s[4:5] offset:32 scale_offset
	s_wait_loadcnt 0xf
	v_cvt_f64_f32_e32 v[54:55], v74
	v_cvt_f64_f32_e32 v[58:59], v75
	;; [unrolled: 1-line block ×3, first 2 shown]
	s_wait_loadcnt 0xe
	v_cvt_f64_f32_e32 v[74:75], v79
	v_fmac_f64_e32 v[136:137], v[62:63], v[66:67]
	v_fmac_f64_e32 v[10:11], v[128:129], v[66:67]
	;; [unrolled: 1-line block ×8, first 2 shown]
	v_cvt_f64_f32_e32 v[66:67], v71
	v_cvt_f64_f32_e32 v[70:71], v78
	s_wait_loadcnt 0xd
	v_cvt_f64_f32_e32 v[78:79], v82
	v_cvt_f64_f32_e32 v[82:83], v83
	v_fma_f64 v[126:127], -v[128:129], v[68:69], v[136:137]
	v_fmac_f64_e32 v[10:11], v[62:63], v[68:69]
	v_fma_f64 v[62:63], -v[52:53], v[68:69], v[50:51]
	v_fmac_f64_e32 v[12:13], v[138:139], v[68:69]
	;; [unrolled: 2-line block ×4, first 2 shown]
	global_load_b128 v[50:53], v27, s[4:5] offset:48 scale_offset
	v_cvt_f64_f32_e32 v[56:57], v76
	v_cvt_f64_f32_e32 v[60:61], v77
	;; [unrolled: 1-line block ×6, first 2 shown]
	s_wait_loadcnt 0xd
	v_fmac_f64_e32 v[126:127], v[54:55], v[86:87]
	v_fmac_f64_e32 v[10:11], v[58:59], v[86:87]
	;; [unrolled: 1-line block ×8, first 2 shown]
	v_cvt_f64_f32_e32 v[86:87], v84
	v_cvt_f64_f32_e32 v[84:85], v85
	v_fma_f64 v[58:59], -v[58:59], v[88:89], v[126:127]
	v_fmac_f64_e32 v[10:11], v[54:55], v[88:89]
	v_fma_f64 v[54:55], -v[66:67], v[88:89], v[62:63]
	v_fmac_f64_e32 v[12:13], v[64:65], v[88:89]
	;; [unrolled: 2-line block ×4, first 2 shown]
	s_wait_loadcnt 0xa
	v_cvt_f64_f32_e32 v[62:63], v98
	v_cvt_f64_f32_e32 v[64:65], v99
	;; [unrolled: 1-line block ×4, first 2 shown]
	s_wait_loadcnt 0x8
	v_cvt_f64_f32_e32 v[74:75], v106
	v_cvt_f64_f32_e32 v[78:79], v107
	;; [unrolled: 1-line block ×4, first 2 shown]
	v_fmac_f64_e32 v[58:59], v[56:57], v[90:91]
	v_fmac_f64_e32 v[10:11], v[60:61], v[90:91]
	;; [unrolled: 1-line block ×8, first 2 shown]
	v_fma_f64 v[58:59], -v[60:61], v[92:93], v[58:59]
	v_fmac_f64_e32 v[10:11], v[56:57], v[92:93]
	v_fma_f64 v[54:55], -v[72:73], v[92:93], v[54:55]
	v_fmac_f64_e32 v[12:13], v[68:69], v[92:93]
	;; [unrolled: 2-line block ×4, first 2 shown]
	v_cvt_f64_f32_e32 v[56:57], v101
	v_cvt_f64_f32_e32 v[60:61], v96
	;; [unrolled: 1-line block ×7, first 2 shown]
	s_wait_loadcnt 0x7
	v_fmac_f64_e32 v[58:59], v[62:63], v[28:29]
	v_fmac_f64_e32 v[10:11], v[64:65], v[28:29]
	;; [unrolled: 1-line block ×8, first 2 shown]
	v_cvt_f64_f32_e32 v[28:29], v100
	v_fma_f64 v[58:59], -v[64:65], v[30:31], v[58:59]
	v_fmac_f64_e32 v[10:11], v[62:63], v[30:31]
	v_fma_f64 v[54:55], -v[70:71], v[30:31], v[54:55]
	v_fmac_f64_e32 v[12:13], v[66:67], v[30:31]
	;; [unrolled: 2-line block ×4, first 2 shown]
	s_wait_loadcnt 0x4
	v_cvt_f64_f32_e32 v[30:31], v114
	v_cvt_f64_f32_e32 v[62:63], v110
	;; [unrolled: 1-line block ×3, first 2 shown]
	s_wait_loadcnt 0x2
	v_cvt_f64_f32_e32 v[66:67], v122
	v_cvt_f64_f32_e32 v[70:71], v123
	;; [unrolled: 1-line block ×4, first 2 shown]
	v_fmac_f64_e32 v[58:59], v[28:29], v[42:43]
	v_fmac_f64_e32 v[10:11], v[56:57], v[42:43]
	;; [unrolled: 1-line block ×8, first 2 shown]
	v_cvt_f64_f32_e32 v[42:43], v115
	v_fma_f64 v[56:57], -v[56:57], v[44:45], v[58:59]
	v_fmac_f64_e32 v[10:11], v[28:29], v[44:45]
	v_fma_f64 v[28:29], -v[68:69], v[44:45], v[54:55]
	v_fmac_f64_e32 v[12:13], v[60:61], v[44:45]
	;; [unrolled: 2-line block ×4, first 2 shown]
	v_cvt_f64_f32_e32 v[44:45], v116
	v_cvt_f64_f32_e32 v[54:55], v112
	;; [unrolled: 1-line block ×7, first 2 shown]
	s_wait_loadcnt 0x1
	v_fmac_f64_e32 v[56:57], v[30:31], v[46:47]
	v_fmac_f64_e32 v[10:11], v[42:43], v[46:47]
	;; [unrolled: 1-line block ×8, first 2 shown]
	v_cvt_f64_f32_e32 v[46:47], v117
	v_fma_f64 v[42:43], -v[42:43], v[48:49], v[56:57]
	v_fmac_f64_e32 v[10:11], v[30:31], v[48:49]
	v_fma_f64 v[30:31], -v[64:65], v[48:49], v[28:29]
	v_fmac_f64_e32 v[12:13], v[62:63], v[48:49]
	;; [unrolled: 2-line block ×4, first 2 shown]
	s_wait_loadcnt 0x0
	v_fmac_f64_e32 v[42:43], v[44:45], v[50:51]
	v_fmac_f64_e32 v[10:11], v[46:47], v[50:51]
	;; [unrolled: 1-line block ×8, first 2 shown]
	v_fma_f64 v[28:29], -v[46:47], v[52:53], v[42:43]
	v_fmac_f64_e32 v[10:11], v[44:45], v[52:53]
	v_fma_f64 v[30:31], -v[58:59], v[52:53], v[30:31]
	v_fmac_f64_e32 v[12:13], v[54:55], v[52:53]
	;; [unrolled: 2-line block ×4, first 2 shown]
	s_and_not1_b32 exec_lo, exec_lo, s7
	s_cbranch_execnz .LBB171_19
; %bb.20:
	s_or_b32 exec_lo, exec_lo, s7
.LBB171_21:
	s_delay_alu instid0(SALU_CYCLE_1)
	s_or_b32 exec_lo, exec_lo, s6
.LBB171_22:
	s_delay_alu instid0(SALU_CYCLE_1)
	s_or_b32 exec_lo, exec_lo, s3
	s_cbranch_execz .LBB171_24
	s_branch .LBB171_35
.LBB171_23:
                                        ; implicit-def: $vgpr10_vgpr11
                                        ; implicit-def: $vgpr28_vgpr29
                                        ; implicit-def: $vgpr12_vgpr13
                                        ; implicit-def: $vgpr30_vgpr31
                                        ; implicit-def: $vgpr14_vgpr15
                                        ; implicit-def: $vgpr32_vgpr33
                                        ; implicit-def: $vgpr16_vgpr17
                                        ; implicit-def: $vgpr24_vgpr25
.LBB171_24:
	v_mov_b64_e32 v[10:11], 0
	v_mov_b64_e32 v[28:29], 0
	;; [unrolled: 1-line block ×8, first 2 shown]
	s_and_saveexec_b32 s3, s2
	s_cbranch_execz .LBB171_34
; %bb.25:
	v_dual_mov_b32 v11, v1 :: v_dual_bitop2_b32 v10, 8, v0 bitop3:0x54
	v_sub_nc_u64_e32 v[12:13], s[12:13], v[0:1]
	v_not_b32_e32 v15, v35
	v_not_b32_e32 v14, v34
	v_mov_b64_e32 v[24:25], 0
	v_sub_nc_u64_e64 v[10:11], v[10:11], s[12:13]
	v_mov_b64_e32 v[16:17], 0
	v_mov_b64_e32 v[32:33], 0
	v_add_nc_u64_e32 v[12:13], v[12:13], v[14:15]
	v_mov_b64_e32 v[14:15], 0
	v_mov_b64_e32 v[30:31], 0
	;; [unrolled: 1-line block ×3, first 2 shown]
	v_add_nc_u64_e32 v[10:11], v[10:11], v[34:35]
	s_mov_b32 s2, exec_lo
	s_delay_alu instid0(VALU_DEP_1) | instskip(NEXT) | instid1(VALU_DEP_1)
	v_max_i64 v[10:11], v[10:11], v[20:21]
	v_add_nc_u64_e32 v[34:35], v[12:13], v[10:11]
	v_mov_b64_e32 v[12:13], 0
	v_mov_b64_e32 v[10:11], 0
	s_delay_alu instid0(VALU_DEP_3) | instskip(NEXT) | instid1(VALU_DEP_1)
	v_dual_mov_b32 v37, 0 :: v_dual_bitop2_b32 v36, 24, v34 bitop3:0x40
	v_cmpx_ne_u64_e32 24, v[36:37]
	s_cbranch_execz .LBB171_29
; %bb.26:
	v_lshrrev_b32_e32 v1, 3, v34
	v_mov_b64_e32 v[10:11], 0
	v_mov_b64_e32 v[28:29], 0
	;; [unrolled: 1-line block ×4, first 2 shown]
	v_add_nc_u32_e32 v1, 1, v1
	v_mov_b64_e32 v[14:15], 0
	v_mov_b64_e32 v[32:33], 0
	;; [unrolled: 1-line block ×4, first 2 shown]
	v_and_b32_e32 v36, 3, v1
	v_lshl_add_u64 v[38:39], v[18:19], 2, s[8:9]
	s_mov_b32 s6, 0
	s_delay_alu instid0(VALU_DEP_2)
	v_sub_nc_u64_e32 v[36:37], 0, v[36:37]
.LBB171_27:                             ; =>This Inner Loop Header: Depth=1
	global_load_b32 v1, v[38:39], off
	s_clause 0x1
	global_load_b128 v[40:43], v[22:23], off
	global_load_b128 v[44:47], v[22:23], off offset:16
	v_add_nc_u64_e32 v[36:37], 1, v[36:37]
	v_add_nc_u64_e32 v[18:19], 8, v[18:19]
	s_wait_xcnt 0x2
	v_add_nc_u64_e32 v[38:39], 32, v[38:39]
	s_delay_alu instid0(VALU_DEP_3)
	v_cmp_eq_u64_e32 vcc_lo, 0, v[36:37]
	s_or_b32 s6, vcc_lo, s6
	s_wait_loadcnt 0x2
	v_subrev_nc_u32_e32 v1, s12, v1
	s_wait_loadcnt 0x1
	v_cvt_f64_f32_e32 v[88:89], v40
	v_cvt_f64_f32_e32 v[40:41], v41
	v_cvt_f64_f32_e32 v[90:91], v42
	v_cvt_f64_f32_e32 v[42:43], v43
	v_lshlrev_b32_e32 v1, 2, v1
	s_wait_loadcnt 0x0
	v_cvt_f64_f32_e32 v[92:93], v44
	v_cvt_f64_f32_e32 v[44:45], v45
	;; [unrolled: 1-line block ×4, first 2 shown]
	s_wait_kmcnt 0x0
	s_clause 0x1
	global_load_b128 v[48:51], v1, s[4:5] scale_offset
	global_load_b128 v[52:55], v1, s[4:5] offset:16 scale_offset
	s_clause 0x3
	global_load_b128 v[56:59], v[22:23], off offset:32
	global_load_b128 v[60:63], v[22:23], off offset:48
	;; [unrolled: 1-line block ×4, first 2 shown]
	s_clause 0x1
	global_load_b128 v[72:75], v1, s[4:5] offset:32 scale_offset
	global_load_b128 v[76:79], v1, s[4:5] offset:48 scale_offset
	s_clause 0x1
	global_load_b128 v[80:83], v[22:23], off offset:96
	global_load_b128 v[84:87], v[22:23], off offset:112
	s_wait_xcnt 0x0
	v_add_nc_u64_e32 v[22:23], 0x400, v[22:23]
	s_wait_loadcnt 0x9
	v_fmac_f64_e32 v[28:29], v[88:89], v[48:49]
	v_fmac_f64_e32 v[10:11], v[40:41], v[48:49]
	;; [unrolled: 1-line block ×8, first 2 shown]
	s_wait_loadcnt 0x7
	v_cvt_f64_f32_e32 v[48:49], v56
	v_cvt_f64_f32_e32 v[56:57], v57
	;; [unrolled: 1-line block ×4, first 2 shown]
	s_wait_loadcnt 0x6
	v_cvt_f64_f32_e32 v[98:99], v60
	v_cvt_f64_f32_e32 v[60:61], v61
	;; [unrolled: 1-line block ×4, first 2 shown]
	v_fma_f64 v[28:29], -v[40:41], v[50:51], v[28:29]
	v_fmac_f64_e32 v[10:11], v[88:89], v[50:51]
	v_fma_f64 v[30:31], -v[42:43], v[50:51], v[30:31]
	v_fmac_f64_e32 v[12:13], v[90:91], v[50:51]
	;; [unrolled: 2-line block ×4, first 2 shown]
	s_wait_loadcnt 0x5
	v_cvt_f64_f32_e32 v[40:41], v64
	v_cvt_f64_f32_e32 v[42:43], v65
	;; [unrolled: 1-line block ×4, first 2 shown]
	s_wait_loadcnt 0x4
	v_cvt_f64_f32_e32 v[50:51], v68
	v_cvt_f64_f32_e32 v[64:65], v70
	;; [unrolled: 1-line block ×3, first 2 shown]
	s_wait_loadcnt 0x0
	v_cvt_f64_f32_e32 v[70:71], v87
	v_fmac_f64_e32 v[28:29], v[48:49], v[52:53]
	v_fmac_f64_e32 v[10:11], v[56:57], v[52:53]
	;; [unrolled: 1-line block ×8, first 2 shown]
	v_cvt_f64_f32_e32 v[52:53], v69
	v_cvt_f64_f32_e32 v[68:69], v86
	v_fma_f64 v[28:29], -v[56:57], v[54:55], v[28:29]
	v_fmac_f64_e32 v[10:11], v[48:49], v[54:55]
	v_fma_f64 v[30:31], -v[58:59], v[54:55], v[30:31]
	v_fmac_f64_e32 v[12:13], v[96:97], v[54:55]
	v_fma_f64 v[32:33], -v[60:61], v[54:55], v[32:33]
	v_fmac_f64_e32 v[14:15], v[98:99], v[54:55]
	v_fma_f64 v[24:25], -v[62:63], v[54:55], v[24:25]
	v_fmac_f64_e32 v[16:17], v[100:101], v[54:55]
	v_cvt_f64_f32_e32 v[48:49], v80
	v_cvt_f64_f32_e32 v[54:55], v81
	v_cvt_f64_f32_e32 v[56:57], v82
	v_cvt_f64_f32_e32 v[58:59], v83
	v_cvt_f64_f32_e32 v[60:61], v84
	v_cvt_f64_f32_e32 v[62:63], v85
	v_fmac_f64_e32 v[28:29], v[40:41], v[72:73]
	v_fmac_f64_e32 v[10:11], v[42:43], v[72:73]
	;; [unrolled: 1-line block ×8, first 2 shown]
	v_fma_f64 v[28:29], -v[42:43], v[74:75], v[28:29]
	v_fmac_f64_e32 v[10:11], v[40:41], v[74:75]
	v_fma_f64 v[30:31], -v[46:47], v[74:75], v[30:31]
	v_fmac_f64_e32 v[12:13], v[44:45], v[74:75]
	v_fma_f64 v[32:33], -v[52:53], v[74:75], v[32:33]
	v_fmac_f64_e32 v[14:15], v[50:51], v[74:75]
	v_fma_f64 v[24:25], -v[66:67], v[74:75], v[24:25]
	v_fmac_f64_e32 v[16:17], v[64:65], v[74:75]
	v_fmac_f64_e32 v[28:29], v[48:49], v[76:77]
	v_fmac_f64_e32 v[10:11], v[54:55], v[76:77]
	;; [unrolled: 1-line block ×8, first 2 shown]
	v_fma_f64 v[28:29], -v[54:55], v[78:79], v[28:29]
	v_fmac_f64_e32 v[10:11], v[48:49], v[78:79]
	v_fma_f64 v[30:31], -v[58:59], v[78:79], v[30:31]
	v_fmac_f64_e32 v[12:13], v[56:57], v[78:79]
	;; [unrolled: 2-line block ×4, first 2 shown]
	s_and_not1_b32 exec_lo, exec_lo, s6
	s_cbranch_execnz .LBB171_27
; %bb.28:
	s_or_b32 exec_lo, exec_lo, s6
.LBB171_29:
	s_delay_alu instid0(SALU_CYCLE_1) | instskip(NEXT) | instid1(SALU_CYCLE_1)
	s_or_b32 exec_lo, exec_lo, s2
	s_mov_b32 s2, exec_lo
	v_cmpx_lt_u64_e32 23, v[34:35]
	s_cbranch_execz .LBB171_33
; %bb.30:
	v_lshl_add_u64 v[34:35], v[18:19], 2, s[8:9]
	s_mov_b32 s6, 0
	s_delay_alu instid0(VALU_DEP_1)
	v_add_nc_u64_e32 v[34:35], 64, v[34:35]
.LBB171_31:                             ; =>This Inner Loop Header: Depth=1
	s_clause 0x1
	global_load_b32 v1, v[34:35], off offset:-64
	global_load_b32 v27, v[34:35], off offset:-32
	s_clause 0x1
	global_load_b128 v[36:39], v[22:23], off
	global_load_b128 v[40:43], v[22:23], off offset:16
	s_clause 0x1
	global_load_b32 v136, v[34:35], off
	global_load_b32 v140, v[34:35], off offset:32
	v_add_nc_u64_e32 v[18:19], 32, v[18:19]
	s_wait_xcnt 0x0
	v_add_nc_u64_e32 v[34:35], 0x80, v[34:35]
	s_delay_alu instid0(VALU_DEP_2)
	v_cmp_ge_i64_e32 vcc_lo, v[18:19], v[20:21]
	s_or_b32 s6, vcc_lo, s6
	s_wait_loadcnt 0x5
	v_subrev_nc_u32_e32 v1, s12, v1
	s_wait_loadcnt 0x3
	v_cvt_f64_f32_e32 v[110:111], v37
	v_cvt_f64_f32_e32 v[112:113], v38
	;; [unrolled: 1-line block ×3, first 2 shown]
	v_lshlrev_b32_e32 v1, 2, v1
	v_cvt_f64_f32_e32 v[114:115], v39
	s_wait_loadcnt 0x2
	v_cvt_f64_f32_e32 v[116:117], v40
	v_cvt_f64_f32_e32 v[118:119], v41
	;; [unrolled: 1-line block ×3, first 2 shown]
	s_wait_kmcnt 0x0
	global_load_b128 v[44:47], v1, s[4:5] scale_offset
	s_clause 0x1
	global_load_b128 v[48:51], v[22:23], off offset:32
	global_load_b128 v[52:55], v[22:23], off offset:48
	global_load_b128 v[56:59], v1, s[4:5] offset:16 scale_offset
	s_clause 0x1
	global_load_b128 v[60:63], v[22:23], off offset:64
	global_load_b128 v[64:67], v[22:23], off offset:80
	global_load_b128 v[68:71], v1, s[4:5] offset:32 scale_offset
	;; [unrolled: 4-line block ×3, first 2 shown]
	s_clause 0x1
	global_load_b128 v[84:87], v[22:23], off offset:1024
	global_load_b128 v[88:91], v[22:23], off offset:1040
	s_wait_xcnt 0x2
	v_subrev_nc_u32_e32 v1, s12, v27
	v_cvt_f64_f32_e32 v[122:123], v43
	s_wait_loadcnt 0xb
	v_fmac_f64_e32 v[10:11], v[110:111], v[44:45]
	v_fmac_f64_e32 v[30:31], v[112:113], v[44:45]
	v_lshlrev_b32_e32 v1, 2, v1
	v_fmac_f64_e32 v[28:29], v[108:109], v[44:45]
	v_fmac_f64_e32 v[12:13], v[114:115], v[44:45]
	;; [unrolled: 1-line block ×6, first 2 shown]
	s_wait_loadcnt 0xa
	v_cvt_f64_f32_e32 v[124:125], v48
	v_cvt_f64_f32_e32 v[126:127], v49
	;; [unrolled: 1-line block ×4, first 2 shown]
	s_wait_loadcnt 0x9
	v_cvt_f64_f32_e32 v[132:133], v52
	v_cvt_f64_f32_e32 v[52:53], v53
	;; [unrolled: 1-line block ×4, first 2 shown]
	v_fmac_f64_e32 v[10:11], v[108:109], v[46:47]
	v_fma_f64 v[108:109], -v[114:115], v[46:47], v[30:31]
	global_load_b128 v[92:95], v1, s[4:5] scale_offset
	s_clause 0x1
	global_load_b128 v[96:99], v[22:23], off offset:1056
	global_load_b128 v[100:103], v[22:23], off offset:1072
	global_load_b128 v[36:39], v1, s[4:5] offset:16 scale_offset
	s_clause 0x1
	global_load_b128 v[40:43], v[22:23], off offset:1088
	global_load_b128 v[104:107], v[22:23], off offset:1104
	v_fma_f64 v[110:111], -v[110:111], v[46:47], v[28:29]
	v_fmac_f64_e32 v[12:13], v[112:113], v[46:47]
	v_fma_f64 v[32:33], -v[118:119], v[46:47], v[32:33]
	v_fmac_f64_e32 v[14:15], v[116:117], v[46:47]
	;; [unrolled: 2-line block ×3, first 2 shown]
	global_load_b128 v[28:31], v1, s[4:5] offset:32 scale_offset
	s_clause 0x1
	global_load_b128 v[44:47], v[22:23], off offset:1120
	global_load_b128 v[48:51], v[22:23], off offset:1136
	s_wait_loadcnt 0x10
	v_cvt_f64_f32_e32 v[112:113], v60
	v_cvt_f64_f32_e32 v[114:115], v61
	;; [unrolled: 1-line block ×4, first 2 shown]
	s_wait_loadcnt 0xf
	v_cvt_f64_f32_e32 v[120:121], v64
	v_cvt_f64_f32_e32 v[64:65], v65
	;; [unrolled: 1-line block ×4, first 2 shown]
	v_fmac_f64_e32 v[10:11], v[126:127], v[56:57]
	v_fmac_f64_e32 v[108:109], v[128:129], v[56:57]
	;; [unrolled: 1-line block ×9, first 2 shown]
	v_fma_f64 v[108:109], -v[130:131], v[58:59], v[108:109]
	s_wait_loadcnt 0xd
	v_cvt_f64_f32_e32 v[124:125], v72
	v_cvt_f64_f32_e32 v[130:131], v75
	v_fma_f64 v[110:111], -v[126:127], v[58:59], v[110:111]
	v_fmac_f64_e32 v[12:13], v[128:129], v[58:59]
	v_fma_f64 v[32:33], -v[52:53], v[58:59], v[32:33]
	v_fmac_f64_e32 v[14:15], v[132:133], v[58:59]
	;; [unrolled: 2-line block ×3, first 2 shown]
	global_load_b128 v[52:55], v1, s[4:5] offset:48 scale_offset
	s_clause 0x1
	global_load_b128 v[56:59], v[22:23], off offset:2048
	global_load_b128 v[60:63], v[22:23], off offset:2064
	v_cvt_f64_f32_e32 v[126:127], v73
	v_cvt_f64_f32_e32 v[128:129], v74
	s_wait_loadcnt 0xf
	v_cvt_f64_f32_e32 v[132:133], v76
	v_cvt_f64_f32_e32 v[76:77], v77
	;; [unrolled: 1-line block ×4, first 2 shown]
	s_wait_xcnt 0x2
	v_subrev_nc_u32_e32 v1, s12, v136
	s_delay_alu instid0(VALU_DEP_1)
	v_lshlrev_b32_e32 v1, 2, v1
	v_fmac_f64_e32 v[10:11], v[114:115], v[68:69]
	v_fmac_f64_e32 v[108:109], v[116:117], v[68:69]
	;; [unrolled: 1-line block ×9, first 2 shown]
	v_fma_f64 v[108:109], -v[118:119], v[70:71], v[108:109]
	s_wait_loadcnt 0xd
	v_cvt_f64_f32_e32 v[112:113], v84
	v_cvt_f64_f32_e32 v[118:119], v87
	v_fma_f64 v[110:111], -v[114:115], v[70:71], v[110:111]
	v_fmac_f64_e32 v[12:13], v[116:117], v[70:71]
	v_fma_f64 v[32:33], -v[64:65], v[70:71], v[32:33]
	v_fmac_f64_e32 v[14:15], v[120:121], v[70:71]
	;; [unrolled: 2-line block ×3, first 2 shown]
	global_load_b128 v[64:67], v1, s[4:5] scale_offset
	s_clause 0x1
	global_load_b128 v[68:71], v[22:23], off offset:2080
	global_load_b128 v[72:75], v[22:23], off offset:2096
	v_cvt_f64_f32_e32 v[114:115], v85
	v_cvt_f64_f32_e32 v[116:117], v86
	s_wait_loadcnt 0xf
	v_cvt_f64_f32_e32 v[120:121], v88
	v_cvt_f64_f32_e32 v[88:89], v89
	;; [unrolled: 1-line block ×4, first 2 shown]
	v_fmac_f64_e32 v[10:11], v[126:127], v[80:81]
	v_fmac_f64_e32 v[108:109], v[128:129], v[80:81]
	;; [unrolled: 1-line block ×9, first 2 shown]
	v_fma_f64 v[108:109], -v[130:131], v[82:83], v[108:109]
	v_fma_f64 v[110:111], -v[126:127], v[82:83], v[110:111]
	v_fmac_f64_e32 v[12:13], v[128:129], v[82:83]
	v_fma_f64 v[32:33], -v[76:77], v[82:83], v[32:33]
	v_fmac_f64_e32 v[14:15], v[132:133], v[82:83]
	;; [unrolled: 2-line block ×3, first 2 shown]
	global_load_b128 v[76:79], v1, s[4:5] offset:16 scale_offset
	s_clause 0x1
	global_load_b128 v[80:83], v[22:23], off offset:2112
	global_load_b128 v[84:87], v[22:23], off offset:2128
	s_wait_loadcnt 0x11
	v_fmac_f64_e32 v[110:111], v[112:113], v[92:93]
	v_fmac_f64_e32 v[10:11], v[114:115], v[92:93]
	;; [unrolled: 1-line block ×8, first 2 shown]
	s_wait_loadcnt 0x10
	v_cvt_f64_f32_e32 v[124:125], v96
	v_cvt_f64_f32_e32 v[126:127], v97
	v_cvt_f64_f32_e32 v[128:129], v98
	v_cvt_f64_f32_e32 v[130:131], v99
	s_wait_loadcnt 0xf
	v_cvt_f64_f32_e32 v[132:133], v100
	v_cvt_f64_f32_e32 v[100:101], v101
	;; [unrolled: 1-line block ×4, first 2 shown]
	s_wait_loadcnt 0x9
	v_cvt_f64_f32_e32 v[136:137], v50
	v_cvt_f64_f32_e32 v[138:139], v51
	v_fma_f64 v[110:111], -v[114:115], v[94:95], v[110:111]
	v_fmac_f64_e32 v[10:11], v[112:113], v[94:95]
	v_fma_f64 v[108:109], -v[118:119], v[94:95], v[108:109]
	v_fmac_f64_e32 v[12:13], v[116:117], v[94:95]
	;; [unrolled: 2-line block ×4, first 2 shown]
	global_load_b128 v[88:91], v1, s[4:5] offset:32 scale_offset
	s_clause 0x1
	global_load_b128 v[92:95], v[22:23], off offset:2144
	global_load_b128 v[96:99], v[22:23], off offset:2160
	v_cvt_f64_f32_e32 v[112:113], v40
	v_cvt_f64_f32_e32 v[114:115], v41
	;; [unrolled: 1-line block ×8, first 2 shown]
	v_fmac_f64_e32 v[110:111], v[124:125], v[36:37]
	v_fmac_f64_e32 v[10:11], v[126:127], v[36:37]
	;; [unrolled: 1-line block ×8, first 2 shown]
	v_fma_f64 v[110:111], -v[126:127], v[38:39], v[110:111]
	v_fmac_f64_e32 v[10:11], v[124:125], v[38:39]
	v_fma_f64 v[108:109], -v[130:131], v[38:39], v[108:109]
	v_fmac_f64_e32 v[12:13], v[128:129], v[38:39]
	;; [unrolled: 2-line block ×4, first 2 shown]
	global_load_b128 v[36:39], v1, s[4:5] offset:48 scale_offset
	s_clause 0x1
	global_load_b128 v[40:43], v[22:23], off offset:3088
	global_load_b128 v[100:103], v[22:23], off offset:3072
	v_cvt_f64_f32_e32 v[124:125], v44
	v_cvt_f64_f32_e32 v[126:127], v45
	;; [unrolled: 1-line block ×6, first 2 shown]
	s_wait_xcnt 0x2
	v_subrev_nc_u32_e32 v1, s12, v140
	s_delay_alu instid0(VALU_DEP_1)
	v_lshlrev_b32_e32 v1, 2, v1
	v_fmac_f64_e32 v[110:111], v[112:113], v[28:29]
	v_fmac_f64_e32 v[10:11], v[114:115], v[28:29]
	;; [unrolled: 1-line block ×8, first 2 shown]
	v_fma_f64 v[110:111], -v[114:115], v[30:31], v[110:111]
	v_fmac_f64_e32 v[10:11], v[112:113], v[30:31]
	v_fma_f64 v[108:109], -v[118:119], v[30:31], v[108:109]
	v_fmac_f64_e32 v[12:13], v[116:117], v[30:31]
	;; [unrolled: 2-line block ×4, first 2 shown]
	s_clause 0x1
	global_load_b128 v[28:31], v1, s[4:5] offset:16 scale_offset
	global_load_b128 v[44:47], v1, s[4:5] scale_offset
	s_clause 0x1
	global_load_b128 v[48:51], v[22:23], off offset:3120
	global_load_b128 v[104:107], v[22:23], off offset:3104
	s_wait_loadcnt 0x11
	v_cvt_f64_f32_e32 v[112:113], v56
	v_cvt_f64_f32_e32 v[114:115], v57
	;; [unrolled: 1-line block ×4, first 2 shown]
	s_wait_loadcnt 0x10
	v_cvt_f64_f32_e32 v[120:121], v60
	v_cvt_f64_f32_e32 v[60:61], v61
	;; [unrolled: 1-line block ×4, first 2 shown]
	v_fmac_f64_e32 v[110:111], v[124:125], v[52:53]
	v_fmac_f64_e32 v[10:11], v[126:127], v[52:53]
	;; [unrolled: 1-line block ×8, first 2 shown]
	v_fma_f64 v[110:111], -v[126:127], v[54:55], v[110:111]
	v_fmac_f64_e32 v[10:11], v[124:125], v[54:55]
	v_fma_f64 v[108:109], -v[130:131], v[54:55], v[108:109]
	v_fmac_f64_e32 v[12:13], v[128:129], v[54:55]
	;; [unrolled: 2-line block ×4, first 2 shown]
	s_clause 0x1
	global_load_b128 v[52:55], v[22:23], off offset:3152
	global_load_b128 v[56:59], v[22:23], off offset:3136
	s_wait_loadcnt 0x10
	v_cvt_f64_f32_e32 v[124:125], v68
	v_cvt_f64_f32_e32 v[126:127], v69
	;; [unrolled: 1-line block ×4, first 2 shown]
	s_wait_loadcnt 0xf
	v_cvt_f64_f32_e32 v[132:133], v72
	v_cvt_f64_f32_e32 v[134:135], v73
	;; [unrolled: 1-line block ×4, first 2 shown]
	v_fmac_f64_e32 v[110:111], v[112:113], v[64:65]
	v_fmac_f64_e32 v[10:11], v[114:115], v[64:65]
	;; [unrolled: 1-line block ×8, first 2 shown]
	v_fma_f64 v[110:111], -v[114:115], v[66:67], v[110:111]
	v_fmac_f64_e32 v[10:11], v[112:113], v[66:67]
	v_fma_f64 v[108:109], -v[118:119], v[66:67], v[108:109]
	v_fmac_f64_e32 v[12:13], v[116:117], v[66:67]
	;; [unrolled: 2-line block ×4, first 2 shown]
	s_clause 0x1
	global_load_b128 v[60:63], v1, s[4:5] offset:48 scale_offset
	global_load_b128 v[64:67], v1, s[4:5] offset:32 scale_offset
	s_clause 0x1
	global_load_b128 v[68:71], v[22:23], off offset:3168
	global_load_b128 v[72:75], v[22:23], off offset:3184
	s_wait_loadcnt 0x11
	v_cvt_f64_f32_e32 v[112:113], v82
	v_cvt_f64_f32_e32 v[82:83], v83
	s_wait_loadcnt 0x10
	v_cvt_f64_f32_e32 v[114:115], v84
	v_cvt_f64_f32_e32 v[84:85], v85
	;; [unrolled: 1-line block ×4, first 2 shown]
	s_wait_xcnt 0x0
	v_add_nc_u64_e32 v[22:23], 0x1000, v[22:23]
	v_fmac_f64_e32 v[110:111], v[124:125], v[76:77]
	v_fmac_f64_e32 v[10:11], v[126:127], v[76:77]
	;; [unrolled: 1-line block ×8, first 2 shown]
	v_cvt_f64_f32_e32 v[76:77], v80
	v_cvt_f64_f32_e32 v[80:81], v81
	v_fma_f64 v[110:111], -v[126:127], v[78:79], v[110:111]
	v_fmac_f64_e32 v[10:11], v[124:125], v[78:79]
	v_fma_f64 v[108:109], -v[130:131], v[78:79], v[108:109]
	v_fmac_f64_e32 v[12:13], v[128:129], v[78:79]
	;; [unrolled: 2-line block ×4, first 2 shown]
	s_wait_loadcnt 0xe
	v_cvt_f64_f32_e32 v[78:79], v92
	s_wait_loadcnt 0xd
	v_cvt_f64_f32_e32 v[118:119], v96
	v_cvt_f64_f32_e32 v[96:97], v97
	;; [unrolled: 1-line block ×4, first 2 shown]
	v_fmac_f64_e32 v[110:111], v[76:77], v[88:89]
	v_fmac_f64_e32 v[10:11], v[80:81], v[88:89]
	;; [unrolled: 1-line block ×8, first 2 shown]
	v_cvt_f64_f32_e32 v[88:89], v93
	v_cvt_f64_f32_e32 v[92:93], v94
	;; [unrolled: 1-line block ×3, first 2 shown]
	v_fma_f64 v[80:81], -v[80:81], v[90:91], v[110:111]
	v_fmac_f64_e32 v[10:11], v[76:77], v[90:91]
	v_fma_f64 v[76:77], -v[82:83], v[90:91], v[108:109]
	v_fmac_f64_e32 v[12:13], v[112:113], v[90:91]
	;; [unrolled: 2-line block ×4, first 2 shown]
	s_wait_loadcnt 0xb
	v_cvt_f64_f32_e32 v[90:91], v40
	s_wait_loadcnt 0xa
	v_cvt_f64_f32_e32 v[82:83], v101
	v_cvt_f64_f32_e32 v[84:85], v102
	;; [unrolled: 1-line block ×4, first 2 shown]
	v_fmac_f64_e32 v[80:81], v[78:79], v[36:37]
	v_fmac_f64_e32 v[10:11], v[88:89], v[36:37]
	v_fmac_f64_e32 v[76:77], v[92:93], v[36:37]
	v_fmac_f64_e32 v[12:13], v[94:95], v[36:37]
	v_fmac_f64_e32 v[32:33], v[118:119], v[36:37]
	v_fmac_f64_e32 v[14:15], v[96:97], v[36:37]
	v_fmac_f64_e32 v[24:25], v[120:121], v[36:37]
	v_fmac_f64_e32 v[16:17], v[98:99], v[36:37]
	v_cvt_f64_f32_e32 v[36:37], v100
	v_cvt_f64_f32_e32 v[100:101], v42
	;; [unrolled: 1-line block ×3, first 2 shown]
	v_fma_f64 v[80:81], -v[88:89], v[38:39], v[80:81]
	v_fmac_f64_e32 v[10:11], v[78:79], v[38:39]
	v_fma_f64 v[76:77], -v[94:95], v[38:39], v[76:77]
	v_fmac_f64_e32 v[12:13], v[92:93], v[38:39]
	;; [unrolled: 2-line block ×4, first 2 shown]
	s_wait_loadcnt 0x7
	v_cvt_f64_f32_e32 v[92:93], v48
	s_wait_loadcnt 0x6
	v_cvt_f64_f32_e32 v[38:39], v104
	v_cvt_f64_f32_e32 v[78:79], v106
	;; [unrolled: 1-line block ×6, first 2 shown]
	v_fmac_f64_e32 v[80:81], v[36:37], v[44:45]
	v_fmac_f64_e32 v[10:11], v[82:83], v[44:45]
	;; [unrolled: 1-line block ×8, first 2 shown]
	v_cvt_f64_f32_e32 v[44:45], v105
	v_fma_f64 v[80:81], -v[82:83], v[46:47], v[80:81]
	v_fmac_f64_e32 v[10:11], v[36:37], v[46:47]
	v_fma_f64 v[36:37], -v[86:87], v[46:47], v[76:77]
	v_fmac_f64_e32 v[12:13], v[84:85], v[46:47]
	v_fma_f64 v[32:33], -v[40:41], v[46:47], v[32:33]
	v_fmac_f64_e32 v[14:15], v[90:91], v[46:47]
	v_fma_f64 v[24:25], -v[42:43], v[46:47], v[24:25]
	v_fmac_f64_e32 v[16:17], v[100:101], v[46:47]
	s_wait_loadcnt 0x4
	v_cvt_f64_f32_e32 v[40:41], v57
	v_cvt_f64_f32_e32 v[42:43], v58
	;; [unrolled: 1-line block ×5, first 2 shown]
	v_fmac_f64_e32 v[80:81], v[38:39], v[28:29]
	v_fmac_f64_e32 v[10:11], v[44:45], v[28:29]
	;; [unrolled: 1-line block ×8, first 2 shown]
	v_cvt_f64_f32_e32 v[28:29], v56
	v_cvt_f64_f32_e32 v[56:57], v52
	;; [unrolled: 1-line block ×3, first 2 shown]
	v_fma_f64 v[44:45], -v[44:45], v[30:31], v[80:81]
	v_fmac_f64_e32 v[10:11], v[38:39], v[30:31]
	v_fma_f64 v[36:37], -v[88:89], v[30:31], v[36:37]
	v_fmac_f64_e32 v[12:13], v[78:79], v[30:31]
	;; [unrolled: 2-line block ×4, first 2 shown]
	s_wait_loadcnt 0x1
	v_cvt_f64_f32_e32 v[30:31], v68
	v_cvt_f64_f32_e32 v[38:39], v69
	;; [unrolled: 1-line block ×4, first 2 shown]
	s_wait_loadcnt 0x0
	v_cvt_f64_f32_e32 v[68:69], v73
	v_cvt_f64_f32_e32 v[70:71], v74
	v_fmac_f64_e32 v[44:45], v[28:29], v[64:65]
	v_fmac_f64_e32 v[10:11], v[40:41], v[64:65]
	;; [unrolled: 1-line block ×8, first 2 shown]
	v_cvt_f64_f32_e32 v[64:65], v72
	v_cvt_f64_f32_e32 v[72:73], v75
	v_fma_f64 v[40:41], -v[40:41], v[66:67], v[44:45]
	v_fmac_f64_e32 v[10:11], v[28:29], v[66:67]
	v_fma_f64 v[36:37], -v[46:47], v[66:67], v[36:37]
	v_fmac_f64_e32 v[12:13], v[42:43], v[66:67]
	;; [unrolled: 2-line block ×4, first 2 shown]
	v_fmac_f64_e32 v[40:41], v[30:31], v[60:61]
	v_fmac_f64_e32 v[10:11], v[38:39], v[60:61]
	v_fmac_f64_e32 v[36:37], v[48:49], v[60:61]
	v_fmac_f64_e32 v[12:13], v[50:51], v[60:61]
	v_fmac_f64_e32 v[32:33], v[64:65], v[60:61]
	v_fmac_f64_e32 v[14:15], v[68:69], v[60:61]
	v_fmac_f64_e32 v[24:25], v[70:71], v[60:61]
	v_fmac_f64_e32 v[16:17], v[72:73], v[60:61]
	v_fma_f64 v[28:29], -v[38:39], v[62:63], v[40:41]
	v_fmac_f64_e32 v[10:11], v[30:31], v[62:63]
	v_fma_f64 v[30:31], -v[50:51], v[62:63], v[36:37]
	v_fmac_f64_e32 v[12:13], v[48:49], v[62:63]
	;; [unrolled: 2-line block ×4, first 2 shown]
	s_and_not1_b32 exec_lo, exec_lo, s6
	s_cbranch_execnz .LBB171_31
; %bb.32:
	s_or_b32 exec_lo, exec_lo, s6
.LBB171_33:
	s_delay_alu instid0(SALU_CYCLE_1)
	s_or_b32 exec_lo, exec_lo, s2
.LBB171_34:
	s_delay_alu instid0(SALU_CYCLE_1)
	s_or_b32 exec_lo, exec_lo, s3
.LBB171_35:
	v_mbcnt_lo_u32_b32 v1, -1, 0
	s_delay_alu instid0(VALU_DEP_1) | instskip(NEXT) | instid1(VALU_DEP_1)
	v_xor_b32_e32 v18, 4, v1
	v_cmp_gt_i32_e32 vcc_lo, 32, v18
	v_cndmask_b32_e32 v18, v1, v18, vcc_lo
	s_delay_alu instid0(VALU_DEP_1)
	v_lshlrev_b32_e32 v27, 2, v18
	ds_bpermute_b32 v36, v27, v32
	ds_bpermute_b32 v37, v27, v33
	s_wait_dscnt 0x0
	v_add_f64_e32 v[32:33], v[32:33], v[36:37]
	ds_bpermute_b32 v20, v27, v10
	ds_bpermute_b32 v21, v27, v11
	;; [unrolled: 1-line block ×14, first 2 shown]
	s_wait_dscnt 0xc
	v_add_f64_e32 v[20:21], v[10:11], v[20:21]
	s_wait_dscnt 0xa
	v_dual_add_f64 v[22:23], v[30:31], v[22:23] :: v_dual_bitop2_b32 v10, 2, v1 bitop3:0x14
	s_wait_dscnt 0x8
	v_add_f64_e32 v[18:19], v[28:29], v[18:19]
	s_delay_alu instid0(VALU_DEP_2)
	v_cmp_gt_i32_e32 vcc_lo, 32, v10
	s_wait_dscnt 0x4
	v_add_f64_e32 v[28:29], v[12:13], v[34:35]
	s_wait_dscnt 0x2
	v_add_f64_e32 v[34:35], v[14:15], v[38:39]
	v_cndmask_b32_e32 v10, v1, v10, vcc_lo
	v_add_f64_e32 v[36:37], v[24:25], v[40:41]
	s_wait_dscnt 0x0
	v_add_f64_e32 v[38:39], v[16:17], v[42:43]
	s_delay_alu instid0(VALU_DEP_3)
	v_lshlrev_b32_e32 v24, 2, v10
	ds_bpermute_b32 v40, v24, v32
	ds_bpermute_b32 v41, v24, v33
	ds_bpermute_b32 v12, v24, v20
	ds_bpermute_b32 v13, v24, v21
	ds_bpermute_b32 v14, v24, v22
	ds_bpermute_b32 v15, v24, v23
	ds_bpermute_b32 v10, v24, v18
	ds_bpermute_b32 v11, v24, v19
	ds_bpermute_b32 v44, v24, v36
	ds_bpermute_b32 v45, v24, v37
	ds_bpermute_b32 v46, v24, v38
	ds_bpermute_b32 v47, v24, v39
	s_wait_dscnt 0x8
	v_add_f64_e32 v[30:31], v[20:21], v[12:13]
	s_wait_dscnt 0x6
	v_dual_add_f64 v[12:13], v[22:23], v[14:15] :: v_dual_bitop2_b32 v22, 1, v1 bitop3:0x14
	ds_bpermute_b32 v16, v24, v28
	ds_bpermute_b32 v17, v24, v29
	s_wait_dscnt 0x6
	v_add_f64_e32 v[10:11], v[18:19], v[10:11]
	v_add_f64_e32 v[14:15], v[32:33], v[40:41]
	v_cmp_gt_i32_e32 vcc_lo, 32, v22
	v_cndmask_b32_e32 v1, v1, v22, vcc_lo
	s_wait_dscnt 0x2
	v_add_f64_e32 v[18:19], v[38:39], v[46:47]
	v_cmp_eq_u32_e32 vcc_lo, 7, v0
	s_delay_alu instid0(VALU_DEP_3)
	v_lshlrev_b32_e32 v1, 2, v1
	ds_bpermute_b32 v42, v24, v34
	ds_bpermute_b32 v43, v24, v35
	s_wait_dscnt 0x2
	v_add_f64_e32 v[24:25], v[28:29], v[16:17]
	v_add_f64_e32 v[16:17], v[36:37], v[44:45]
	ds_bpermute_b32 v28, v1, v12
	ds_bpermute_b32 v29, v1, v13
	;; [unrolled: 1-line block ×4, first 2 shown]
	s_wait_dscnt 0x4
	v_add_f64_e32 v[20:21], v[34:35], v[42:43]
	ds_bpermute_b32 v42, v1, v30
	ds_bpermute_b32 v43, v1, v31
	;; [unrolled: 1-line block ×12, first 2 shown]
	s_and_b32 exec_lo, exec_lo, vcc_lo
	s_cbranch_execz .LBB171_8
; %bb.36:
	s_wait_dscnt 0xa
	v_add_f64_e32 v[0:1], v[30:31], v[42:43]
	s_wait_dscnt 0x4
	v_add_f64_e32 v[30:31], v[24:25], v[40:41]
	;; [unrolled: 2-line block ×3, first 2 shown]
	v_add_f64_e32 v[36:37], v[18:19], v[36:37]
	v_add_f64_e32 v[40:41], v[10:11], v[22:23]
	;; [unrolled: 1-line block ×5, first 2 shown]
	v_cmp_eq_f64_e32 vcc_lo, 0, v[2:3]
	v_cmp_eq_f64_e64 s2, 0, v[4:5]
	s_load_b64 s[0:1], s[0:1], 0x60
	v_mul_f64_e64 v[22:23], v[0:1], -v[8:9]
	v_mul_f64_e32 v[24:25], v[6:7], v[0:1]
	v_mul_f64_e64 v[14:15], v[38:39], -v[8:9]
	v_mul_f64_e32 v[16:17], v[6:7], v[38:39]
	v_mul_f64_e64 v[10:11], v[36:37], -v[8:9]
	v_dual_mul_f64 v[12:13], v[6:7], v[36:37] :: v_dual_lshlrev_b32 v0, 2, v26
	v_mul_f64_e64 v[18:19], v[30:31], -v[8:9]
	v_mul_f64_e32 v[20:21], v[6:7], v[30:31]
	s_and_b32 s2, vcc_lo, s2
	v_fmac_f64_e32 v[22:23], v[6:7], v[40:41]
	v_fmac_f64_e32 v[24:25], v[8:9], v[40:41]
	;; [unrolled: 1-line block ×8, first 2 shown]
	s_and_saveexec_b32 s3, s2
	s_delay_alu instid0(SALU_CYCLE_1)
	s_xor_b32 s2, exec_lo, s3
	s_cbranch_execz .LBB171_38
; %bb.37:
	s_wait_kmcnt 0x0
	s_clause 0x3
	global_store_b128 v0, v[22:25], s[0:1] scale_offset
	global_store_b128 v0, v[18:21], s[0:1] offset:16 scale_offset
	global_store_b128 v0, v[14:17], s[0:1] offset:32 scale_offset
	;; [unrolled: 1-line block ×3, first 2 shown]
                                        ; implicit-def: $vgpr4_vgpr5
                                        ; implicit-def: $vgpr22_vgpr23
                                        ; implicit-def: $vgpr0
                                        ; implicit-def: $vgpr18_vgpr19
                                        ; implicit-def: $vgpr14_vgpr15
                                        ; implicit-def: $vgpr10_vgpr11
.LBB171_38:
	s_wait_xcnt 0x0
	s_and_not1_saveexec_b32 s2, s2
	s_cbranch_execz .LBB171_8
; %bb.39:
	s_wait_kmcnt 0x0
	s_clause 0x3
	global_load_b128 v[6:9], v0, s[0:1] scale_offset
	global_load_b128 v[26:29], v0, s[0:1] offset:16 scale_offset
	global_load_b128 v[30:33], v0, s[0:1] offset:32 scale_offset
	;; [unrolled: 1-line block ×3, first 2 shown]
	s_wait_loadcnt 0x3
	v_fmac_f64_e32 v[22:23], v[2:3], v[6:7]
	v_fmac_f64_e32 v[24:25], v[4:5], v[6:7]
	s_wait_loadcnt 0x2
	v_fmac_f64_e32 v[18:19], v[2:3], v[26:27]
	v_fmac_f64_e32 v[20:21], v[4:5], v[26:27]
	;; [unrolled: 3-line block ×4, first 2 shown]
	v_fma_f64 v[22:23], -v[4:5], v[8:9], v[22:23]
	v_fmac_f64_e32 v[24:25], v[2:3], v[8:9]
	v_fma_f64 v[18:19], -v[4:5], v[28:29], v[18:19]
	v_fmac_f64_e32 v[20:21], v[2:3], v[28:29]
	v_fma_f64 v[14:15], -v[4:5], v[32:33], v[14:15]
	v_fmac_f64_e32 v[16:17], v[2:3], v[32:33]
	v_fma_f64 v[10:11], -v[4:5], v[36:37], v[10:11]
	v_fmac_f64_e32 v[12:13], v[2:3], v[36:37]
	s_clause 0x3
	global_store_b128 v0, v[22:25], s[0:1] scale_offset
	global_store_b128 v0, v[18:21], s[0:1] offset:16 scale_offset
	global_store_b128 v0, v[14:17], s[0:1] offset:32 scale_offset
	;; [unrolled: 1-line block ×3, first 2 shown]
	s_sendmsg sendmsg(MSG_DEALLOC_VGPRS)
	s_endpgm
	.section	.rodata,"a",@progbits
	.p2align	6, 0x0
	.amdhsa_kernel _ZN9rocsparseL18bsrxmvn_4x4_kernelILj128ELj8E21rocsparse_complex_numIdEliS1_IfES2_S2_EEvT3_20rocsparse_direction_NS_24const_host_device_scalarIT1_EES4_PKS4_PKT2_SD_SA_PKT4_PKT5_S8_PT6_21rocsparse_index_base_b
		.amdhsa_group_segment_fixed_size 0
		.amdhsa_private_segment_fixed_size 0
		.amdhsa_kernarg_size 112
		.amdhsa_user_sgpr_count 2
		.amdhsa_user_sgpr_dispatch_ptr 0
		.amdhsa_user_sgpr_queue_ptr 0
		.amdhsa_user_sgpr_kernarg_segment_ptr 1
		.amdhsa_user_sgpr_dispatch_id 0
		.amdhsa_user_sgpr_kernarg_preload_length 0
		.amdhsa_user_sgpr_kernarg_preload_offset 0
		.amdhsa_user_sgpr_private_segment_size 0
		.amdhsa_wavefront_size32 1
		.amdhsa_uses_dynamic_stack 0
		.amdhsa_enable_private_segment 0
		.amdhsa_system_sgpr_workgroup_id_x 1
		.amdhsa_system_sgpr_workgroup_id_y 0
		.amdhsa_system_sgpr_workgroup_id_z 0
		.amdhsa_system_sgpr_workgroup_info 0
		.amdhsa_system_vgpr_workitem_id 0
		.amdhsa_next_free_vgpr 148
		.amdhsa_next_free_sgpr 14
		.amdhsa_named_barrier_count 0
		.amdhsa_reserve_vcc 1
		.amdhsa_float_round_mode_32 0
		.amdhsa_float_round_mode_16_64 0
		.amdhsa_float_denorm_mode_32 3
		.amdhsa_float_denorm_mode_16_64 3
		.amdhsa_fp16_overflow 0
		.amdhsa_memory_ordered 1
		.amdhsa_forward_progress 1
		.amdhsa_inst_pref_size 71
		.amdhsa_round_robin_scheduling 0
		.amdhsa_exception_fp_ieee_invalid_op 0
		.amdhsa_exception_fp_denorm_src 0
		.amdhsa_exception_fp_ieee_div_zero 0
		.amdhsa_exception_fp_ieee_overflow 0
		.amdhsa_exception_fp_ieee_underflow 0
		.amdhsa_exception_fp_ieee_inexact 0
		.amdhsa_exception_int_div_zero 0
	.end_amdhsa_kernel
	.section	.text._ZN9rocsparseL18bsrxmvn_4x4_kernelILj128ELj8E21rocsparse_complex_numIdEliS1_IfES2_S2_EEvT3_20rocsparse_direction_NS_24const_host_device_scalarIT1_EES4_PKS4_PKT2_SD_SA_PKT4_PKT5_S8_PT6_21rocsparse_index_base_b,"axG",@progbits,_ZN9rocsparseL18bsrxmvn_4x4_kernelILj128ELj8E21rocsparse_complex_numIdEliS1_IfES2_S2_EEvT3_20rocsparse_direction_NS_24const_host_device_scalarIT1_EES4_PKS4_PKT2_SD_SA_PKT4_PKT5_S8_PT6_21rocsparse_index_base_b,comdat
.Lfunc_end171:
	.size	_ZN9rocsparseL18bsrxmvn_4x4_kernelILj128ELj8E21rocsparse_complex_numIdEliS1_IfES2_S2_EEvT3_20rocsparse_direction_NS_24const_host_device_scalarIT1_EES4_PKS4_PKT2_SD_SA_PKT4_PKT5_S8_PT6_21rocsparse_index_base_b, .Lfunc_end171-_ZN9rocsparseL18bsrxmvn_4x4_kernelILj128ELj8E21rocsparse_complex_numIdEliS1_IfES2_S2_EEvT3_20rocsparse_direction_NS_24const_host_device_scalarIT1_EES4_PKS4_PKT2_SD_SA_PKT4_PKT5_S8_PT6_21rocsparse_index_base_b
                                        ; -- End function
	.set _ZN9rocsparseL18bsrxmvn_4x4_kernelILj128ELj8E21rocsparse_complex_numIdEliS1_IfES2_S2_EEvT3_20rocsparse_direction_NS_24const_host_device_scalarIT1_EES4_PKS4_PKT2_SD_SA_PKT4_PKT5_S8_PT6_21rocsparse_index_base_b.num_vgpr, 148
	.set _ZN9rocsparseL18bsrxmvn_4x4_kernelILj128ELj8E21rocsparse_complex_numIdEliS1_IfES2_S2_EEvT3_20rocsparse_direction_NS_24const_host_device_scalarIT1_EES4_PKS4_PKT2_SD_SA_PKT4_PKT5_S8_PT6_21rocsparse_index_base_b.num_agpr, 0
	.set _ZN9rocsparseL18bsrxmvn_4x4_kernelILj128ELj8E21rocsparse_complex_numIdEliS1_IfES2_S2_EEvT3_20rocsparse_direction_NS_24const_host_device_scalarIT1_EES4_PKS4_PKT2_SD_SA_PKT4_PKT5_S8_PT6_21rocsparse_index_base_b.numbered_sgpr, 14
	.set _ZN9rocsparseL18bsrxmvn_4x4_kernelILj128ELj8E21rocsparse_complex_numIdEliS1_IfES2_S2_EEvT3_20rocsparse_direction_NS_24const_host_device_scalarIT1_EES4_PKS4_PKT2_SD_SA_PKT4_PKT5_S8_PT6_21rocsparse_index_base_b.num_named_barrier, 0
	.set _ZN9rocsparseL18bsrxmvn_4x4_kernelILj128ELj8E21rocsparse_complex_numIdEliS1_IfES2_S2_EEvT3_20rocsparse_direction_NS_24const_host_device_scalarIT1_EES4_PKS4_PKT2_SD_SA_PKT4_PKT5_S8_PT6_21rocsparse_index_base_b.private_seg_size, 0
	.set _ZN9rocsparseL18bsrxmvn_4x4_kernelILj128ELj8E21rocsparse_complex_numIdEliS1_IfES2_S2_EEvT3_20rocsparse_direction_NS_24const_host_device_scalarIT1_EES4_PKS4_PKT2_SD_SA_PKT4_PKT5_S8_PT6_21rocsparse_index_base_b.uses_vcc, 1
	.set _ZN9rocsparseL18bsrxmvn_4x4_kernelILj128ELj8E21rocsparse_complex_numIdEliS1_IfES2_S2_EEvT3_20rocsparse_direction_NS_24const_host_device_scalarIT1_EES4_PKS4_PKT2_SD_SA_PKT4_PKT5_S8_PT6_21rocsparse_index_base_b.uses_flat_scratch, 0
	.set _ZN9rocsparseL18bsrxmvn_4x4_kernelILj128ELj8E21rocsparse_complex_numIdEliS1_IfES2_S2_EEvT3_20rocsparse_direction_NS_24const_host_device_scalarIT1_EES4_PKS4_PKT2_SD_SA_PKT4_PKT5_S8_PT6_21rocsparse_index_base_b.has_dyn_sized_stack, 0
	.set _ZN9rocsparseL18bsrxmvn_4x4_kernelILj128ELj8E21rocsparse_complex_numIdEliS1_IfES2_S2_EEvT3_20rocsparse_direction_NS_24const_host_device_scalarIT1_EES4_PKS4_PKT2_SD_SA_PKT4_PKT5_S8_PT6_21rocsparse_index_base_b.has_recursion, 0
	.set _ZN9rocsparseL18bsrxmvn_4x4_kernelILj128ELj8E21rocsparse_complex_numIdEliS1_IfES2_S2_EEvT3_20rocsparse_direction_NS_24const_host_device_scalarIT1_EES4_PKS4_PKT2_SD_SA_PKT4_PKT5_S8_PT6_21rocsparse_index_base_b.has_indirect_call, 0
	.section	.AMDGPU.csdata,"",@progbits
; Kernel info:
; codeLenInByte = 9076
; TotalNumSgprs: 16
; NumVgprs: 148
; ScratchSize: 0
; MemoryBound: 0
; FloatMode: 240
; IeeeMode: 1
; LDSByteSize: 0 bytes/workgroup (compile time only)
; SGPRBlocks: 0
; VGPRBlocks: 9
; NumSGPRsForWavesPerEU: 16
; NumVGPRsForWavesPerEU: 148
; NamedBarCnt: 0
; Occupancy: 6
; WaveLimiterHint : 1
; COMPUTE_PGM_RSRC2:SCRATCH_EN: 0
; COMPUTE_PGM_RSRC2:USER_SGPR: 2
; COMPUTE_PGM_RSRC2:TRAP_HANDLER: 0
; COMPUTE_PGM_RSRC2:TGID_X_EN: 1
; COMPUTE_PGM_RSRC2:TGID_Y_EN: 0
; COMPUTE_PGM_RSRC2:TGID_Z_EN: 0
; COMPUTE_PGM_RSRC2:TIDIG_COMP_CNT: 0
	.section	.text._ZN9rocsparseL18bsrxmvn_4x4_kernelILj128ELj16E21rocsparse_complex_numIdEliS1_IfES2_S2_EEvT3_20rocsparse_direction_NS_24const_host_device_scalarIT1_EES4_PKS4_PKT2_SD_SA_PKT4_PKT5_S8_PT6_21rocsparse_index_base_b,"axG",@progbits,_ZN9rocsparseL18bsrxmvn_4x4_kernelILj128ELj16E21rocsparse_complex_numIdEliS1_IfES2_S2_EEvT3_20rocsparse_direction_NS_24const_host_device_scalarIT1_EES4_PKS4_PKT2_SD_SA_PKT4_PKT5_S8_PT6_21rocsparse_index_base_b,comdat
	.globl	_ZN9rocsparseL18bsrxmvn_4x4_kernelILj128ELj16E21rocsparse_complex_numIdEliS1_IfES2_S2_EEvT3_20rocsparse_direction_NS_24const_host_device_scalarIT1_EES4_PKS4_PKT2_SD_SA_PKT4_PKT5_S8_PT6_21rocsparse_index_base_b ; -- Begin function _ZN9rocsparseL18bsrxmvn_4x4_kernelILj128ELj16E21rocsparse_complex_numIdEliS1_IfES2_S2_EEvT3_20rocsparse_direction_NS_24const_host_device_scalarIT1_EES4_PKS4_PKT2_SD_SA_PKT4_PKT5_S8_PT6_21rocsparse_index_base_b
	.p2align	8
	.type	_ZN9rocsparseL18bsrxmvn_4x4_kernelILj128ELj16E21rocsparse_complex_numIdEliS1_IfES2_S2_EEvT3_20rocsparse_direction_NS_24const_host_device_scalarIT1_EES4_PKS4_PKT2_SD_SA_PKT4_PKT5_S8_PT6_21rocsparse_index_base_b,@function
_ZN9rocsparseL18bsrxmvn_4x4_kernelILj128ELj16E21rocsparse_complex_numIdEliS1_IfES2_S2_EEvT3_20rocsparse_direction_NS_24const_host_device_scalarIT1_EES4_PKS4_PKT2_SD_SA_PKT4_PKT5_S8_PT6_21rocsparse_index_base_b: ; @_ZN9rocsparseL18bsrxmvn_4x4_kernelILj128ELj16E21rocsparse_complex_numIdEliS1_IfES2_S2_EEvT3_20rocsparse_direction_NS_24const_host_device_scalarIT1_EES4_PKS4_PKT2_SD_SA_PKT4_PKT5_S8_PT6_21rocsparse_index_base_b
; %bb.0:
	s_clause 0x1
	s_load_b64 s[12:13], s[0:1], 0x68
	s_load_b64 s[2:3], s[0:1], 0x8
	v_mov_b32_e32 v1, 0
	s_add_nc_u64 s[4:5], s[0:1], 8
	s_load_b64 s[6:7], s[0:1], 0x50
	s_wait_kmcnt 0x0
	s_bitcmp1_b32 s13, 0
	s_cselect_b32 s3, s5, s3
	s_cselect_b32 s2, s4, s2
	flat_load_b128 v[6:9], v1, s[2:3]
	s_wait_xcnt 0x0
	s_add_nc_u64 s[2:3], s[0:1], 0x50
	s_delay_alu instid0(SALU_CYCLE_1)
	s_cselect_b32 s3, s3, s7
	s_cselect_b32 s2, s2, s6
	flat_load_b128 v[2:5], v1, s[2:3]
	s_wait_loadcnt_dscnt 0x101
	v_cmp_eq_f64_e32 vcc_lo, 0, v[6:7]
	s_wait_xcnt 0x0
	v_cmp_eq_f64_e64 s2, 0, v[8:9]
	s_and_b32 s4, vcc_lo, s2
	s_mov_b32 s2, -1
	s_and_saveexec_b32 s3, s4
	s_cbranch_execz .LBB172_2
; %bb.1:
	s_wait_loadcnt_dscnt 0x0
	v_cmp_neq_f64_e32 vcc_lo, 1.0, v[2:3]
	v_cmp_neq_f64_e64 s2, 0, v[4:5]
	s_or_b32 s2, vcc_lo, s2
	s_delay_alu instid0(SALU_CYCLE_1)
	s_or_not1_b32 s2, s2, exec_lo
.LBB172_2:
	s_or_b32 exec_lo, exec_lo, s3
	s_and_saveexec_b32 s3, s2
	s_cbranch_execz .LBB172_8
; %bb.3:
	s_clause 0x1
	s_load_b64 s[4:5], s[0:1], 0x20
	s_load_b64 s[2:3], s[0:1], 0x0
	s_bfe_u32 s6, ttmp6, 0x4000c
	s_and_b32 s7, ttmp6, 15
	s_add_co_i32 s6, s6, 1
	s_getreg_b32 s8, hwreg(HW_REG_IB_STS2, 6, 4)
	s_mul_i32 s6, ttmp9, s6
	v_lshrrev_b32_e32 v1, 4, v0
	s_add_co_i32 s7, s7, s6
	s_cmp_eq_u32 s8, 0
	s_cselect_b32 s6, ttmp9, s7
	s_delay_alu instid0(VALU_DEP_1) | instid1(SALU_CYCLE_1)
	v_lshl_or_b32 v26, s6, 3, v1
	s_mov_b32 s6, 0
	s_wait_kmcnt 0x0
	s_cmp_lg_u64 s[4:5], 0
	s_cbranch_scc0 .LBB172_9
; %bb.4:
	s_load_b32 s6, s[0:1], 0x18
	s_mov_b32 s7, 0
                                        ; implicit-def: $vgpr1
	s_wait_kmcnt 0x0
	v_cmp_gt_i32_e32 vcc_lo, s6, v26
	s_mov_b32 s6, 0
	s_and_saveexec_b32 s8, vcc_lo
	s_delay_alu instid0(SALU_CYCLE_1)
	s_xor_b32 s8, exec_lo, s8
	s_cbranch_execz .LBB172_6
; %bb.5:
	global_load_b32 v1, v26, s[4:5] scale_offset
	s_mov_b32 s6, exec_lo
	s_wait_loadcnt 0x0
	v_subrev_nc_u32_e32 v1, s12, v1
.LBB172_6:
	s_or_b32 exec_lo, exec_lo, s8
	s_delay_alu instid0(SALU_CYCLE_1)
	s_and_b32 vcc_lo, exec_lo, s7
	s_cbranch_vccz .LBB172_10
.LBB172_7:
	v_cmp_gt_i32_e32 vcc_lo, s2, v26
	s_and_not1_b32 s2, s6, exec_lo
	s_and_b32 s4, vcc_lo, exec_lo
	s_delay_alu instid0(SALU_CYCLE_1) | instskip(NEXT) | instid1(SALU_CYCLE_1)
	s_or_b32 s6, s2, s4
	s_and_b32 exec_lo, exec_lo, s6
	s_cbranch_execnz .LBB172_11
.LBB172_8:
	s_sendmsg sendmsg(MSG_DEALLOC_VGPRS)
	s_endpgm
.LBB172_9:
                                        ; implicit-def: $vgpr1
	s_cbranch_execnz .LBB172_7
.LBB172_10:
	s_delay_alu instid0(VALU_DEP_1)
	v_mov_b32_e32 v26, v1
	s_and_b32 exec_lo, exec_lo, s6
	s_cbranch_execz .LBB172_8
.LBB172_11:
	s_load_b256 s[4:11], s[0:1], 0x28
	s_mov_b32 s13, 0
	v_dual_mov_b32 v1, 0 :: v_dual_bitop2_b32 v0, 15, v0 bitop3:0x40
	s_wait_kmcnt 0x0
	s_cmp_eq_u64 s[6:7], 0
	global_load_b64 v[34:35], v26, s[4:5] scale_offset
	s_cselect_b32 vcc_lo, -1, 0
	v_ashrrev_i32_e32 v27, 31, v26
	s_cmp_eq_u32 s3, 1
	s_delay_alu instid0(VALU_DEP_1) | instskip(NEXT) | instid1(VALU_DEP_1)
	v_lshlrev_b64_e32 v[10:11], 3, v[26:27]
	v_add_nc_u64_e32 v[12:13], s[4:5], v[10:11]
	v_add_nc_u64_e32 v[10:11], s[6:7], v[10:11]
	s_wait_xcnt 0x0
	s_load_b64 s[4:5], s[0:1], 0x48
	s_delay_alu instid0(VALU_DEP_2) | instskip(NEXT) | instid1(VALU_DEP_1)
	v_add_nc_u64_e32 v[12:13], 8, v[12:13]
	v_dual_cndmask_b32 v11, v11, v13 :: v_dual_cndmask_b32 v10, v10, v12
	global_load_b64 v[10:11], v[10:11], off
	s_wait_loadcnt 0x1
	v_sub_nc_u64_e64 v[12:13], v[34:35], s[12:13]
	s_delay_alu instid0(VALU_DEP_1) | instskip(NEXT) | instid1(VALU_DEP_1)
	v_add_nc_u64_e32 v[18:19], v[12:13], v[0:1]
	v_lshlrev_b64_e32 v[12:13], 7, v[18:19]
	s_delay_alu instid0(VALU_DEP_1) | instskip(SKIP_2) | instid1(VALU_DEP_1)
	v_add_nc_u64_e32 v[22:23], s[10:11], v[12:13]
	s_wait_loadcnt 0x0
	v_sub_nc_u64_e64 v[20:21], v[10:11], s[12:13]
	v_cmp_lt_i64_e64 s2, v[18:19], v[20:21]
	s_cbranch_scc1 .LBB172_23
; %bb.12:
	v_mov_b64_e32 v[10:11], 0
	v_mov_b64_e32 v[28:29], 0
	;; [unrolled: 1-line block ×8, first 2 shown]
	s_and_saveexec_b32 s3, s2
	s_cbranch_execz .LBB172_22
; %bb.13:
	v_dual_mov_b32 v11, v1 :: v_dual_bitop2_b32 v10, 16, v0 bitop3:0x54
	v_sub_nc_u64_e32 v[12:13], s[12:13], v[0:1]
	v_not_b32_e32 v15, v35
	v_not_b32_e32 v14, v34
	v_mov_b64_e32 v[24:25], 0
	v_sub_nc_u64_e64 v[10:11], v[10:11], s[12:13]
	v_mov_b64_e32 v[16:17], 0
	v_mov_b64_e32 v[32:33], 0
	v_add_nc_u64_e32 v[12:13], v[12:13], v[14:15]
	v_mov_b64_e32 v[14:15], 0
	v_mov_b64_e32 v[30:31], 0
	;; [unrolled: 1-line block ×3, first 2 shown]
	v_add_nc_u64_e32 v[10:11], v[10:11], v[34:35]
	v_mov_b64_e32 v[36:37], v[22:23]
	v_mov_b64_e32 v[38:39], v[18:19]
	s_mov_b32 s6, exec_lo
	s_delay_alu instid0(VALU_DEP_3) | instskip(NEXT) | instid1(VALU_DEP_1)
	v_max_i64 v[10:11], v[10:11], v[20:21]
	v_add_nc_u64_e32 v[40:41], v[12:13], v[10:11]
	v_mov_b64_e32 v[12:13], 0
	v_mov_b64_e32 v[10:11], 0
	s_delay_alu instid0(VALU_DEP_3) | instskip(NEXT) | instid1(VALU_DEP_1)
	v_dual_mov_b32 v45, 0 :: v_dual_bitop2_b32 v44, 48, v40 bitop3:0x40
	v_cmpx_ne_u64_e32 48, v[44:45]
	s_cbranch_execz .LBB172_17
; %bb.14:
	v_lshrrev_b32_e32 v10, 4, v40
	v_mov_b64_e32 v[28:29], 0
	v_mov_b64_e32 v[12:13], 0
	;; [unrolled: 1-line block ×4, first 2 shown]
	v_add_nc_u32_e32 v14, 1, v10
	v_mov_b64_e32 v[10:11], 0
	v_mov_b64_e32 v[16:17], 0
	;; [unrolled: 1-line block ×4, first 2 shown]
	v_and_b32_e32 v44, 3, v14
	v_mov_b64_e32 v[14:15], 0
	v_mov_b64_e32 v[36:37], v[22:23]
	v_lshl_add_u64 v[42:43], v[18:19], 2, s[8:9]
	s_mov_b32 s7, 0
	v_sub_nc_u64_e32 v[44:45], 0, v[44:45]
.LBB172_15:                             ; =>This Inner Loop Header: Depth=1
	global_load_b32 v27, v[42:43], off
	s_clause 0x3
	global_load_b128 v[46:49], v[36:37], off
	global_load_b128 v[50:53], v[36:37], off offset:32
	global_load_b128 v[54:57], v[36:37], off offset:64
	;; [unrolled: 1-line block ×3, first 2 shown]
	v_add_nc_u64_e32 v[44:45], 1, v[44:45]
	v_add_nc_u64_e32 v[38:39], 16, v[38:39]
	s_wait_xcnt 0x4
	v_add_nc_u64_e32 v[42:43], 64, v[42:43]
	s_delay_alu instid0(VALU_DEP_3)
	v_cmp_eq_u64_e32 vcc_lo, 0, v[44:45]
	s_or_b32 s7, vcc_lo, s7
	s_wait_loadcnt 0x4
	v_subrev_nc_u32_e32 v27, s12, v27
	s_wait_loadcnt 0x3
	v_cvt_f64_f32_e32 v[94:95], v46
	v_cvt_f64_f32_e32 v[46:47], v47
	s_wait_loadcnt 0x2
	v_cvt_f64_f32_e32 v[96:97], v50
	v_cvt_f64_f32_e32 v[50:51], v51
	v_lshlrev_b32_e32 v27, 2, v27
	s_wait_loadcnt 0x1
	v_cvt_f64_f32_e32 v[98:99], v54
	v_cvt_f64_f32_e32 v[54:55], v55
	s_wait_loadcnt 0x0
	v_cvt_f64_f32_e32 v[100:101], v58
	v_cvt_f64_f32_e32 v[58:59], v59
	s_wait_kmcnt 0x0
	s_clause 0x1
	global_load_b128 v[62:65], v27, s[4:5] scale_offset
	global_load_b128 v[66:69], v27, s[4:5] offset:16 scale_offset
	s_clause 0x3
	global_load_b128 v[70:73], v[36:37], off offset:16
	global_load_b128 v[74:77], v[36:37], off offset:48
	;; [unrolled: 1-line block ×4, first 2 shown]
	s_clause 0x1
	global_load_b128 v[86:89], v27, s[4:5] offset:32 scale_offset
	global_load_b128 v[90:93], v27, s[4:5] offset:48 scale_offset
	v_cvt_f64_f32_e32 v[102:103], v52
	v_cvt_f64_f32_e32 v[52:53], v53
	;; [unrolled: 1-line block ×6, first 2 shown]
	s_wait_xcnt 0x2
	v_add_nc_u64_e32 v[36:37], 0x800, v[36:37]
	s_wait_loadcnt 0x7
	v_fmac_f64_e32 v[28:29], v[94:95], v[62:63]
	v_fmac_f64_e32 v[10:11], v[46:47], v[62:63]
	;; [unrolled: 1-line block ×8, first 2 shown]
	v_cvt_f64_f32_e32 v[62:63], v48
	v_cvt_f64_f32_e32 v[48:49], v49
	v_fma_f64 v[28:29], -v[46:47], v[64:65], v[28:29]
	v_fmac_f64_e32 v[10:11], v[94:95], v[64:65]
	v_fma_f64 v[30:31], -v[50:51], v[64:65], v[30:31]
	v_fmac_f64_e32 v[12:13], v[96:97], v[64:65]
	;; [unrolled: 2-line block ×4, first 2 shown]
	s_wait_loadcnt 0x5
	v_cvt_f64_f32_e32 v[46:47], v70
	v_cvt_f64_f32_e32 v[50:51], v71
	s_wait_loadcnt 0x4
	v_cvt_f64_f32_e32 v[54:55], v74
	v_cvt_f64_f32_e32 v[58:59], v75
	s_wait_loadcnt 0x3
	v_cvt_f64_f32_e32 v[64:65], v78
	s_wait_loadcnt 0x2
	v_cvt_f64_f32_e32 v[70:71], v82
	v_cvt_f64_f32_e32 v[74:75], v83
	v_fmac_f64_e32 v[28:29], v[62:63], v[66:67]
	v_fmac_f64_e32 v[10:11], v[48:49], v[66:67]
	;; [unrolled: 1-line block ×8, first 2 shown]
	v_cvt_f64_f32_e32 v[66:67], v79
	v_fma_f64 v[28:29], -v[48:49], v[68:69], v[28:29]
	v_fmac_f64_e32 v[10:11], v[62:63], v[68:69]
	v_fma_f64 v[30:31], -v[52:53], v[68:69], v[30:31]
	v_fmac_f64_e32 v[12:13], v[102:103], v[68:69]
	;; [unrolled: 2-line block ×4, first 2 shown]
	v_cvt_f64_f32_e32 v[48:49], v72
	v_cvt_f64_f32_e32 v[52:53], v73
	;; [unrolled: 1-line block ×8, first 2 shown]
	s_wait_loadcnt 0x1
	v_fmac_f64_e32 v[28:29], v[46:47], v[86:87]
	v_fmac_f64_e32 v[10:11], v[50:51], v[86:87]
	;; [unrolled: 1-line block ×8, first 2 shown]
	v_fma_f64 v[28:29], -v[50:51], v[88:89], v[28:29]
	v_fmac_f64_e32 v[10:11], v[46:47], v[88:89]
	v_fma_f64 v[30:31], -v[58:59], v[88:89], v[30:31]
	v_fmac_f64_e32 v[12:13], v[54:55], v[88:89]
	;; [unrolled: 2-line block ×4, first 2 shown]
	s_wait_loadcnt 0x0
	v_fmac_f64_e32 v[28:29], v[48:49], v[90:91]
	v_fmac_f64_e32 v[10:11], v[52:53], v[90:91]
	;; [unrolled: 1-line block ×8, first 2 shown]
	v_fma_f64 v[28:29], -v[52:53], v[92:93], v[28:29]
	v_fmac_f64_e32 v[10:11], v[48:49], v[92:93]
	v_fma_f64 v[30:31], -v[60:61], v[92:93], v[30:31]
	v_fmac_f64_e32 v[12:13], v[56:57], v[92:93]
	;; [unrolled: 2-line block ×4, first 2 shown]
	s_and_not1_b32 exec_lo, exec_lo, s7
	s_cbranch_execnz .LBB172_15
; %bb.16:
	s_or_b32 exec_lo, exec_lo, s7
.LBB172_17:
	s_delay_alu instid0(SALU_CYCLE_1) | instskip(NEXT) | instid1(SALU_CYCLE_1)
	s_or_b32 exec_lo, exec_lo, s6
	s_mov_b32 s6, exec_lo
	v_cmpx_lt_u64_e32 47, v[40:41]
	s_cbranch_execz .LBB172_21
; %bb.18:
	v_lshl_add_u64 v[40:41], v[38:39], 2, s[8:9]
	s_mov_b32 s7, 0
	s_delay_alu instid0(VALU_DEP_1)
	v_add_nc_u64_e32 v[40:41], 0x80, v[40:41]
.LBB172_19:                             ; =>This Inner Loop Header: Depth=1
	s_clause 0x1
	global_load_b32 v27, v[40:41], off offset:-128
	global_load_b32 v106, v[40:41], off offset:-64
	s_clause 0x3
	global_load_b128 v[42:45], v[36:37], off
	global_load_b128 v[46:49], v[36:37], off offset:32
	global_load_b128 v[50:53], v[36:37], off offset:64
	;; [unrolled: 1-line block ×3, first 2 shown]
	s_clause 0x1
	global_load_b32 v146, v[40:41], off
	global_load_b32 v147, v[40:41], off offset:64
	v_add_nc_u64_e32 v[38:39], 64, v[38:39]
	s_wait_xcnt 0x0
	v_add_nc_u64_e32 v[40:41], 0x100, v[40:41]
	s_delay_alu instid0(VALU_DEP_2)
	v_cmp_ge_i64_e32 vcc_lo, v[38:39], v[20:21]
	s_or_b32 s7, vcc_lo, s7
	s_wait_loadcnt 0x7
	v_subrev_nc_u32_e32 v27, s12, v27
	s_wait_loadcnt 0x5
	v_cvt_f64_f32_e32 v[130:131], v42
	v_cvt_f64_f32_e32 v[42:43], v43
	s_wait_loadcnt 0x4
	v_cvt_f64_f32_e32 v[132:133], v46
	v_lshlrev_b32_e32 v27, 2, v27
	v_cvt_f64_f32_e32 v[46:47], v47
	s_wait_loadcnt 0x3
	v_cvt_f64_f32_e32 v[134:135], v50
	v_cvt_f64_f32_e32 v[50:51], v51
	s_wait_loadcnt 0x2
	v_cvt_f64_f32_e32 v[136:137], v54
	s_wait_kmcnt 0x0
	s_clause 0x1
	global_load_b128 v[58:61], v27, s[4:5] scale_offset
	global_load_b128 v[62:65], v27, s[4:5] offset:16 scale_offset
	s_clause 0x3
	global_load_b128 v[66:69], v[36:37], off offset:16
	global_load_b128 v[70:73], v[36:37], off offset:48
	;; [unrolled: 1-line block ×4, first 2 shown]
	s_clause 0x1
	global_load_b128 v[82:85], v27, s[4:5] offset:32 scale_offset
	global_load_b128 v[86:89], v27, s[4:5] offset:48 scale_offset
	s_clause 0x3
	global_load_b128 v[90:93], v[36:37], off offset:2048
	global_load_b128 v[94:97], v[36:37], off offset:2080
	;; [unrolled: 1-line block ×4, first 2 shown]
	s_wait_xcnt 0x4
	v_subrev_nc_u32_e32 v27, s12, v106
	v_cvt_f64_f32_e32 v[54:55], v55
	v_cvt_f64_f32_e32 v[138:139], v48
	;; [unrolled: 1-line block ×7, first 2 shown]
	s_wait_loadcnt 0xb
	v_fmac_f64_e32 v[30:31], v[132:133], v[58:59]
	v_lshlrev_b32_e32 v27, 2, v27
	v_fmac_f64_e32 v[28:29], v[130:131], v[58:59]
	v_fmac_f64_e32 v[12:13], v[46:47], v[58:59]
	;; [unrolled: 1-line block ×7, first 2 shown]
	v_cvt_f64_f32_e32 v[58:59], v44
	v_cvt_f64_f32_e32 v[44:45], v45
	v_fma_f64 v[46:47], -v[46:47], v[60:61], v[30:31]
	s_clause 0x1
	global_load_b128 v[106:109], v27, s[4:5] scale_offset
	global_load_b128 v[110:113], v27, s[4:5] offset:16 scale_offset
	v_fma_f64 v[42:43], -v[42:43], v[60:61], v[28:29]
	v_fmac_f64_e32 v[10:11], v[130:131], v[60:61]
	s_clause 0x3
	global_load_b128 v[114:117], v[36:37], off offset:2064
	global_load_b128 v[118:121], v[36:37], off offset:2096
	;; [unrolled: 1-line block ×4, first 2 shown]
	v_fmac_f64_e32 v[12:13], v[132:133], v[60:61]
	v_fmac_f64_e32 v[14:15], v[134:135], v[60:61]
	v_fma_f64 v[24:25], -v[54:55], v[60:61], v[24:25]
	v_fmac_f64_e32 v[16:17], v[136:137], v[60:61]
	global_load_b128 v[28:31], v27, s[4:5] offset:32 scale_offset
	s_wait_loadcnt 0xf
	v_cvt_f64_f32_e32 v[130:131], v70
	v_cvt_f64_f32_e32 v[70:71], v71
	s_wait_loadcnt 0xe
	v_cvt_f64_f32_e32 v[132:133], v74
	v_cvt_f64_f32_e32 v[74:75], v75
	;; [unrolled: 3-line block ×3, first 2 shown]
	v_fmac_f64_e32 v[46:47], v[138:139], v[62:63]
	v_fmac_f64_e32 v[42:43], v[58:59], v[62:63]
	;; [unrolled: 1-line block ×7, first 2 shown]
	v_fma_f64 v[144:145], -v[48:49], v[64:65], v[46:47]
	v_fma_f64 v[136:137], -v[44:45], v[64:65], v[42:43]
	global_load_b128 v[42:45], v27, s[4:5] offset:48 scale_offset
	s_wait_xcnt 0x0
	v_subrev_nc_u32_e32 v27, s12, v146
	v_fma_f64 v[32:33], -v[50:51], v[60:61], v[32:33]
	v_fmac_f64_e32 v[10:11], v[58:59], v[64:65]
	v_fmac_f64_e32 v[12:13], v[138:139], v[64:65]
	;; [unrolled: 1-line block ×3, first 2 shown]
	v_dual_fma_f64 v[24:25], -v[56:57], v[64:65], v[24:25] :: v_dual_lshlrev_b32 v27, 2, v27
	v_fmac_f64_e32 v[16:17], v[142:143], v[64:65]
	v_cvt_f64_f32_e32 v[138:139], v72
	v_cvt_f64_f32_e32 v[72:73], v73
	;; [unrolled: 1-line block ×4, first 2 shown]
	s_wait_loadcnt 0xd
	v_fmac_f64_e32 v[144:145], v[130:131], v[82:83]
	v_fmac_f64_e32 v[32:33], v[140:141], v[62:63]
	v_cvt_f64_f32_e32 v[62:63], v66
	v_cvt_f64_f32_e32 v[66:67], v67
	v_fmac_f64_e32 v[12:13], v[70:71], v[82:83]
	v_fmac_f64_e32 v[14:15], v[74:75], v[82:83]
	;; [unrolled: 1-line block ×4, first 2 shown]
	v_cvt_f64_f32_e32 v[140:141], v76
	v_cvt_f64_f32_e32 v[76:77], v77
	v_fma_f64 v[70:71], -v[70:71], v[84:85], v[144:145]
	v_fma_f64 v[32:33], -v[52:53], v[64:65], v[32:33]
	v_fmac_f64_e32 v[136:137], v[62:63], v[82:83]
	v_fmac_f64_e32 v[10:11], v[66:67], v[82:83]
	s_clause 0x3
	global_load_b128 v[46:49], v[36:37], off offset:4096
	global_load_b128 v[50:53], v[36:37], off offset:4128
	;; [unrolled: 1-line block ×4, first 2 shown]
	v_fmac_f64_e32 v[12:13], v[130:131], v[84:85]
	v_fmac_f64_e32 v[14:15], v[132:133], v[84:85]
	v_fma_f64 v[24:25], -v[78:79], v[84:85], v[24:25]
	v_fmac_f64_e32 v[16:17], v[134:135], v[84:85]
	s_wait_loadcnt 0xe
	v_cvt_f64_f32_e32 v[130:131], v94
	v_cvt_f64_f32_e32 v[94:95], v95
	s_wait_loadcnt 0xc
	v_cvt_f64_f32_e32 v[134:135], v102
	v_cvt_f64_f32_e32 v[102:103], v103
	v_fmac_f64_e32 v[70:71], v[138:139], v[86:87]
	v_fmac_f64_e32 v[32:33], v[132:133], v[82:83]
	v_cvt_f64_f32_e32 v[82:83], v68
	v_cvt_f64_f32_e32 v[68:69], v69
	v_fma_f64 v[66:67], -v[66:67], v[84:85], v[136:137]
	v_fmac_f64_e32 v[10:11], v[62:63], v[84:85]
	global_load_b128 v[62:65], v27, s[4:5] scale_offset
	v_fmac_f64_e32 v[12:13], v[72:73], v[86:87]
	v_fmac_f64_e32 v[14:15], v[76:77], v[86:87]
	;; [unrolled: 1-line block ×4, first 2 shown]
	v_cvt_f64_f32_e32 v[132:133], v98
	v_cvt_f64_f32_e32 v[98:99], v99
	v_fma_f64 v[144:145], -v[72:73], v[88:89], v[70:71]
	v_fma_f64 v[32:33], -v[74:75], v[84:85], v[32:33]
	v_fmac_f64_e32 v[66:67], v[82:83], v[86:87]
	v_fmac_f64_e32 v[10:11], v[68:69], v[86:87]
	;; [unrolled: 1-line block ×4, first 2 shown]
	v_fma_f64 v[24:25], -v[80:81], v[88:89], v[24:25]
	v_fmac_f64_e32 v[16:17], v[142:143], v[88:89]
	v_cvt_f64_f32_e32 v[138:139], v96
	v_cvt_f64_f32_e32 v[96:97], v97
	;; [unrolled: 1-line block ×4, first 2 shown]
	v_fmac_f64_e32 v[32:33], v[140:141], v[86:87]
	v_cvt_f64_f32_e32 v[86:87], v90
	v_cvt_f64_f32_e32 v[90:91], v91
	v_fma_f64 v[136:137], -v[68:69], v[88:89], v[66:67]
	v_fmac_f64_e32 v[10:11], v[82:83], v[88:89]
	global_load_b128 v[66:69], v27, s[4:5] offset:16 scale_offset
	v_cvt_f64_f32_e32 v[140:141], v100
	v_cvt_f64_f32_e32 v[100:101], v101
	v_fma_f64 v[32:33], -v[76:77], v[88:89], v[32:33]
	s_clause 0x3
	global_load_b128 v[70:73], v[36:37], off offset:4144
	global_load_b128 v[74:77], v[36:37], off offset:4112
	;; [unrolled: 1-line block ×4, first 2 shown]
	s_wait_loadcnt 0x11
	v_fmac_f64_e32 v[136:137], v[86:87], v[106:107]
	v_fmac_f64_e32 v[10:11], v[90:91], v[106:107]
	;; [unrolled: 1-line block ×8, first 2 shown]
	v_cvt_f64_f32_e32 v[106:107], v92
	v_cvt_f64_f32_e32 v[92:93], v93
	v_fma_f64 v[90:91], -v[90:91], v[108:109], v[136:137]
	v_fmac_f64_e32 v[10:11], v[86:87], v[108:109]
	v_fma_f64 v[94:95], -v[94:95], v[108:109], v[144:145]
	v_fmac_f64_e32 v[12:13], v[130:131], v[108:109]
	;; [unrolled: 2-line block ×4, first 2 shown]
	global_load_b128 v[86:89], v27, s[4:5] offset:32 scale_offset
	s_wait_loadcnt 0xf
	v_cvt_f64_f32_e32 v[130:131], v118
	v_cvt_f64_f32_e32 v[118:119], v119
	s_wait_loadcnt 0xe
	v_cvt_f64_f32_e32 v[132:133], v122
	v_cvt_f64_f32_e32 v[122:123], v123
	;; [unrolled: 3-line block ×3, first 2 shown]
	v_fmac_f64_e32 v[90:91], v[106:107], v[110:111]
	v_fmac_f64_e32 v[10:11], v[92:93], v[110:111]
	;; [unrolled: 1-line block ×8, first 2 shown]
	v_cvt_f64_f32_e32 v[110:111], v114
	v_cvt_f64_f32_e32 v[114:115], v115
	v_fma_f64 v[136:137], -v[92:93], v[112:113], v[90:91]
	v_fmac_f64_e32 v[10:11], v[106:107], v[112:113]
	v_fma_f64 v[144:145], -v[96:97], v[112:113], v[94:95]
	v_fmac_f64_e32 v[12:13], v[138:139], v[112:113]
	;; [unrolled: 2-line block ×4, first 2 shown]
	global_load_b128 v[90:93], v27, s[4:5] offset:48 scale_offset
	s_clause 0x3
	global_load_b128 v[94:97], v[36:37], off offset:6176
	global_load_b128 v[98:101], v[36:37], off offset:6144
	;; [unrolled: 1-line block ×4, first 2 shown]
	v_cvt_f64_f32_e32 v[112:113], v116
	v_cvt_f64_f32_e32 v[116:117], v117
	;; [unrolled: 1-line block ×8, first 2 shown]
	s_wait_xcnt 0x4
	v_subrev_nc_u32_e32 v27, s12, v147
	s_delay_alu instid0(VALU_DEP_1)
	v_lshlrev_b32_e32 v27, 2, v27
	s_wait_loadcnt 0x11
	v_fmac_f64_e32 v[136:137], v[110:111], v[28:29]
	v_fmac_f64_e32 v[10:11], v[114:115], v[28:29]
	;; [unrolled: 1-line block ×8, first 2 shown]
	v_fma_f64 v[114:115], -v[114:115], v[30:31], v[136:137]
	v_fmac_f64_e32 v[10:11], v[110:111], v[30:31]
	v_fma_f64 v[110:111], -v[118:119], v[30:31], v[144:145]
	v_fmac_f64_e32 v[12:13], v[130:131], v[30:31]
	;; [unrolled: 2-line block ×4, first 2 shown]
	global_load_b128 v[28:31], v27, s[4:5] scale_offset
	s_wait_loadcnt 0x10
	v_cvt_f64_f32_e32 v[126:127], v46
	v_cvt_f64_f32_e32 v[46:47], v47
	s_wait_loadcnt 0xf
	v_cvt_f64_f32_e32 v[130:131], v50
	v_cvt_f64_f32_e32 v[50:51], v51
	;; [unrolled: 3-line block ×4, first 2 shown]
	v_fmac_f64_e32 v[114:115], v[112:113], v[42:43]
	v_fmac_f64_e32 v[10:11], v[116:117], v[42:43]
	;; [unrolled: 1-line block ×8, first 2 shown]
	v_fma_f64 v[136:137], -v[116:117], v[44:45], v[114:115]
	v_fmac_f64_e32 v[10:11], v[112:113], v[44:45]
	v_fma_f64 v[144:145], -v[120:121], v[44:45], v[110:111]
	v_fmac_f64_e32 v[12:13], v[138:139], v[44:45]
	;; [unrolled: 2-line block ×4, first 2 shown]
	global_load_b128 v[42:45], v27, s[4:5] offset:16 scale_offset
	s_clause 0x3
	global_load_b128 v[110:113], v[36:37], off offset:6192
	global_load_b128 v[114:117], v[36:37], off offset:6160
	;; [unrolled: 1-line block ×4, first 2 shown]
	v_cvt_f64_f32_e32 v[128:129], v49
	v_cvt_f64_f32_e32 v[138:139], v52
	;; [unrolled: 1-line block ×7, first 2 shown]
	s_wait_xcnt 0x0
	v_add_nc_u64_e32 v[36:37], 0x2000, v[36:37]
	s_wait_loadcnt 0x11
	v_fmac_f64_e32 v[136:137], v[126:127], v[62:63]
	v_fmac_f64_e32 v[10:11], v[46:47], v[62:63]
	;; [unrolled: 1-line block ×8, first 2 shown]
	v_cvt_f64_f32_e32 v[62:63], v48
	v_fma_f64 v[136:137], -v[46:47], v[64:65], v[136:137]
	v_fmac_f64_e32 v[10:11], v[126:127], v[64:65]
	v_fma_f64 v[50:51], -v[50:51], v[64:65], v[144:145]
	v_fmac_f64_e32 v[12:13], v[130:131], v[64:65]
	;; [unrolled: 2-line block ×4, first 2 shown]
	global_load_b128 v[46:49], v27, s[4:5] offset:32 scale_offset
	s_wait_loadcnt 0xf
	v_cvt_f64_f32_e32 v[54:55], v74
	v_cvt_f64_f32_e32 v[58:59], v75
	;; [unrolled: 1-line block ×3, first 2 shown]
	s_wait_loadcnt 0xe
	v_cvt_f64_f32_e32 v[74:75], v79
	v_fmac_f64_e32 v[136:137], v[62:63], v[66:67]
	v_fmac_f64_e32 v[10:11], v[128:129], v[66:67]
	;; [unrolled: 1-line block ×8, first 2 shown]
	v_cvt_f64_f32_e32 v[66:67], v71
	v_cvt_f64_f32_e32 v[70:71], v78
	s_wait_loadcnt 0xd
	v_cvt_f64_f32_e32 v[78:79], v82
	v_cvt_f64_f32_e32 v[82:83], v83
	v_fma_f64 v[126:127], -v[128:129], v[68:69], v[136:137]
	v_fmac_f64_e32 v[10:11], v[62:63], v[68:69]
	v_fma_f64 v[62:63], -v[52:53], v[68:69], v[50:51]
	v_fmac_f64_e32 v[12:13], v[138:139], v[68:69]
	;; [unrolled: 2-line block ×4, first 2 shown]
	global_load_b128 v[50:53], v27, s[4:5] offset:48 scale_offset
	v_cvt_f64_f32_e32 v[56:57], v76
	v_cvt_f64_f32_e32 v[60:61], v77
	;; [unrolled: 1-line block ×6, first 2 shown]
	s_wait_loadcnt 0xd
	v_fmac_f64_e32 v[126:127], v[54:55], v[86:87]
	v_fmac_f64_e32 v[10:11], v[58:59], v[86:87]
	;; [unrolled: 1-line block ×8, first 2 shown]
	v_cvt_f64_f32_e32 v[86:87], v84
	v_cvt_f64_f32_e32 v[84:85], v85
	v_fma_f64 v[58:59], -v[58:59], v[88:89], v[126:127]
	v_fmac_f64_e32 v[10:11], v[54:55], v[88:89]
	v_fma_f64 v[54:55], -v[66:67], v[88:89], v[62:63]
	v_fmac_f64_e32 v[12:13], v[64:65], v[88:89]
	;; [unrolled: 2-line block ×4, first 2 shown]
	s_wait_loadcnt 0xa
	v_cvt_f64_f32_e32 v[62:63], v98
	v_cvt_f64_f32_e32 v[64:65], v99
	;; [unrolled: 1-line block ×4, first 2 shown]
	s_wait_loadcnt 0x8
	v_cvt_f64_f32_e32 v[74:75], v106
	v_cvt_f64_f32_e32 v[78:79], v107
	v_cvt_f64_f32_e32 v[82:83], v102
	v_cvt_f64_f32_e32 v[88:89], v103
	v_fmac_f64_e32 v[58:59], v[56:57], v[90:91]
	v_fmac_f64_e32 v[10:11], v[60:61], v[90:91]
	;; [unrolled: 1-line block ×8, first 2 shown]
	v_fma_f64 v[58:59], -v[60:61], v[92:93], v[58:59]
	v_fmac_f64_e32 v[10:11], v[56:57], v[92:93]
	v_fma_f64 v[54:55], -v[72:73], v[92:93], v[54:55]
	v_fmac_f64_e32 v[12:13], v[68:69], v[92:93]
	;; [unrolled: 2-line block ×4, first 2 shown]
	v_cvt_f64_f32_e32 v[56:57], v101
	v_cvt_f64_f32_e32 v[60:61], v96
	;; [unrolled: 1-line block ×7, first 2 shown]
	s_wait_loadcnt 0x7
	v_fmac_f64_e32 v[58:59], v[62:63], v[28:29]
	v_fmac_f64_e32 v[10:11], v[64:65], v[28:29]
	;; [unrolled: 1-line block ×8, first 2 shown]
	v_cvt_f64_f32_e32 v[28:29], v100
	v_fma_f64 v[58:59], -v[64:65], v[30:31], v[58:59]
	v_fmac_f64_e32 v[10:11], v[62:63], v[30:31]
	v_fma_f64 v[54:55], -v[70:71], v[30:31], v[54:55]
	v_fmac_f64_e32 v[12:13], v[66:67], v[30:31]
	v_fma_f64 v[32:33], -v[78:79], v[30:31], v[32:33]
	v_fmac_f64_e32 v[14:15], v[74:75], v[30:31]
	v_fma_f64 v[24:25], -v[88:89], v[30:31], v[24:25]
	v_fmac_f64_e32 v[16:17], v[82:83], v[30:31]
	s_wait_loadcnt 0x4
	v_cvt_f64_f32_e32 v[30:31], v114
	v_cvt_f64_f32_e32 v[62:63], v110
	;; [unrolled: 1-line block ×3, first 2 shown]
	s_wait_loadcnt 0x2
	v_cvt_f64_f32_e32 v[66:67], v122
	v_cvt_f64_f32_e32 v[70:71], v123
	;; [unrolled: 1-line block ×4, first 2 shown]
	v_fmac_f64_e32 v[58:59], v[28:29], v[42:43]
	v_fmac_f64_e32 v[10:11], v[56:57], v[42:43]
	v_fmac_f64_e32 v[54:55], v[60:61], v[42:43]
	v_fmac_f64_e32 v[12:13], v[68:69], v[42:43]
	v_fmac_f64_e32 v[32:33], v[72:73], v[42:43]
	v_fmac_f64_e32 v[14:15], v[76:77], v[42:43]
	v_fmac_f64_e32 v[24:25], v[80:81], v[42:43]
	v_fmac_f64_e32 v[16:17], v[84:85], v[42:43]
	v_cvt_f64_f32_e32 v[42:43], v115
	v_fma_f64 v[56:57], -v[56:57], v[44:45], v[58:59]
	v_fmac_f64_e32 v[10:11], v[28:29], v[44:45]
	v_fma_f64 v[28:29], -v[68:69], v[44:45], v[54:55]
	v_fmac_f64_e32 v[12:13], v[60:61], v[44:45]
	;; [unrolled: 2-line block ×4, first 2 shown]
	v_cvt_f64_f32_e32 v[44:45], v116
	v_cvt_f64_f32_e32 v[54:55], v112
	;; [unrolled: 1-line block ×7, first 2 shown]
	s_wait_loadcnt 0x1
	v_fmac_f64_e32 v[56:57], v[30:31], v[46:47]
	v_fmac_f64_e32 v[10:11], v[42:43], v[46:47]
	;; [unrolled: 1-line block ×8, first 2 shown]
	v_cvt_f64_f32_e32 v[46:47], v117
	v_fma_f64 v[42:43], -v[42:43], v[48:49], v[56:57]
	v_fmac_f64_e32 v[10:11], v[30:31], v[48:49]
	v_fma_f64 v[30:31], -v[64:65], v[48:49], v[28:29]
	v_fmac_f64_e32 v[12:13], v[62:63], v[48:49]
	;; [unrolled: 2-line block ×4, first 2 shown]
	s_wait_loadcnt 0x0
	v_fmac_f64_e32 v[42:43], v[44:45], v[50:51]
	v_fmac_f64_e32 v[10:11], v[46:47], v[50:51]
	;; [unrolled: 1-line block ×8, first 2 shown]
	v_fma_f64 v[28:29], -v[46:47], v[52:53], v[42:43]
	v_fmac_f64_e32 v[10:11], v[44:45], v[52:53]
	v_fma_f64 v[30:31], -v[58:59], v[52:53], v[30:31]
	v_fmac_f64_e32 v[12:13], v[54:55], v[52:53]
	v_fma_f64 v[32:33], -v[68:69], v[52:53], v[32:33]
	v_fmac_f64_e32 v[14:15], v[60:61], v[52:53]
	v_fma_f64 v[24:25], -v[76:77], v[52:53], v[24:25]
	v_fmac_f64_e32 v[16:17], v[72:73], v[52:53]
	s_and_not1_b32 exec_lo, exec_lo, s7
	s_cbranch_execnz .LBB172_19
; %bb.20:
	s_or_b32 exec_lo, exec_lo, s7
.LBB172_21:
	s_delay_alu instid0(SALU_CYCLE_1)
	s_or_b32 exec_lo, exec_lo, s6
.LBB172_22:
	s_delay_alu instid0(SALU_CYCLE_1)
	s_or_b32 exec_lo, exec_lo, s3
	s_cbranch_execz .LBB172_24
	s_branch .LBB172_35
.LBB172_23:
                                        ; implicit-def: $vgpr10_vgpr11
                                        ; implicit-def: $vgpr28_vgpr29
                                        ; implicit-def: $vgpr12_vgpr13
                                        ; implicit-def: $vgpr30_vgpr31
                                        ; implicit-def: $vgpr14_vgpr15
                                        ; implicit-def: $vgpr32_vgpr33
                                        ; implicit-def: $vgpr16_vgpr17
                                        ; implicit-def: $vgpr24_vgpr25
.LBB172_24:
	v_mov_b64_e32 v[10:11], 0
	v_mov_b64_e32 v[28:29], 0
	;; [unrolled: 1-line block ×8, first 2 shown]
	s_and_saveexec_b32 s3, s2
	s_cbranch_execz .LBB172_34
; %bb.25:
	v_dual_mov_b32 v11, v1 :: v_dual_bitop2_b32 v10, 16, v0 bitop3:0x54
	v_sub_nc_u64_e32 v[12:13], s[12:13], v[0:1]
	v_not_b32_e32 v15, v35
	v_not_b32_e32 v14, v34
	v_mov_b64_e32 v[24:25], 0
	v_sub_nc_u64_e64 v[10:11], v[10:11], s[12:13]
	v_mov_b64_e32 v[16:17], 0
	v_mov_b64_e32 v[32:33], 0
	v_add_nc_u64_e32 v[12:13], v[12:13], v[14:15]
	v_mov_b64_e32 v[14:15], 0
	v_mov_b64_e32 v[30:31], 0
	;; [unrolled: 1-line block ×3, first 2 shown]
	v_add_nc_u64_e32 v[10:11], v[10:11], v[34:35]
	s_mov_b32 s2, exec_lo
	s_delay_alu instid0(VALU_DEP_1) | instskip(NEXT) | instid1(VALU_DEP_1)
	v_max_i64 v[10:11], v[10:11], v[20:21]
	v_add_nc_u64_e32 v[34:35], v[12:13], v[10:11]
	v_mov_b64_e32 v[12:13], 0
	v_mov_b64_e32 v[10:11], 0
	s_delay_alu instid0(VALU_DEP_3) | instskip(NEXT) | instid1(VALU_DEP_1)
	v_dual_mov_b32 v37, 0 :: v_dual_bitop2_b32 v36, 48, v34 bitop3:0x40
	v_cmpx_ne_u64_e32 48, v[36:37]
	s_cbranch_execz .LBB172_29
; %bb.26:
	v_lshrrev_b32_e32 v1, 4, v34
	v_mov_b64_e32 v[10:11], 0
	v_mov_b64_e32 v[28:29], 0
	;; [unrolled: 1-line block ×4, first 2 shown]
	v_add_nc_u32_e32 v1, 1, v1
	v_mov_b64_e32 v[14:15], 0
	v_mov_b64_e32 v[32:33], 0
	;; [unrolled: 1-line block ×4, first 2 shown]
	v_and_b32_e32 v36, 3, v1
	v_lshl_add_u64 v[38:39], v[18:19], 2, s[8:9]
	s_mov_b32 s6, 0
	s_delay_alu instid0(VALU_DEP_2)
	v_sub_nc_u64_e32 v[36:37], 0, v[36:37]
.LBB172_27:                             ; =>This Inner Loop Header: Depth=1
	global_load_b32 v1, v[38:39], off
	s_clause 0x1
	global_load_b128 v[40:43], v[22:23], off
	global_load_b128 v[44:47], v[22:23], off offset:16
	v_add_nc_u64_e32 v[36:37], 1, v[36:37]
	v_add_nc_u64_e32 v[18:19], 16, v[18:19]
	s_wait_xcnt 0x2
	v_add_nc_u64_e32 v[38:39], 64, v[38:39]
	s_delay_alu instid0(VALU_DEP_3)
	v_cmp_eq_u64_e32 vcc_lo, 0, v[36:37]
	s_or_b32 s6, vcc_lo, s6
	s_wait_loadcnt 0x2
	v_subrev_nc_u32_e32 v1, s12, v1
	s_wait_loadcnt 0x1
	v_cvt_f64_f32_e32 v[88:89], v40
	v_cvt_f64_f32_e32 v[40:41], v41
	;; [unrolled: 1-line block ×4, first 2 shown]
	v_lshlrev_b32_e32 v1, 2, v1
	s_wait_loadcnt 0x0
	v_cvt_f64_f32_e32 v[92:93], v44
	v_cvt_f64_f32_e32 v[44:45], v45
	;; [unrolled: 1-line block ×4, first 2 shown]
	s_wait_kmcnt 0x0
	s_clause 0x1
	global_load_b128 v[48:51], v1, s[4:5] scale_offset
	global_load_b128 v[52:55], v1, s[4:5] offset:16 scale_offset
	s_clause 0x3
	global_load_b128 v[56:59], v[22:23], off offset:32
	global_load_b128 v[60:63], v[22:23], off offset:48
	;; [unrolled: 1-line block ×4, first 2 shown]
	s_clause 0x1
	global_load_b128 v[72:75], v1, s[4:5] offset:32 scale_offset
	global_load_b128 v[76:79], v1, s[4:5] offset:48 scale_offset
	s_clause 0x1
	global_load_b128 v[80:83], v[22:23], off offset:96
	global_load_b128 v[84:87], v[22:23], off offset:112
	s_wait_xcnt 0x0
	v_add_nc_u64_e32 v[22:23], 0x800, v[22:23]
	s_wait_loadcnt 0x9
	v_fmac_f64_e32 v[28:29], v[88:89], v[48:49]
	v_fmac_f64_e32 v[10:11], v[40:41], v[48:49]
	;; [unrolled: 1-line block ×8, first 2 shown]
	s_wait_loadcnt 0x7
	v_cvt_f64_f32_e32 v[48:49], v56
	v_cvt_f64_f32_e32 v[56:57], v57
	;; [unrolled: 1-line block ×4, first 2 shown]
	s_wait_loadcnt 0x6
	v_cvt_f64_f32_e32 v[98:99], v60
	v_cvt_f64_f32_e32 v[60:61], v61
	;; [unrolled: 1-line block ×4, first 2 shown]
	v_fma_f64 v[28:29], -v[40:41], v[50:51], v[28:29]
	v_fmac_f64_e32 v[10:11], v[88:89], v[50:51]
	v_fma_f64 v[30:31], -v[42:43], v[50:51], v[30:31]
	v_fmac_f64_e32 v[12:13], v[90:91], v[50:51]
	;; [unrolled: 2-line block ×4, first 2 shown]
	s_wait_loadcnt 0x5
	v_cvt_f64_f32_e32 v[40:41], v64
	v_cvt_f64_f32_e32 v[42:43], v65
	;; [unrolled: 1-line block ×4, first 2 shown]
	s_wait_loadcnt 0x4
	v_cvt_f64_f32_e32 v[50:51], v68
	v_cvt_f64_f32_e32 v[64:65], v70
	;; [unrolled: 1-line block ×3, first 2 shown]
	s_wait_loadcnt 0x0
	v_cvt_f64_f32_e32 v[70:71], v87
	v_fmac_f64_e32 v[28:29], v[48:49], v[52:53]
	v_fmac_f64_e32 v[10:11], v[56:57], v[52:53]
	;; [unrolled: 1-line block ×8, first 2 shown]
	v_cvt_f64_f32_e32 v[52:53], v69
	v_cvt_f64_f32_e32 v[68:69], v86
	v_fma_f64 v[28:29], -v[56:57], v[54:55], v[28:29]
	v_fmac_f64_e32 v[10:11], v[48:49], v[54:55]
	v_fma_f64 v[30:31], -v[58:59], v[54:55], v[30:31]
	v_fmac_f64_e32 v[12:13], v[96:97], v[54:55]
	;; [unrolled: 2-line block ×4, first 2 shown]
	v_cvt_f64_f32_e32 v[48:49], v80
	v_cvt_f64_f32_e32 v[54:55], v81
	;; [unrolled: 1-line block ×6, first 2 shown]
	v_fmac_f64_e32 v[28:29], v[40:41], v[72:73]
	v_fmac_f64_e32 v[10:11], v[42:43], v[72:73]
	v_fmac_f64_e32 v[30:31], v[44:45], v[72:73]
	v_fmac_f64_e32 v[12:13], v[46:47], v[72:73]
	v_fmac_f64_e32 v[32:33], v[50:51], v[72:73]
	v_fmac_f64_e32 v[14:15], v[52:53], v[72:73]
	v_fmac_f64_e32 v[24:25], v[64:65], v[72:73]
	v_fmac_f64_e32 v[16:17], v[66:67], v[72:73]
	v_fma_f64 v[28:29], -v[42:43], v[74:75], v[28:29]
	v_fmac_f64_e32 v[10:11], v[40:41], v[74:75]
	v_fma_f64 v[30:31], -v[46:47], v[74:75], v[30:31]
	v_fmac_f64_e32 v[12:13], v[44:45], v[74:75]
	;; [unrolled: 2-line block ×4, first 2 shown]
	v_fmac_f64_e32 v[28:29], v[48:49], v[76:77]
	v_fmac_f64_e32 v[10:11], v[54:55], v[76:77]
	;; [unrolled: 1-line block ×8, first 2 shown]
	v_fma_f64 v[28:29], -v[54:55], v[78:79], v[28:29]
	v_fmac_f64_e32 v[10:11], v[48:49], v[78:79]
	v_fma_f64 v[30:31], -v[58:59], v[78:79], v[30:31]
	v_fmac_f64_e32 v[12:13], v[56:57], v[78:79]
	;; [unrolled: 2-line block ×4, first 2 shown]
	s_and_not1_b32 exec_lo, exec_lo, s6
	s_cbranch_execnz .LBB172_27
; %bb.28:
	s_or_b32 exec_lo, exec_lo, s6
.LBB172_29:
	s_delay_alu instid0(SALU_CYCLE_1) | instskip(NEXT) | instid1(SALU_CYCLE_1)
	s_or_b32 exec_lo, exec_lo, s2
	s_mov_b32 s2, exec_lo
	v_cmpx_lt_u64_e32 47, v[34:35]
	s_cbranch_execz .LBB172_33
; %bb.30:
	v_lshl_add_u64 v[34:35], v[18:19], 2, s[8:9]
	s_mov_b32 s6, 0
	s_delay_alu instid0(VALU_DEP_1)
	v_add_nc_u64_e32 v[34:35], 0x80, v[34:35]
.LBB172_31:                             ; =>This Inner Loop Header: Depth=1
	s_clause 0x1
	global_load_b32 v1, v[34:35], off offset:-128
	global_load_b32 v27, v[34:35], off offset:-64
	s_clause 0x1
	global_load_b128 v[36:39], v[22:23], off
	global_load_b128 v[40:43], v[22:23], off offset:16
	s_clause 0x1
	global_load_b32 v136, v[34:35], off
	global_load_b32 v140, v[34:35], off offset:64
	v_add_nc_u64_e32 v[18:19], 64, v[18:19]
	s_wait_xcnt 0x0
	v_add_nc_u64_e32 v[34:35], 0x100, v[34:35]
	s_delay_alu instid0(VALU_DEP_2)
	v_cmp_ge_i64_e32 vcc_lo, v[18:19], v[20:21]
	s_or_b32 s6, vcc_lo, s6
	s_wait_loadcnt 0x5
	v_subrev_nc_u32_e32 v1, s12, v1
	s_wait_loadcnt 0x3
	v_cvt_f64_f32_e32 v[110:111], v37
	v_cvt_f64_f32_e32 v[112:113], v38
	;; [unrolled: 1-line block ×3, first 2 shown]
	v_lshlrev_b32_e32 v1, 2, v1
	v_cvt_f64_f32_e32 v[114:115], v39
	s_wait_loadcnt 0x2
	v_cvt_f64_f32_e32 v[116:117], v40
	v_cvt_f64_f32_e32 v[118:119], v41
	;; [unrolled: 1-line block ×3, first 2 shown]
	s_wait_kmcnt 0x0
	global_load_b128 v[44:47], v1, s[4:5] scale_offset
	s_clause 0x1
	global_load_b128 v[48:51], v[22:23], off offset:32
	global_load_b128 v[52:55], v[22:23], off offset:48
	global_load_b128 v[56:59], v1, s[4:5] offset:16 scale_offset
	s_clause 0x1
	global_load_b128 v[60:63], v[22:23], off offset:64
	global_load_b128 v[64:67], v[22:23], off offset:80
	global_load_b128 v[68:71], v1, s[4:5] offset:32 scale_offset
	;; [unrolled: 4-line block ×3, first 2 shown]
	s_clause 0x1
	global_load_b128 v[84:87], v[22:23], off offset:2048
	global_load_b128 v[88:91], v[22:23], off offset:2064
	s_wait_xcnt 0x2
	v_subrev_nc_u32_e32 v1, s12, v27
	v_cvt_f64_f32_e32 v[122:123], v43
	s_wait_loadcnt 0xb
	v_fmac_f64_e32 v[10:11], v[110:111], v[44:45]
	v_fmac_f64_e32 v[30:31], v[112:113], v[44:45]
	v_lshlrev_b32_e32 v1, 2, v1
	v_fmac_f64_e32 v[28:29], v[108:109], v[44:45]
	v_fmac_f64_e32 v[12:13], v[114:115], v[44:45]
	;; [unrolled: 1-line block ×6, first 2 shown]
	s_wait_loadcnt 0xa
	v_cvt_f64_f32_e32 v[124:125], v48
	v_cvt_f64_f32_e32 v[126:127], v49
	;; [unrolled: 1-line block ×4, first 2 shown]
	s_wait_loadcnt 0x9
	v_cvt_f64_f32_e32 v[132:133], v52
	v_cvt_f64_f32_e32 v[52:53], v53
	v_cvt_f64_f32_e32 v[134:135], v54
	v_cvt_f64_f32_e32 v[54:55], v55
	v_fmac_f64_e32 v[10:11], v[108:109], v[46:47]
	v_fma_f64 v[108:109], -v[114:115], v[46:47], v[30:31]
	global_load_b128 v[92:95], v1, s[4:5] scale_offset
	s_clause 0x1
	global_load_b128 v[96:99], v[22:23], off offset:2080
	global_load_b128 v[100:103], v[22:23], off offset:2096
	global_load_b128 v[36:39], v1, s[4:5] offset:16 scale_offset
	s_clause 0x1
	global_load_b128 v[40:43], v[22:23], off offset:2112
	global_load_b128 v[104:107], v[22:23], off offset:2128
	v_fma_f64 v[110:111], -v[110:111], v[46:47], v[28:29]
	v_fmac_f64_e32 v[12:13], v[112:113], v[46:47]
	v_fma_f64 v[32:33], -v[118:119], v[46:47], v[32:33]
	v_fmac_f64_e32 v[14:15], v[116:117], v[46:47]
	;; [unrolled: 2-line block ×3, first 2 shown]
	global_load_b128 v[28:31], v1, s[4:5] offset:32 scale_offset
	s_clause 0x1
	global_load_b128 v[44:47], v[22:23], off offset:2144
	global_load_b128 v[48:51], v[22:23], off offset:2160
	s_wait_loadcnt 0x10
	v_cvt_f64_f32_e32 v[112:113], v60
	v_cvt_f64_f32_e32 v[114:115], v61
	;; [unrolled: 1-line block ×4, first 2 shown]
	s_wait_loadcnt 0xf
	v_cvt_f64_f32_e32 v[120:121], v64
	v_cvt_f64_f32_e32 v[64:65], v65
	;; [unrolled: 1-line block ×4, first 2 shown]
	v_fmac_f64_e32 v[10:11], v[126:127], v[56:57]
	v_fmac_f64_e32 v[108:109], v[128:129], v[56:57]
	;; [unrolled: 1-line block ×9, first 2 shown]
	v_fma_f64 v[108:109], -v[130:131], v[58:59], v[108:109]
	s_wait_loadcnt 0xd
	v_cvt_f64_f32_e32 v[124:125], v72
	v_cvt_f64_f32_e32 v[130:131], v75
	v_fma_f64 v[110:111], -v[126:127], v[58:59], v[110:111]
	v_fmac_f64_e32 v[12:13], v[128:129], v[58:59]
	v_fma_f64 v[32:33], -v[52:53], v[58:59], v[32:33]
	v_fmac_f64_e32 v[14:15], v[132:133], v[58:59]
	;; [unrolled: 2-line block ×3, first 2 shown]
	global_load_b128 v[52:55], v1, s[4:5] offset:48 scale_offset
	s_clause 0x1
	global_load_b128 v[56:59], v[22:23], off offset:4096
	global_load_b128 v[60:63], v[22:23], off offset:4112
	v_cvt_f64_f32_e32 v[126:127], v73
	v_cvt_f64_f32_e32 v[128:129], v74
	s_wait_loadcnt 0xf
	v_cvt_f64_f32_e32 v[132:133], v76
	v_cvt_f64_f32_e32 v[76:77], v77
	;; [unrolled: 1-line block ×4, first 2 shown]
	s_wait_xcnt 0x2
	v_subrev_nc_u32_e32 v1, s12, v136
	s_delay_alu instid0(VALU_DEP_1)
	v_lshlrev_b32_e32 v1, 2, v1
	v_fmac_f64_e32 v[10:11], v[114:115], v[68:69]
	v_fmac_f64_e32 v[108:109], v[116:117], v[68:69]
	;; [unrolled: 1-line block ×9, first 2 shown]
	v_fma_f64 v[108:109], -v[118:119], v[70:71], v[108:109]
	s_wait_loadcnt 0xd
	v_cvt_f64_f32_e32 v[112:113], v84
	v_cvt_f64_f32_e32 v[118:119], v87
	v_fma_f64 v[110:111], -v[114:115], v[70:71], v[110:111]
	v_fmac_f64_e32 v[12:13], v[116:117], v[70:71]
	v_fma_f64 v[32:33], -v[64:65], v[70:71], v[32:33]
	v_fmac_f64_e32 v[14:15], v[120:121], v[70:71]
	;; [unrolled: 2-line block ×3, first 2 shown]
	global_load_b128 v[64:67], v1, s[4:5] scale_offset
	s_clause 0x1
	global_load_b128 v[68:71], v[22:23], off offset:4128
	global_load_b128 v[72:75], v[22:23], off offset:4144
	v_cvt_f64_f32_e32 v[114:115], v85
	v_cvt_f64_f32_e32 v[116:117], v86
	s_wait_loadcnt 0xf
	v_cvt_f64_f32_e32 v[120:121], v88
	v_cvt_f64_f32_e32 v[88:89], v89
	v_cvt_f64_f32_e32 v[122:123], v90
	v_cvt_f64_f32_e32 v[90:91], v91
	v_fmac_f64_e32 v[10:11], v[126:127], v[80:81]
	v_fmac_f64_e32 v[108:109], v[128:129], v[80:81]
	;; [unrolled: 1-line block ×9, first 2 shown]
	v_fma_f64 v[108:109], -v[130:131], v[82:83], v[108:109]
	v_fma_f64 v[110:111], -v[126:127], v[82:83], v[110:111]
	v_fmac_f64_e32 v[12:13], v[128:129], v[82:83]
	v_fma_f64 v[32:33], -v[76:77], v[82:83], v[32:33]
	v_fmac_f64_e32 v[14:15], v[132:133], v[82:83]
	;; [unrolled: 2-line block ×3, first 2 shown]
	global_load_b128 v[76:79], v1, s[4:5] offset:16 scale_offset
	s_clause 0x1
	global_load_b128 v[80:83], v[22:23], off offset:4160
	global_load_b128 v[84:87], v[22:23], off offset:4176
	s_wait_loadcnt 0x11
	v_fmac_f64_e32 v[110:111], v[112:113], v[92:93]
	v_fmac_f64_e32 v[10:11], v[114:115], v[92:93]
	;; [unrolled: 1-line block ×8, first 2 shown]
	s_wait_loadcnt 0x10
	v_cvt_f64_f32_e32 v[124:125], v96
	v_cvt_f64_f32_e32 v[126:127], v97
	;; [unrolled: 1-line block ×4, first 2 shown]
	s_wait_loadcnt 0xf
	v_cvt_f64_f32_e32 v[132:133], v100
	v_cvt_f64_f32_e32 v[100:101], v101
	;; [unrolled: 1-line block ×4, first 2 shown]
	s_wait_loadcnt 0x9
	v_cvt_f64_f32_e32 v[136:137], v50
	v_cvt_f64_f32_e32 v[138:139], v51
	v_fma_f64 v[110:111], -v[114:115], v[94:95], v[110:111]
	v_fmac_f64_e32 v[10:11], v[112:113], v[94:95]
	v_fma_f64 v[108:109], -v[118:119], v[94:95], v[108:109]
	v_fmac_f64_e32 v[12:13], v[116:117], v[94:95]
	;; [unrolled: 2-line block ×4, first 2 shown]
	global_load_b128 v[88:91], v1, s[4:5] offset:32 scale_offset
	s_clause 0x1
	global_load_b128 v[92:95], v[22:23], off offset:4192
	global_load_b128 v[96:99], v[22:23], off offset:4208
	v_cvt_f64_f32_e32 v[112:113], v40
	v_cvt_f64_f32_e32 v[114:115], v41
	;; [unrolled: 1-line block ×8, first 2 shown]
	v_fmac_f64_e32 v[110:111], v[124:125], v[36:37]
	v_fmac_f64_e32 v[10:11], v[126:127], v[36:37]
	;; [unrolled: 1-line block ×8, first 2 shown]
	v_fma_f64 v[110:111], -v[126:127], v[38:39], v[110:111]
	v_fmac_f64_e32 v[10:11], v[124:125], v[38:39]
	v_fma_f64 v[108:109], -v[130:131], v[38:39], v[108:109]
	v_fmac_f64_e32 v[12:13], v[128:129], v[38:39]
	;; [unrolled: 2-line block ×4, first 2 shown]
	global_load_b128 v[36:39], v1, s[4:5] offset:48 scale_offset
	s_clause 0x1
	global_load_b128 v[40:43], v[22:23], off offset:6160
	global_load_b128 v[100:103], v[22:23], off offset:6144
	v_cvt_f64_f32_e32 v[124:125], v44
	v_cvt_f64_f32_e32 v[126:127], v45
	;; [unrolled: 1-line block ×6, first 2 shown]
	s_wait_xcnt 0x2
	v_subrev_nc_u32_e32 v1, s12, v140
	s_delay_alu instid0(VALU_DEP_1)
	v_lshlrev_b32_e32 v1, 2, v1
	v_fmac_f64_e32 v[110:111], v[112:113], v[28:29]
	v_fmac_f64_e32 v[10:11], v[114:115], v[28:29]
	;; [unrolled: 1-line block ×8, first 2 shown]
	v_fma_f64 v[110:111], -v[114:115], v[30:31], v[110:111]
	v_fmac_f64_e32 v[10:11], v[112:113], v[30:31]
	v_fma_f64 v[108:109], -v[118:119], v[30:31], v[108:109]
	v_fmac_f64_e32 v[12:13], v[116:117], v[30:31]
	;; [unrolled: 2-line block ×4, first 2 shown]
	s_clause 0x1
	global_load_b128 v[28:31], v1, s[4:5] offset:16 scale_offset
	global_load_b128 v[44:47], v1, s[4:5] scale_offset
	s_clause 0x1
	global_load_b128 v[48:51], v[22:23], off offset:6192
	global_load_b128 v[104:107], v[22:23], off offset:6176
	s_wait_loadcnt 0x11
	v_cvt_f64_f32_e32 v[112:113], v56
	v_cvt_f64_f32_e32 v[114:115], v57
	;; [unrolled: 1-line block ×4, first 2 shown]
	s_wait_loadcnt 0x10
	v_cvt_f64_f32_e32 v[120:121], v60
	v_cvt_f64_f32_e32 v[60:61], v61
	;; [unrolled: 1-line block ×4, first 2 shown]
	v_fmac_f64_e32 v[110:111], v[124:125], v[52:53]
	v_fmac_f64_e32 v[10:11], v[126:127], v[52:53]
	;; [unrolled: 1-line block ×8, first 2 shown]
	v_fma_f64 v[110:111], -v[126:127], v[54:55], v[110:111]
	v_fmac_f64_e32 v[10:11], v[124:125], v[54:55]
	v_fma_f64 v[108:109], -v[130:131], v[54:55], v[108:109]
	v_fmac_f64_e32 v[12:13], v[128:129], v[54:55]
	;; [unrolled: 2-line block ×4, first 2 shown]
	s_clause 0x1
	global_load_b128 v[52:55], v[22:23], off offset:6224
	global_load_b128 v[56:59], v[22:23], off offset:6208
	s_wait_loadcnt 0x10
	v_cvt_f64_f32_e32 v[124:125], v68
	v_cvt_f64_f32_e32 v[126:127], v69
	;; [unrolled: 1-line block ×4, first 2 shown]
	s_wait_loadcnt 0xf
	v_cvt_f64_f32_e32 v[132:133], v72
	v_cvt_f64_f32_e32 v[134:135], v73
	;; [unrolled: 1-line block ×4, first 2 shown]
	v_fmac_f64_e32 v[110:111], v[112:113], v[64:65]
	v_fmac_f64_e32 v[10:11], v[114:115], v[64:65]
	;; [unrolled: 1-line block ×8, first 2 shown]
	v_fma_f64 v[110:111], -v[114:115], v[66:67], v[110:111]
	v_fmac_f64_e32 v[10:11], v[112:113], v[66:67]
	v_fma_f64 v[108:109], -v[118:119], v[66:67], v[108:109]
	v_fmac_f64_e32 v[12:13], v[116:117], v[66:67]
	;; [unrolled: 2-line block ×4, first 2 shown]
	s_clause 0x1
	global_load_b128 v[60:63], v1, s[4:5] offset:48 scale_offset
	global_load_b128 v[64:67], v1, s[4:5] offset:32 scale_offset
	s_clause 0x1
	global_load_b128 v[68:71], v[22:23], off offset:6240
	global_load_b128 v[72:75], v[22:23], off offset:6256
	s_wait_loadcnt 0x11
	v_cvt_f64_f32_e32 v[112:113], v82
	v_cvt_f64_f32_e32 v[82:83], v83
	s_wait_loadcnt 0x10
	v_cvt_f64_f32_e32 v[114:115], v84
	v_cvt_f64_f32_e32 v[84:85], v85
	;; [unrolled: 1-line block ×4, first 2 shown]
	s_wait_xcnt 0x0
	v_add_nc_u64_e32 v[22:23], 0x2000, v[22:23]
	v_fmac_f64_e32 v[110:111], v[124:125], v[76:77]
	v_fmac_f64_e32 v[10:11], v[126:127], v[76:77]
	;; [unrolled: 1-line block ×8, first 2 shown]
	v_cvt_f64_f32_e32 v[76:77], v80
	v_cvt_f64_f32_e32 v[80:81], v81
	v_fma_f64 v[110:111], -v[126:127], v[78:79], v[110:111]
	v_fmac_f64_e32 v[10:11], v[124:125], v[78:79]
	v_fma_f64 v[108:109], -v[130:131], v[78:79], v[108:109]
	v_fmac_f64_e32 v[12:13], v[128:129], v[78:79]
	;; [unrolled: 2-line block ×4, first 2 shown]
	s_wait_loadcnt 0xe
	v_cvt_f64_f32_e32 v[78:79], v92
	s_wait_loadcnt 0xd
	v_cvt_f64_f32_e32 v[118:119], v96
	v_cvt_f64_f32_e32 v[96:97], v97
	;; [unrolled: 1-line block ×4, first 2 shown]
	v_fmac_f64_e32 v[110:111], v[76:77], v[88:89]
	v_fmac_f64_e32 v[10:11], v[80:81], v[88:89]
	;; [unrolled: 1-line block ×8, first 2 shown]
	v_cvt_f64_f32_e32 v[88:89], v93
	v_cvt_f64_f32_e32 v[92:93], v94
	;; [unrolled: 1-line block ×3, first 2 shown]
	v_fma_f64 v[80:81], -v[80:81], v[90:91], v[110:111]
	v_fmac_f64_e32 v[10:11], v[76:77], v[90:91]
	v_fma_f64 v[76:77], -v[82:83], v[90:91], v[108:109]
	v_fmac_f64_e32 v[12:13], v[112:113], v[90:91]
	;; [unrolled: 2-line block ×4, first 2 shown]
	s_wait_loadcnt 0xb
	v_cvt_f64_f32_e32 v[90:91], v40
	s_wait_loadcnt 0xa
	v_cvt_f64_f32_e32 v[82:83], v101
	v_cvt_f64_f32_e32 v[84:85], v102
	;; [unrolled: 1-line block ×4, first 2 shown]
	v_fmac_f64_e32 v[80:81], v[78:79], v[36:37]
	v_fmac_f64_e32 v[10:11], v[88:89], v[36:37]
	;; [unrolled: 1-line block ×8, first 2 shown]
	v_cvt_f64_f32_e32 v[36:37], v100
	v_cvt_f64_f32_e32 v[100:101], v42
	;; [unrolled: 1-line block ×3, first 2 shown]
	v_fma_f64 v[80:81], -v[88:89], v[38:39], v[80:81]
	v_fmac_f64_e32 v[10:11], v[78:79], v[38:39]
	v_fma_f64 v[76:77], -v[94:95], v[38:39], v[76:77]
	v_fmac_f64_e32 v[12:13], v[92:93], v[38:39]
	;; [unrolled: 2-line block ×4, first 2 shown]
	s_wait_loadcnt 0x7
	v_cvt_f64_f32_e32 v[92:93], v48
	s_wait_loadcnt 0x6
	v_cvt_f64_f32_e32 v[38:39], v104
	v_cvt_f64_f32_e32 v[78:79], v106
	;; [unrolled: 1-line block ×6, first 2 shown]
	v_fmac_f64_e32 v[80:81], v[36:37], v[44:45]
	v_fmac_f64_e32 v[10:11], v[82:83], v[44:45]
	;; [unrolled: 1-line block ×8, first 2 shown]
	v_cvt_f64_f32_e32 v[44:45], v105
	v_fma_f64 v[80:81], -v[82:83], v[46:47], v[80:81]
	v_fmac_f64_e32 v[10:11], v[36:37], v[46:47]
	v_fma_f64 v[36:37], -v[86:87], v[46:47], v[76:77]
	v_fmac_f64_e32 v[12:13], v[84:85], v[46:47]
	;; [unrolled: 2-line block ×4, first 2 shown]
	s_wait_loadcnt 0x4
	v_cvt_f64_f32_e32 v[40:41], v57
	v_cvt_f64_f32_e32 v[42:43], v58
	;; [unrolled: 1-line block ×5, first 2 shown]
	v_fmac_f64_e32 v[80:81], v[38:39], v[28:29]
	v_fmac_f64_e32 v[10:11], v[44:45], v[28:29]
	;; [unrolled: 1-line block ×8, first 2 shown]
	v_cvt_f64_f32_e32 v[28:29], v56
	v_cvt_f64_f32_e32 v[56:57], v52
	;; [unrolled: 1-line block ×3, first 2 shown]
	v_fma_f64 v[44:45], -v[44:45], v[30:31], v[80:81]
	v_fmac_f64_e32 v[10:11], v[38:39], v[30:31]
	v_fma_f64 v[36:37], -v[88:89], v[30:31], v[36:37]
	v_fmac_f64_e32 v[12:13], v[78:79], v[30:31]
	;; [unrolled: 2-line block ×4, first 2 shown]
	s_wait_loadcnt 0x1
	v_cvt_f64_f32_e32 v[30:31], v68
	v_cvt_f64_f32_e32 v[38:39], v69
	;; [unrolled: 1-line block ×4, first 2 shown]
	s_wait_loadcnt 0x0
	v_cvt_f64_f32_e32 v[68:69], v73
	v_cvt_f64_f32_e32 v[70:71], v74
	v_fmac_f64_e32 v[44:45], v[28:29], v[64:65]
	v_fmac_f64_e32 v[10:11], v[40:41], v[64:65]
	;; [unrolled: 1-line block ×8, first 2 shown]
	v_cvt_f64_f32_e32 v[64:65], v72
	v_cvt_f64_f32_e32 v[72:73], v75
	v_fma_f64 v[40:41], -v[40:41], v[66:67], v[44:45]
	v_fmac_f64_e32 v[10:11], v[28:29], v[66:67]
	v_fma_f64 v[36:37], -v[46:47], v[66:67], v[36:37]
	v_fmac_f64_e32 v[12:13], v[42:43], v[66:67]
	;; [unrolled: 2-line block ×4, first 2 shown]
	v_fmac_f64_e32 v[40:41], v[30:31], v[60:61]
	v_fmac_f64_e32 v[10:11], v[38:39], v[60:61]
	v_fmac_f64_e32 v[36:37], v[48:49], v[60:61]
	v_fmac_f64_e32 v[12:13], v[50:51], v[60:61]
	v_fmac_f64_e32 v[32:33], v[64:65], v[60:61]
	v_fmac_f64_e32 v[14:15], v[68:69], v[60:61]
	v_fmac_f64_e32 v[24:25], v[70:71], v[60:61]
	v_fmac_f64_e32 v[16:17], v[72:73], v[60:61]
	v_fma_f64 v[28:29], -v[38:39], v[62:63], v[40:41]
	v_fmac_f64_e32 v[10:11], v[30:31], v[62:63]
	v_fma_f64 v[30:31], -v[50:51], v[62:63], v[36:37]
	v_fmac_f64_e32 v[12:13], v[48:49], v[62:63]
	;; [unrolled: 2-line block ×4, first 2 shown]
	s_and_not1_b32 exec_lo, exec_lo, s6
	s_cbranch_execnz .LBB172_31
; %bb.32:
	s_or_b32 exec_lo, exec_lo, s6
.LBB172_33:
	s_delay_alu instid0(SALU_CYCLE_1)
	s_or_b32 exec_lo, exec_lo, s2
.LBB172_34:
	s_delay_alu instid0(SALU_CYCLE_1)
	s_or_b32 exec_lo, exec_lo, s3
.LBB172_35:
	v_mbcnt_lo_u32_b32 v1, -1, 0
	s_delay_alu instid0(VALU_DEP_1) | instskip(NEXT) | instid1(VALU_DEP_1)
	v_xor_b32_e32 v18, 8, v1
	v_cmp_gt_i32_e32 vcc_lo, 32, v18
	v_cndmask_b32_e32 v18, v1, v18, vcc_lo
	s_delay_alu instid0(VALU_DEP_1)
	v_lshlrev_b32_e32 v27, 2, v18
	ds_bpermute_b32 v20, v27, v10
	ds_bpermute_b32 v21, v27, v11
	;; [unrolled: 1-line block ×6, first 2 shown]
	s_wait_dscnt 0x4
	v_add_f64_e32 v[10:11], v[10:11], v[20:21]
	s_wait_dscnt 0x2
	v_add_f64_e32 v[20:21], v[30:31], v[22:23]
	;; [unrolled: 2-line block ×3, first 2 shown]
	ds_bpermute_b32 v18, v27, v28
	ds_bpermute_b32 v19, v27, v29
	;; [unrolled: 1-line block ×10, first 2 shown]
	v_xor_b32_e32 v27, 4, v1
	s_delay_alu instid0(VALU_DEP_1)
	v_cmp_gt_i32_e32 vcc_lo, 32, v27
	s_wait_dscnt 0x8
	v_add_f64_e32 v[18:19], v[28:29], v[18:19]
	v_cndmask_b32_e32 v27, v1, v27, vcc_lo
	s_wait_dscnt 0x6
	v_add_f64_e32 v[24:25], v[24:25], v[40:41]
	s_wait_dscnt 0x4
	v_add_f64_e32 v[12:13], v[12:13], v[34:35]
	;; [unrolled: 2-line block ×3, first 2 shown]
	v_lshlrev_b32_e32 v27, 2, v27
	ds_bpermute_b32 v30, v27, v10
	ds_bpermute_b32 v31, v27, v11
	;; [unrolled: 1-line block ×12, first 2 shown]
	s_wait_dscnt 0x4
	v_add_f64_e32 v[18:19], v[18:19], v[28:29]
	v_dual_add_f64 v[28:29], v[10:11], v[30:31] :: v_dual_bitop2_b32 v10, 2, v1 bitop3:0x14
	ds_bpermute_b32 v34, v27, v12
	ds_bpermute_b32 v35, v27, v13
	v_cmp_gt_i32_e32 vcc_lo, 32, v10
	v_add_f64_e32 v[22:23], v[22:23], v[36:37]
	s_wait_dscnt 0x4
	v_add_f64_e32 v[36:37], v[24:25], v[40:41]
	v_cndmask_b32_e32 v10, v1, v10, vcc_lo
	s_delay_alu instid0(VALU_DEP_1)
	v_dual_add_f64 v[20:21], v[20:21], v[32:33] :: v_dual_lshlrev_b32 v24, 2, v10
	s_wait_dscnt 0x0
	v_add_f64_e32 v[32:33], v[12:13], v[34:35]
	v_add_f64_e32 v[34:35], v[14:15], v[38:39]
	ds_bpermute_b32 v10, v24, v18
	ds_bpermute_b32 v12, v24, v28
	;; [unrolled: 1-line block ×10, first 2 shown]
	s_wait_dscnt 0x7
	v_add_f64_e32 v[30:31], v[28:29], v[12:13]
	s_wait_dscnt 0x6
	v_add_f64_e32 v[10:11], v[18:19], v[10:11]
	;; [unrolled: 2-line block ×3, first 2 shown]
	v_add_f64_e32 v[14:15], v[22:23], v[40:41]
	v_xor_b32_e32 v22, 1, v1
	s_delay_alu instid0(VALU_DEP_1) | instskip(SKIP_3) | instid1(VALU_DEP_3)
	v_cmp_gt_i32_e32 vcc_lo, 32, v22
	v_cndmask_b32_e32 v1, v1, v22, vcc_lo
	v_add_f64_e32 v[16:17], v[16:17], v[42:43]
	v_cmp_eq_u32_e32 vcc_lo, 15, v0
	v_lshlrev_b32_e32 v1, 2, v1
	ds_bpermute_b32 v22, v1, v10
	ds_bpermute_b32 v23, v1, v11
	;; [unrolled: 1-line block ×6, first 2 shown]
	s_wait_dscnt 0x0
	v_add_f64_e32 v[38:39], v[16:17], v[42:43]
	ds_bpermute_b32 v16, v24, v32
	ds_bpermute_b32 v17, v24, v33
	;; [unrolled: 1-line block ×4, first 2 shown]
	s_wait_dscnt 0x0
	v_add_f64_e32 v[20:21], v[34:35], v[42:43]
	ds_bpermute_b32 v42, v1, v30
	ds_bpermute_b32 v43, v1, v31
	;; [unrolled: 1-line block ×4, first 2 shown]
	v_add_f64_e32 v[24:25], v[32:33], v[16:17]
	v_add_f64_e32 v[16:17], v[36:37], v[44:45]
	ds_bpermute_b32 v32, v1, v14
	ds_bpermute_b32 v33, v1, v15
	s_wait_dscnt 0x2
	v_add_f64_e32 v[18:19], v[38:39], v[46:47]
	ds_bpermute_b32 v38, v1, v20
	ds_bpermute_b32 v39, v1, v21
	ds_bpermute_b32 v40, v1, v24
	ds_bpermute_b32 v41, v1, v25
	ds_bpermute_b32 v34, v1, v16
	ds_bpermute_b32 v35, v1, v17
	ds_bpermute_b32 v36, v1, v18
	ds_bpermute_b32 v37, v1, v19
	s_and_b32 exec_lo, exec_lo, vcc_lo
	s_cbranch_execz .LBB172_8
; %bb.36:
	v_add_f64_e32 v[0:1], v[30:31], v[42:43]
	s_wait_dscnt 0x4
	v_add_f64_e32 v[30:31], v[24:25], v[40:41]
	v_add_f64_e32 v[38:39], v[20:21], v[38:39]
	s_wait_dscnt 0x0
	v_add_f64_e32 v[36:37], v[18:19], v[36:37]
	v_add_f64_e32 v[40:41], v[10:11], v[22:23]
	;; [unrolled: 1-line block ×5, first 2 shown]
	v_cmp_eq_f64_e32 vcc_lo, 0, v[2:3]
	v_cmp_eq_f64_e64 s2, 0, v[4:5]
	s_load_b64 s[0:1], s[0:1], 0x60
	v_mul_f64_e64 v[22:23], v[0:1], -v[8:9]
	v_mul_f64_e32 v[24:25], v[6:7], v[0:1]
	v_mul_f64_e64 v[14:15], v[38:39], -v[8:9]
	v_mul_f64_e32 v[16:17], v[6:7], v[38:39]
	v_mul_f64_e64 v[10:11], v[36:37], -v[8:9]
	v_dual_mul_f64 v[12:13], v[6:7], v[36:37] :: v_dual_lshlrev_b32 v0, 2, v26
	v_mul_f64_e64 v[18:19], v[30:31], -v[8:9]
	v_mul_f64_e32 v[20:21], v[6:7], v[30:31]
	s_and_b32 s2, vcc_lo, s2
	v_fmac_f64_e32 v[22:23], v[6:7], v[40:41]
	v_fmac_f64_e32 v[24:25], v[8:9], v[40:41]
	;; [unrolled: 1-line block ×8, first 2 shown]
	s_and_saveexec_b32 s3, s2
	s_delay_alu instid0(SALU_CYCLE_1)
	s_xor_b32 s2, exec_lo, s3
	s_cbranch_execz .LBB172_38
; %bb.37:
	s_wait_kmcnt 0x0
	s_clause 0x3
	global_store_b128 v0, v[22:25], s[0:1] scale_offset
	global_store_b128 v0, v[18:21], s[0:1] offset:16 scale_offset
	global_store_b128 v0, v[14:17], s[0:1] offset:32 scale_offset
	;; [unrolled: 1-line block ×3, first 2 shown]
                                        ; implicit-def: $vgpr4_vgpr5
                                        ; implicit-def: $vgpr22_vgpr23
                                        ; implicit-def: $vgpr0
                                        ; implicit-def: $vgpr18_vgpr19
                                        ; implicit-def: $vgpr14_vgpr15
                                        ; implicit-def: $vgpr10_vgpr11
.LBB172_38:
	s_wait_xcnt 0x0
	s_and_not1_saveexec_b32 s2, s2
	s_cbranch_execz .LBB172_8
; %bb.39:
	s_wait_kmcnt 0x0
	s_clause 0x3
	global_load_b128 v[6:9], v0, s[0:1] scale_offset
	global_load_b128 v[26:29], v0, s[0:1] offset:16 scale_offset
	global_load_b128 v[30:33], v0, s[0:1] offset:32 scale_offset
	;; [unrolled: 1-line block ×3, first 2 shown]
	s_wait_loadcnt 0x3
	v_fmac_f64_e32 v[22:23], v[2:3], v[6:7]
	v_fmac_f64_e32 v[24:25], v[4:5], v[6:7]
	s_wait_loadcnt 0x2
	v_fmac_f64_e32 v[18:19], v[2:3], v[26:27]
	v_fmac_f64_e32 v[20:21], v[4:5], v[26:27]
	;; [unrolled: 3-line block ×4, first 2 shown]
	v_fma_f64 v[22:23], -v[4:5], v[8:9], v[22:23]
	v_fmac_f64_e32 v[24:25], v[2:3], v[8:9]
	v_fma_f64 v[18:19], -v[4:5], v[28:29], v[18:19]
	v_fmac_f64_e32 v[20:21], v[2:3], v[28:29]
	;; [unrolled: 2-line block ×4, first 2 shown]
	s_clause 0x3
	global_store_b128 v0, v[22:25], s[0:1] scale_offset
	global_store_b128 v0, v[18:21], s[0:1] offset:16 scale_offset
	global_store_b128 v0, v[14:17], s[0:1] offset:32 scale_offset
	;; [unrolled: 1-line block ×3, first 2 shown]
	s_sendmsg sendmsg(MSG_DEALLOC_VGPRS)
	s_endpgm
	.section	.rodata,"a",@progbits
	.p2align	6, 0x0
	.amdhsa_kernel _ZN9rocsparseL18bsrxmvn_4x4_kernelILj128ELj16E21rocsparse_complex_numIdEliS1_IfES2_S2_EEvT3_20rocsparse_direction_NS_24const_host_device_scalarIT1_EES4_PKS4_PKT2_SD_SA_PKT4_PKT5_S8_PT6_21rocsparse_index_base_b
		.amdhsa_group_segment_fixed_size 0
		.amdhsa_private_segment_fixed_size 0
		.amdhsa_kernarg_size 112
		.amdhsa_user_sgpr_count 2
		.amdhsa_user_sgpr_dispatch_ptr 0
		.amdhsa_user_sgpr_queue_ptr 0
		.amdhsa_user_sgpr_kernarg_segment_ptr 1
		.amdhsa_user_sgpr_dispatch_id 0
		.amdhsa_user_sgpr_kernarg_preload_length 0
		.amdhsa_user_sgpr_kernarg_preload_offset 0
		.amdhsa_user_sgpr_private_segment_size 0
		.amdhsa_wavefront_size32 1
		.amdhsa_uses_dynamic_stack 0
		.amdhsa_enable_private_segment 0
		.amdhsa_system_sgpr_workgroup_id_x 1
		.amdhsa_system_sgpr_workgroup_id_y 0
		.amdhsa_system_sgpr_workgroup_id_z 0
		.amdhsa_system_sgpr_workgroup_info 0
		.amdhsa_system_vgpr_workitem_id 0
		.amdhsa_next_free_vgpr 148
		.amdhsa_next_free_sgpr 14
		.amdhsa_named_barrier_count 0
		.amdhsa_reserve_vcc 1
		.amdhsa_float_round_mode_32 0
		.amdhsa_float_round_mode_16_64 0
		.amdhsa_float_denorm_mode_32 3
		.amdhsa_float_denorm_mode_16_64 3
		.amdhsa_fp16_overflow 0
		.amdhsa_memory_ordered 1
		.amdhsa_forward_progress 1
		.amdhsa_inst_pref_size 73
		.amdhsa_round_robin_scheduling 0
		.amdhsa_exception_fp_ieee_invalid_op 0
		.amdhsa_exception_fp_denorm_src 0
		.amdhsa_exception_fp_ieee_div_zero 0
		.amdhsa_exception_fp_ieee_overflow 0
		.amdhsa_exception_fp_ieee_underflow 0
		.amdhsa_exception_fp_ieee_inexact 0
		.amdhsa_exception_int_div_zero 0
	.end_amdhsa_kernel
	.section	.text._ZN9rocsparseL18bsrxmvn_4x4_kernelILj128ELj16E21rocsparse_complex_numIdEliS1_IfES2_S2_EEvT3_20rocsparse_direction_NS_24const_host_device_scalarIT1_EES4_PKS4_PKT2_SD_SA_PKT4_PKT5_S8_PT6_21rocsparse_index_base_b,"axG",@progbits,_ZN9rocsparseL18bsrxmvn_4x4_kernelILj128ELj16E21rocsparse_complex_numIdEliS1_IfES2_S2_EEvT3_20rocsparse_direction_NS_24const_host_device_scalarIT1_EES4_PKS4_PKT2_SD_SA_PKT4_PKT5_S8_PT6_21rocsparse_index_base_b,comdat
.Lfunc_end172:
	.size	_ZN9rocsparseL18bsrxmvn_4x4_kernelILj128ELj16E21rocsparse_complex_numIdEliS1_IfES2_S2_EEvT3_20rocsparse_direction_NS_24const_host_device_scalarIT1_EES4_PKS4_PKT2_SD_SA_PKT4_PKT5_S8_PT6_21rocsparse_index_base_b, .Lfunc_end172-_ZN9rocsparseL18bsrxmvn_4x4_kernelILj128ELj16E21rocsparse_complex_numIdEliS1_IfES2_S2_EEvT3_20rocsparse_direction_NS_24const_host_device_scalarIT1_EES4_PKS4_PKT2_SD_SA_PKT4_PKT5_S8_PT6_21rocsparse_index_base_b
                                        ; -- End function
	.set _ZN9rocsparseL18bsrxmvn_4x4_kernelILj128ELj16E21rocsparse_complex_numIdEliS1_IfES2_S2_EEvT3_20rocsparse_direction_NS_24const_host_device_scalarIT1_EES4_PKS4_PKT2_SD_SA_PKT4_PKT5_S8_PT6_21rocsparse_index_base_b.num_vgpr, 148
	.set _ZN9rocsparseL18bsrxmvn_4x4_kernelILj128ELj16E21rocsparse_complex_numIdEliS1_IfES2_S2_EEvT3_20rocsparse_direction_NS_24const_host_device_scalarIT1_EES4_PKS4_PKT2_SD_SA_PKT4_PKT5_S8_PT6_21rocsparse_index_base_b.num_agpr, 0
	.set _ZN9rocsparseL18bsrxmvn_4x4_kernelILj128ELj16E21rocsparse_complex_numIdEliS1_IfES2_S2_EEvT3_20rocsparse_direction_NS_24const_host_device_scalarIT1_EES4_PKS4_PKT2_SD_SA_PKT4_PKT5_S8_PT6_21rocsparse_index_base_b.numbered_sgpr, 14
	.set _ZN9rocsparseL18bsrxmvn_4x4_kernelILj128ELj16E21rocsparse_complex_numIdEliS1_IfES2_S2_EEvT3_20rocsparse_direction_NS_24const_host_device_scalarIT1_EES4_PKS4_PKT2_SD_SA_PKT4_PKT5_S8_PT6_21rocsparse_index_base_b.num_named_barrier, 0
	.set _ZN9rocsparseL18bsrxmvn_4x4_kernelILj128ELj16E21rocsparse_complex_numIdEliS1_IfES2_S2_EEvT3_20rocsparse_direction_NS_24const_host_device_scalarIT1_EES4_PKS4_PKT2_SD_SA_PKT4_PKT5_S8_PT6_21rocsparse_index_base_b.private_seg_size, 0
	.set _ZN9rocsparseL18bsrxmvn_4x4_kernelILj128ELj16E21rocsparse_complex_numIdEliS1_IfES2_S2_EEvT3_20rocsparse_direction_NS_24const_host_device_scalarIT1_EES4_PKS4_PKT2_SD_SA_PKT4_PKT5_S8_PT6_21rocsparse_index_base_b.uses_vcc, 1
	.set _ZN9rocsparseL18bsrxmvn_4x4_kernelILj128ELj16E21rocsparse_complex_numIdEliS1_IfES2_S2_EEvT3_20rocsparse_direction_NS_24const_host_device_scalarIT1_EES4_PKS4_PKT2_SD_SA_PKT4_PKT5_S8_PT6_21rocsparse_index_base_b.uses_flat_scratch, 0
	.set _ZN9rocsparseL18bsrxmvn_4x4_kernelILj128ELj16E21rocsparse_complex_numIdEliS1_IfES2_S2_EEvT3_20rocsparse_direction_NS_24const_host_device_scalarIT1_EES4_PKS4_PKT2_SD_SA_PKT4_PKT5_S8_PT6_21rocsparse_index_base_b.has_dyn_sized_stack, 0
	.set _ZN9rocsparseL18bsrxmvn_4x4_kernelILj128ELj16E21rocsparse_complex_numIdEliS1_IfES2_S2_EEvT3_20rocsparse_direction_NS_24const_host_device_scalarIT1_EES4_PKS4_PKT2_SD_SA_PKT4_PKT5_S8_PT6_21rocsparse_index_base_b.has_recursion, 0
	.set _ZN9rocsparseL18bsrxmvn_4x4_kernelILj128ELj16E21rocsparse_complex_numIdEliS1_IfES2_S2_EEvT3_20rocsparse_direction_NS_24const_host_device_scalarIT1_EES4_PKS4_PKT2_SD_SA_PKT4_PKT5_S8_PT6_21rocsparse_index_base_b.has_indirect_call, 0
	.section	.AMDGPU.csdata,"",@progbits
; Kernel info:
; codeLenInByte = 9268
; TotalNumSgprs: 16
; NumVgprs: 148
; ScratchSize: 0
; MemoryBound: 0
; FloatMode: 240
; IeeeMode: 1
; LDSByteSize: 0 bytes/workgroup (compile time only)
; SGPRBlocks: 0
; VGPRBlocks: 9
; NumSGPRsForWavesPerEU: 16
; NumVGPRsForWavesPerEU: 148
; NamedBarCnt: 0
; Occupancy: 6
; WaveLimiterHint : 1
; COMPUTE_PGM_RSRC2:SCRATCH_EN: 0
; COMPUTE_PGM_RSRC2:USER_SGPR: 2
; COMPUTE_PGM_RSRC2:TRAP_HANDLER: 0
; COMPUTE_PGM_RSRC2:TGID_X_EN: 1
; COMPUTE_PGM_RSRC2:TGID_Y_EN: 0
; COMPUTE_PGM_RSRC2:TGID_Z_EN: 0
; COMPUTE_PGM_RSRC2:TIDIG_COMP_CNT: 0
	.section	.text._ZN9rocsparseL18bsrxmvn_4x4_kernelILj128ELj32E21rocsparse_complex_numIdEliS1_IfES2_S2_EEvT3_20rocsparse_direction_NS_24const_host_device_scalarIT1_EES4_PKS4_PKT2_SD_SA_PKT4_PKT5_S8_PT6_21rocsparse_index_base_b,"axG",@progbits,_ZN9rocsparseL18bsrxmvn_4x4_kernelILj128ELj32E21rocsparse_complex_numIdEliS1_IfES2_S2_EEvT3_20rocsparse_direction_NS_24const_host_device_scalarIT1_EES4_PKS4_PKT2_SD_SA_PKT4_PKT5_S8_PT6_21rocsparse_index_base_b,comdat
	.globl	_ZN9rocsparseL18bsrxmvn_4x4_kernelILj128ELj32E21rocsparse_complex_numIdEliS1_IfES2_S2_EEvT3_20rocsparse_direction_NS_24const_host_device_scalarIT1_EES4_PKS4_PKT2_SD_SA_PKT4_PKT5_S8_PT6_21rocsparse_index_base_b ; -- Begin function _ZN9rocsparseL18bsrxmvn_4x4_kernelILj128ELj32E21rocsparse_complex_numIdEliS1_IfES2_S2_EEvT3_20rocsparse_direction_NS_24const_host_device_scalarIT1_EES4_PKS4_PKT2_SD_SA_PKT4_PKT5_S8_PT6_21rocsparse_index_base_b
	.p2align	8
	.type	_ZN9rocsparseL18bsrxmvn_4x4_kernelILj128ELj32E21rocsparse_complex_numIdEliS1_IfES2_S2_EEvT3_20rocsparse_direction_NS_24const_host_device_scalarIT1_EES4_PKS4_PKT2_SD_SA_PKT4_PKT5_S8_PT6_21rocsparse_index_base_b,@function
_ZN9rocsparseL18bsrxmvn_4x4_kernelILj128ELj32E21rocsparse_complex_numIdEliS1_IfES2_S2_EEvT3_20rocsparse_direction_NS_24const_host_device_scalarIT1_EES4_PKS4_PKT2_SD_SA_PKT4_PKT5_S8_PT6_21rocsparse_index_base_b: ; @_ZN9rocsparseL18bsrxmvn_4x4_kernelILj128ELj32E21rocsparse_complex_numIdEliS1_IfES2_S2_EEvT3_20rocsparse_direction_NS_24const_host_device_scalarIT1_EES4_PKS4_PKT2_SD_SA_PKT4_PKT5_S8_PT6_21rocsparse_index_base_b
; %bb.0:
	s_clause 0x1
	s_load_b64 s[12:13], s[0:1], 0x68
	s_load_b64 s[2:3], s[0:1], 0x8
	v_mov_b32_e32 v1, 0
	s_add_nc_u64 s[4:5], s[0:1], 8
	s_load_b64 s[6:7], s[0:1], 0x50
	s_wait_kmcnt 0x0
	s_bitcmp1_b32 s13, 0
	s_cselect_b32 s3, s5, s3
	s_cselect_b32 s2, s4, s2
	flat_load_b128 v[6:9], v1, s[2:3]
	s_wait_xcnt 0x0
	s_add_nc_u64 s[2:3], s[0:1], 0x50
	s_delay_alu instid0(SALU_CYCLE_1)
	s_cselect_b32 s3, s3, s7
	s_cselect_b32 s2, s2, s6
	flat_load_b128 v[2:5], v1, s[2:3]
	s_wait_loadcnt_dscnt 0x101
	v_cmp_eq_f64_e32 vcc_lo, 0, v[6:7]
	s_wait_xcnt 0x0
	v_cmp_eq_f64_e64 s2, 0, v[8:9]
	s_and_b32 s4, vcc_lo, s2
	s_mov_b32 s2, -1
	s_and_saveexec_b32 s3, s4
	s_cbranch_execz .LBB173_2
; %bb.1:
	s_wait_loadcnt_dscnt 0x0
	v_cmp_neq_f64_e32 vcc_lo, 1.0, v[2:3]
	v_cmp_neq_f64_e64 s2, 0, v[4:5]
	s_or_b32 s2, vcc_lo, s2
	s_delay_alu instid0(SALU_CYCLE_1)
	s_or_not1_b32 s2, s2, exec_lo
.LBB173_2:
	s_or_b32 exec_lo, exec_lo, s3
	s_and_saveexec_b32 s3, s2
	s_cbranch_execz .LBB173_8
; %bb.3:
	s_clause 0x1
	s_load_b64 s[4:5], s[0:1], 0x20
	s_load_b64 s[2:3], s[0:1], 0x0
	s_bfe_u32 s6, ttmp6, 0x4000c
	s_and_b32 s7, ttmp6, 15
	s_add_co_i32 s6, s6, 1
	s_getreg_b32 s8, hwreg(HW_REG_IB_STS2, 6, 4)
	s_mul_i32 s6, ttmp9, s6
	v_lshrrev_b32_e32 v1, 5, v0
	s_add_co_i32 s7, s7, s6
	s_cmp_eq_u32 s8, 0
	s_cselect_b32 s6, ttmp9, s7
	s_delay_alu instid0(VALU_DEP_1) | instid1(SALU_CYCLE_1)
	v_lshl_or_b32 v26, s6, 2, v1
	s_mov_b32 s6, 0
	s_wait_kmcnt 0x0
	s_cmp_lg_u64 s[4:5], 0
	s_cbranch_scc0 .LBB173_9
; %bb.4:
	s_load_b32 s6, s[0:1], 0x18
	s_mov_b32 s7, 0
                                        ; implicit-def: $vgpr1
	s_wait_kmcnt 0x0
	v_cmp_gt_i32_e32 vcc_lo, s6, v26
	s_mov_b32 s6, 0
	s_and_saveexec_b32 s8, vcc_lo
	s_delay_alu instid0(SALU_CYCLE_1)
	s_xor_b32 s8, exec_lo, s8
	s_cbranch_execz .LBB173_6
; %bb.5:
	global_load_b32 v1, v26, s[4:5] scale_offset
	s_mov_b32 s6, exec_lo
	s_wait_loadcnt 0x0
	v_subrev_nc_u32_e32 v1, s12, v1
.LBB173_6:
	s_or_b32 exec_lo, exec_lo, s8
	s_delay_alu instid0(SALU_CYCLE_1)
	s_and_b32 vcc_lo, exec_lo, s7
	s_cbranch_vccz .LBB173_10
.LBB173_7:
	v_cmp_gt_i32_e32 vcc_lo, s2, v26
	s_and_not1_b32 s2, s6, exec_lo
	s_and_b32 s4, vcc_lo, exec_lo
	s_delay_alu instid0(SALU_CYCLE_1) | instskip(NEXT) | instid1(SALU_CYCLE_1)
	s_or_b32 s6, s2, s4
	s_and_b32 exec_lo, exec_lo, s6
	s_cbranch_execnz .LBB173_11
.LBB173_8:
	s_sendmsg sendmsg(MSG_DEALLOC_VGPRS)
	s_endpgm
.LBB173_9:
                                        ; implicit-def: $vgpr1
	s_cbranch_execnz .LBB173_7
.LBB173_10:
	s_delay_alu instid0(VALU_DEP_1)
	v_mov_b32_e32 v26, v1
	s_and_b32 exec_lo, exec_lo, s6
	s_cbranch_execz .LBB173_8
.LBB173_11:
	s_load_b256 s[4:11], s[0:1], 0x28
	s_mov_b32 s13, 0
	v_dual_mov_b32 v1, 0 :: v_dual_bitop2_b32 v0, 31, v0 bitop3:0x40
	s_wait_kmcnt 0x0
	s_cmp_eq_u64 s[6:7], 0
	global_load_b64 v[34:35], v26, s[4:5] scale_offset
	s_cselect_b32 vcc_lo, -1, 0
	v_ashrrev_i32_e32 v27, 31, v26
	s_cmp_eq_u32 s3, 1
	s_delay_alu instid0(VALU_DEP_1) | instskip(NEXT) | instid1(VALU_DEP_1)
	v_lshlrev_b64_e32 v[10:11], 3, v[26:27]
	v_add_nc_u64_e32 v[12:13], s[4:5], v[10:11]
	v_add_nc_u64_e32 v[10:11], s[6:7], v[10:11]
	s_wait_xcnt 0x0
	s_load_b64 s[4:5], s[0:1], 0x48
	s_delay_alu instid0(VALU_DEP_2) | instskip(NEXT) | instid1(VALU_DEP_1)
	v_add_nc_u64_e32 v[12:13], 8, v[12:13]
	v_dual_cndmask_b32 v11, v11, v13 :: v_dual_cndmask_b32 v10, v10, v12
	global_load_b64 v[10:11], v[10:11], off
	s_wait_loadcnt 0x1
	v_sub_nc_u64_e64 v[12:13], v[34:35], s[12:13]
	s_delay_alu instid0(VALU_DEP_1) | instskip(NEXT) | instid1(VALU_DEP_1)
	v_add_nc_u64_e32 v[18:19], v[12:13], v[0:1]
	v_lshlrev_b64_e32 v[12:13], 7, v[18:19]
	s_delay_alu instid0(VALU_DEP_1) | instskip(SKIP_2) | instid1(VALU_DEP_1)
	v_add_nc_u64_e32 v[22:23], s[10:11], v[12:13]
	s_wait_loadcnt 0x0
	v_sub_nc_u64_e64 v[20:21], v[10:11], s[12:13]
	v_cmp_lt_i64_e64 s2, v[18:19], v[20:21]
	s_cbranch_scc1 .LBB173_23
; %bb.12:
	v_mov_b64_e32 v[10:11], 0
	v_mov_b64_e32 v[28:29], 0
	;; [unrolled: 1-line block ×8, first 2 shown]
	s_and_saveexec_b32 s3, s2
	s_cbranch_execz .LBB173_22
; %bb.13:
	v_dual_mov_b32 v11, v1 :: v_dual_bitop2_b32 v10, 32, v0 bitop3:0x54
	v_sub_nc_u64_e32 v[12:13], s[12:13], v[0:1]
	v_not_b32_e32 v15, v35
	v_not_b32_e32 v14, v34
	v_mov_b64_e32 v[24:25], 0
	v_sub_nc_u64_e64 v[10:11], v[10:11], s[12:13]
	v_mov_b64_e32 v[16:17], 0
	v_mov_b64_e32 v[32:33], 0
	v_add_nc_u64_e32 v[12:13], v[12:13], v[14:15]
	v_mov_b64_e32 v[14:15], 0
	v_mov_b64_e32 v[30:31], 0
	v_mov_b64_e32 v[28:29], 0
	v_add_nc_u64_e32 v[10:11], v[10:11], v[34:35]
	v_mov_b64_e32 v[36:37], v[22:23]
	v_mov_b64_e32 v[38:39], v[18:19]
	v_mov_b32_e32 v45, 0
	s_mov_b32 s6, exec_lo
	s_delay_alu instid0(VALU_DEP_4) | instskip(NEXT) | instid1(VALU_DEP_1)
	v_max_i64 v[10:11], v[10:11], v[20:21]
	v_add_nc_u64_e32 v[40:41], v[12:13], v[10:11]
	v_mov_b64_e32 v[12:13], 0
	v_mov_b64_e32 v[10:11], 0
	s_delay_alu instid0(VALU_DEP_3) | instskip(NEXT) | instid1(VALU_DEP_1)
	v_and_b32_e32 v44, 0x60, v40
	v_cmpx_ne_u64_e32 0x60, v[44:45]
	s_cbranch_execz .LBB173_17
; %bb.14:
	v_lshrrev_b32_e32 v10, 5, v40
	v_mov_b64_e32 v[28:29], 0
	v_mov_b64_e32 v[12:13], 0
	;; [unrolled: 1-line block ×4, first 2 shown]
	v_add_nc_u32_e32 v14, 1, v10
	v_mov_b64_e32 v[10:11], 0
	v_mov_b64_e32 v[16:17], 0
	;; [unrolled: 1-line block ×4, first 2 shown]
	v_and_b32_e32 v44, 3, v14
	v_mov_b64_e32 v[14:15], 0
	v_mov_b64_e32 v[36:37], v[22:23]
	v_lshl_add_u64 v[42:43], v[18:19], 2, s[8:9]
	s_mov_b32 s7, 0
	v_sub_nc_u64_e32 v[44:45], 0, v[44:45]
.LBB173_15:                             ; =>This Inner Loop Header: Depth=1
	global_load_b32 v27, v[42:43], off
	s_clause 0x3
	global_load_b128 v[46:49], v[36:37], off
	global_load_b128 v[50:53], v[36:37], off offset:32
	global_load_b128 v[54:57], v[36:37], off offset:64
	;; [unrolled: 1-line block ×3, first 2 shown]
	v_add_nc_u64_e32 v[44:45], 1, v[44:45]
	v_add_nc_u64_e32 v[38:39], 32, v[38:39]
	s_wait_xcnt 0x4
	v_add_nc_u64_e32 v[42:43], 0x80, v[42:43]
	s_delay_alu instid0(VALU_DEP_3)
	v_cmp_eq_u64_e32 vcc_lo, 0, v[44:45]
	s_or_b32 s7, vcc_lo, s7
	s_wait_loadcnt 0x4
	v_subrev_nc_u32_e32 v27, s12, v27
	s_wait_loadcnt 0x3
	v_cvt_f64_f32_e32 v[94:95], v46
	v_cvt_f64_f32_e32 v[46:47], v47
	s_wait_loadcnt 0x2
	v_cvt_f64_f32_e32 v[96:97], v50
	v_cvt_f64_f32_e32 v[50:51], v51
	v_lshlrev_b32_e32 v27, 2, v27
	s_wait_loadcnt 0x1
	v_cvt_f64_f32_e32 v[98:99], v54
	v_cvt_f64_f32_e32 v[54:55], v55
	s_wait_loadcnt 0x0
	v_cvt_f64_f32_e32 v[100:101], v58
	v_cvt_f64_f32_e32 v[58:59], v59
	s_wait_kmcnt 0x0
	s_clause 0x1
	global_load_b128 v[62:65], v27, s[4:5] scale_offset
	global_load_b128 v[66:69], v27, s[4:5] offset:16 scale_offset
	s_clause 0x3
	global_load_b128 v[70:73], v[36:37], off offset:16
	global_load_b128 v[74:77], v[36:37], off offset:48
	;; [unrolled: 1-line block ×4, first 2 shown]
	s_clause 0x1
	global_load_b128 v[86:89], v27, s[4:5] offset:32 scale_offset
	global_load_b128 v[90:93], v27, s[4:5] offset:48 scale_offset
	v_cvt_f64_f32_e32 v[102:103], v52
	v_cvt_f64_f32_e32 v[52:53], v53
	;; [unrolled: 1-line block ×6, first 2 shown]
	s_wait_xcnt 0x2
	v_add_nc_u64_e32 v[36:37], 0x1000, v[36:37]
	s_wait_loadcnt 0x7
	v_fmac_f64_e32 v[28:29], v[94:95], v[62:63]
	v_fmac_f64_e32 v[10:11], v[46:47], v[62:63]
	;; [unrolled: 1-line block ×8, first 2 shown]
	v_cvt_f64_f32_e32 v[62:63], v48
	v_cvt_f64_f32_e32 v[48:49], v49
	v_fma_f64 v[28:29], -v[46:47], v[64:65], v[28:29]
	v_fmac_f64_e32 v[10:11], v[94:95], v[64:65]
	v_fma_f64 v[30:31], -v[50:51], v[64:65], v[30:31]
	v_fmac_f64_e32 v[12:13], v[96:97], v[64:65]
	v_fma_f64 v[32:33], -v[54:55], v[64:65], v[32:33]
	v_fmac_f64_e32 v[14:15], v[98:99], v[64:65]
	v_fma_f64 v[24:25], -v[58:59], v[64:65], v[24:25]
	v_fmac_f64_e32 v[16:17], v[100:101], v[64:65]
	s_wait_loadcnt 0x5
	v_cvt_f64_f32_e32 v[46:47], v70
	v_cvt_f64_f32_e32 v[50:51], v71
	s_wait_loadcnt 0x4
	v_cvt_f64_f32_e32 v[54:55], v74
	v_cvt_f64_f32_e32 v[58:59], v75
	s_wait_loadcnt 0x3
	v_cvt_f64_f32_e32 v[64:65], v78
	s_wait_loadcnt 0x2
	v_cvt_f64_f32_e32 v[70:71], v82
	v_cvt_f64_f32_e32 v[74:75], v83
	v_fmac_f64_e32 v[28:29], v[62:63], v[66:67]
	v_fmac_f64_e32 v[10:11], v[48:49], v[66:67]
	;; [unrolled: 1-line block ×8, first 2 shown]
	v_cvt_f64_f32_e32 v[66:67], v79
	v_fma_f64 v[28:29], -v[48:49], v[68:69], v[28:29]
	v_fmac_f64_e32 v[10:11], v[62:63], v[68:69]
	v_fma_f64 v[30:31], -v[52:53], v[68:69], v[30:31]
	v_fmac_f64_e32 v[12:13], v[102:103], v[68:69]
	;; [unrolled: 2-line block ×4, first 2 shown]
	v_cvt_f64_f32_e32 v[48:49], v72
	v_cvt_f64_f32_e32 v[52:53], v73
	;; [unrolled: 1-line block ×8, first 2 shown]
	s_wait_loadcnt 0x1
	v_fmac_f64_e32 v[28:29], v[46:47], v[86:87]
	v_fmac_f64_e32 v[10:11], v[50:51], v[86:87]
	;; [unrolled: 1-line block ×8, first 2 shown]
	v_fma_f64 v[28:29], -v[50:51], v[88:89], v[28:29]
	v_fmac_f64_e32 v[10:11], v[46:47], v[88:89]
	v_fma_f64 v[30:31], -v[58:59], v[88:89], v[30:31]
	v_fmac_f64_e32 v[12:13], v[54:55], v[88:89]
	;; [unrolled: 2-line block ×4, first 2 shown]
	s_wait_loadcnt 0x0
	v_fmac_f64_e32 v[28:29], v[48:49], v[90:91]
	v_fmac_f64_e32 v[10:11], v[52:53], v[90:91]
	;; [unrolled: 1-line block ×8, first 2 shown]
	v_fma_f64 v[28:29], -v[52:53], v[92:93], v[28:29]
	v_fmac_f64_e32 v[10:11], v[48:49], v[92:93]
	v_fma_f64 v[30:31], -v[60:61], v[92:93], v[30:31]
	v_fmac_f64_e32 v[12:13], v[56:57], v[92:93]
	;; [unrolled: 2-line block ×4, first 2 shown]
	s_and_not1_b32 exec_lo, exec_lo, s7
	s_cbranch_execnz .LBB173_15
; %bb.16:
	s_or_b32 exec_lo, exec_lo, s7
.LBB173_17:
	s_delay_alu instid0(SALU_CYCLE_1) | instskip(NEXT) | instid1(SALU_CYCLE_1)
	s_or_b32 exec_lo, exec_lo, s6
	s_mov_b32 s6, exec_lo
	v_cmpx_lt_u64_e32 0x5f, v[40:41]
	s_cbranch_execz .LBB173_21
; %bb.18:
	v_lshl_add_u64 v[40:41], v[38:39], 2, s[8:9]
	s_mov_b32 s7, 0
	s_delay_alu instid0(VALU_DEP_1)
	v_add_nc_u64_e32 v[40:41], 0x100, v[40:41]
.LBB173_19:                             ; =>This Inner Loop Header: Depth=1
	s_clause 0x1
	global_load_b32 v27, v[40:41], off offset:-256
	global_load_b32 v106, v[40:41], off offset:-128
	s_clause 0x3
	global_load_b128 v[42:45], v[36:37], off
	global_load_b128 v[46:49], v[36:37], off offset:32
	global_load_b128 v[50:53], v[36:37], off offset:64
	;; [unrolled: 1-line block ×3, first 2 shown]
	s_clause 0x1
	global_load_b32 v146, v[40:41], off
	global_load_b32 v147, v[40:41], off offset:128
	v_add_nc_u64_e32 v[38:39], 0x80, v[38:39]
	s_wait_xcnt 0x0
	v_add_nc_u64_e32 v[40:41], 0x200, v[40:41]
	s_delay_alu instid0(VALU_DEP_2)
	v_cmp_ge_i64_e32 vcc_lo, v[38:39], v[20:21]
	s_or_b32 s7, vcc_lo, s7
	s_wait_loadcnt 0x7
	v_subrev_nc_u32_e32 v27, s12, v27
	s_wait_loadcnt 0x5
	v_cvt_f64_f32_e32 v[130:131], v42
	v_cvt_f64_f32_e32 v[42:43], v43
	s_wait_loadcnt 0x4
	v_cvt_f64_f32_e32 v[132:133], v46
	v_lshlrev_b32_e32 v27, 2, v27
	v_cvt_f64_f32_e32 v[46:47], v47
	s_wait_loadcnt 0x3
	v_cvt_f64_f32_e32 v[134:135], v50
	v_cvt_f64_f32_e32 v[50:51], v51
	s_wait_loadcnt 0x2
	v_cvt_f64_f32_e32 v[136:137], v54
	s_wait_kmcnt 0x0
	s_clause 0x1
	global_load_b128 v[58:61], v27, s[4:5] scale_offset
	global_load_b128 v[62:65], v27, s[4:5] offset:16 scale_offset
	s_clause 0x3
	global_load_b128 v[66:69], v[36:37], off offset:16
	global_load_b128 v[70:73], v[36:37], off offset:48
	;; [unrolled: 1-line block ×4, first 2 shown]
	s_clause 0x1
	global_load_b128 v[82:85], v27, s[4:5] offset:32 scale_offset
	global_load_b128 v[86:89], v27, s[4:5] offset:48 scale_offset
	s_clause 0x3
	global_load_b128 v[90:93], v[36:37], off offset:4096
	global_load_b128 v[94:97], v[36:37], off offset:4128
	;; [unrolled: 1-line block ×4, first 2 shown]
	s_wait_xcnt 0x4
	v_subrev_nc_u32_e32 v27, s12, v106
	v_cvt_f64_f32_e32 v[54:55], v55
	v_cvt_f64_f32_e32 v[138:139], v48
	;; [unrolled: 1-line block ×7, first 2 shown]
	s_wait_loadcnt 0xb
	v_fmac_f64_e32 v[30:31], v[132:133], v[58:59]
	v_lshlrev_b32_e32 v27, 2, v27
	v_fmac_f64_e32 v[28:29], v[130:131], v[58:59]
	v_fmac_f64_e32 v[12:13], v[46:47], v[58:59]
	;; [unrolled: 1-line block ×7, first 2 shown]
	v_cvt_f64_f32_e32 v[58:59], v44
	v_cvt_f64_f32_e32 v[44:45], v45
	v_fma_f64 v[46:47], -v[46:47], v[60:61], v[30:31]
	s_clause 0x1
	global_load_b128 v[106:109], v27, s[4:5] scale_offset
	global_load_b128 v[110:113], v27, s[4:5] offset:16 scale_offset
	v_fma_f64 v[42:43], -v[42:43], v[60:61], v[28:29]
	v_fmac_f64_e32 v[10:11], v[130:131], v[60:61]
	s_clause 0x3
	global_load_b128 v[114:117], v[36:37], off offset:4112
	global_load_b128 v[118:121], v[36:37], off offset:4144
	;; [unrolled: 1-line block ×4, first 2 shown]
	v_fmac_f64_e32 v[12:13], v[132:133], v[60:61]
	v_fmac_f64_e32 v[14:15], v[134:135], v[60:61]
	v_fma_f64 v[24:25], -v[54:55], v[60:61], v[24:25]
	v_fmac_f64_e32 v[16:17], v[136:137], v[60:61]
	global_load_b128 v[28:31], v27, s[4:5] offset:32 scale_offset
	s_wait_loadcnt 0xf
	v_cvt_f64_f32_e32 v[130:131], v70
	v_cvt_f64_f32_e32 v[70:71], v71
	s_wait_loadcnt 0xe
	v_cvt_f64_f32_e32 v[132:133], v74
	v_cvt_f64_f32_e32 v[74:75], v75
	;; [unrolled: 3-line block ×3, first 2 shown]
	v_fmac_f64_e32 v[46:47], v[138:139], v[62:63]
	v_fmac_f64_e32 v[42:43], v[58:59], v[62:63]
	;; [unrolled: 1-line block ×7, first 2 shown]
	v_fma_f64 v[144:145], -v[48:49], v[64:65], v[46:47]
	v_fma_f64 v[136:137], -v[44:45], v[64:65], v[42:43]
	global_load_b128 v[42:45], v27, s[4:5] offset:48 scale_offset
	s_wait_xcnt 0x0
	v_subrev_nc_u32_e32 v27, s12, v146
	v_fma_f64 v[32:33], -v[50:51], v[60:61], v[32:33]
	v_fmac_f64_e32 v[10:11], v[58:59], v[64:65]
	v_fmac_f64_e32 v[12:13], v[138:139], v[64:65]
	;; [unrolled: 1-line block ×3, first 2 shown]
	v_dual_fma_f64 v[24:25], -v[56:57], v[64:65], v[24:25] :: v_dual_lshlrev_b32 v27, 2, v27
	v_fmac_f64_e32 v[16:17], v[142:143], v[64:65]
	v_cvt_f64_f32_e32 v[138:139], v72
	v_cvt_f64_f32_e32 v[72:73], v73
	;; [unrolled: 1-line block ×4, first 2 shown]
	s_wait_loadcnt 0xd
	v_fmac_f64_e32 v[144:145], v[130:131], v[82:83]
	v_fmac_f64_e32 v[32:33], v[140:141], v[62:63]
	v_cvt_f64_f32_e32 v[62:63], v66
	v_cvt_f64_f32_e32 v[66:67], v67
	v_fmac_f64_e32 v[12:13], v[70:71], v[82:83]
	v_fmac_f64_e32 v[14:15], v[74:75], v[82:83]
	;; [unrolled: 1-line block ×4, first 2 shown]
	v_cvt_f64_f32_e32 v[140:141], v76
	v_cvt_f64_f32_e32 v[76:77], v77
	v_fma_f64 v[70:71], -v[70:71], v[84:85], v[144:145]
	v_fma_f64 v[32:33], -v[52:53], v[64:65], v[32:33]
	v_fmac_f64_e32 v[136:137], v[62:63], v[82:83]
	v_fmac_f64_e32 v[10:11], v[66:67], v[82:83]
	s_clause 0x3
	global_load_b128 v[46:49], v[36:37], off offset:8192
	global_load_b128 v[50:53], v[36:37], off offset:8224
	;; [unrolled: 1-line block ×4, first 2 shown]
	v_fmac_f64_e32 v[12:13], v[130:131], v[84:85]
	v_fmac_f64_e32 v[14:15], v[132:133], v[84:85]
	v_fma_f64 v[24:25], -v[78:79], v[84:85], v[24:25]
	v_fmac_f64_e32 v[16:17], v[134:135], v[84:85]
	s_wait_loadcnt 0xe
	v_cvt_f64_f32_e32 v[130:131], v94
	v_cvt_f64_f32_e32 v[94:95], v95
	s_wait_loadcnt 0xc
	v_cvt_f64_f32_e32 v[134:135], v102
	v_cvt_f64_f32_e32 v[102:103], v103
	v_fmac_f64_e32 v[70:71], v[138:139], v[86:87]
	v_fmac_f64_e32 v[32:33], v[132:133], v[82:83]
	v_cvt_f64_f32_e32 v[82:83], v68
	v_cvt_f64_f32_e32 v[68:69], v69
	v_fma_f64 v[66:67], -v[66:67], v[84:85], v[136:137]
	v_fmac_f64_e32 v[10:11], v[62:63], v[84:85]
	global_load_b128 v[62:65], v27, s[4:5] scale_offset
	v_fmac_f64_e32 v[12:13], v[72:73], v[86:87]
	v_fmac_f64_e32 v[14:15], v[76:77], v[86:87]
	;; [unrolled: 1-line block ×4, first 2 shown]
	v_cvt_f64_f32_e32 v[132:133], v98
	v_cvt_f64_f32_e32 v[98:99], v99
	v_fma_f64 v[144:145], -v[72:73], v[88:89], v[70:71]
	v_fma_f64 v[32:33], -v[74:75], v[84:85], v[32:33]
	v_fmac_f64_e32 v[66:67], v[82:83], v[86:87]
	v_fmac_f64_e32 v[10:11], v[68:69], v[86:87]
	;; [unrolled: 1-line block ×4, first 2 shown]
	v_fma_f64 v[24:25], -v[80:81], v[88:89], v[24:25]
	v_fmac_f64_e32 v[16:17], v[142:143], v[88:89]
	v_cvt_f64_f32_e32 v[138:139], v96
	v_cvt_f64_f32_e32 v[96:97], v97
	;; [unrolled: 1-line block ×4, first 2 shown]
	v_fmac_f64_e32 v[32:33], v[140:141], v[86:87]
	v_cvt_f64_f32_e32 v[86:87], v90
	v_cvt_f64_f32_e32 v[90:91], v91
	v_fma_f64 v[136:137], -v[68:69], v[88:89], v[66:67]
	v_fmac_f64_e32 v[10:11], v[82:83], v[88:89]
	global_load_b128 v[66:69], v27, s[4:5] offset:16 scale_offset
	v_cvt_f64_f32_e32 v[140:141], v100
	v_cvt_f64_f32_e32 v[100:101], v101
	v_fma_f64 v[32:33], -v[76:77], v[88:89], v[32:33]
	s_clause 0x3
	global_load_b128 v[70:73], v[36:37], off offset:8240
	global_load_b128 v[74:77], v[36:37], off offset:8208
	;; [unrolled: 1-line block ×4, first 2 shown]
	s_wait_loadcnt 0x11
	v_fmac_f64_e32 v[136:137], v[86:87], v[106:107]
	v_fmac_f64_e32 v[10:11], v[90:91], v[106:107]
	v_fmac_f64_e32 v[144:145], v[130:131], v[106:107]
	v_fmac_f64_e32 v[12:13], v[94:95], v[106:107]
	v_fmac_f64_e32 v[32:33], v[132:133], v[106:107]
	v_fmac_f64_e32 v[14:15], v[98:99], v[106:107]
	v_fmac_f64_e32 v[24:25], v[134:135], v[106:107]
	v_fmac_f64_e32 v[16:17], v[102:103], v[106:107]
	v_cvt_f64_f32_e32 v[106:107], v92
	v_cvt_f64_f32_e32 v[92:93], v93
	v_fma_f64 v[90:91], -v[90:91], v[108:109], v[136:137]
	v_fmac_f64_e32 v[10:11], v[86:87], v[108:109]
	v_fma_f64 v[94:95], -v[94:95], v[108:109], v[144:145]
	v_fmac_f64_e32 v[12:13], v[130:131], v[108:109]
	;; [unrolled: 2-line block ×4, first 2 shown]
	global_load_b128 v[86:89], v27, s[4:5] offset:32 scale_offset
	s_wait_loadcnt 0xf
	v_cvt_f64_f32_e32 v[130:131], v118
	v_cvt_f64_f32_e32 v[118:119], v119
	s_wait_loadcnt 0xe
	v_cvt_f64_f32_e32 v[132:133], v122
	v_cvt_f64_f32_e32 v[122:123], v123
	;; [unrolled: 3-line block ×3, first 2 shown]
	v_fmac_f64_e32 v[90:91], v[106:107], v[110:111]
	v_fmac_f64_e32 v[10:11], v[92:93], v[110:111]
	;; [unrolled: 1-line block ×8, first 2 shown]
	v_cvt_f64_f32_e32 v[110:111], v114
	v_cvt_f64_f32_e32 v[114:115], v115
	v_fma_f64 v[136:137], -v[92:93], v[112:113], v[90:91]
	v_fmac_f64_e32 v[10:11], v[106:107], v[112:113]
	v_fma_f64 v[144:145], -v[96:97], v[112:113], v[94:95]
	v_fmac_f64_e32 v[12:13], v[138:139], v[112:113]
	;; [unrolled: 2-line block ×4, first 2 shown]
	global_load_b128 v[90:93], v27, s[4:5] offset:48 scale_offset
	s_clause 0x3
	global_load_b128 v[94:97], v[36:37], off offset:12320
	global_load_b128 v[98:101], v[36:37], off offset:12288
	;; [unrolled: 1-line block ×4, first 2 shown]
	v_cvt_f64_f32_e32 v[112:113], v116
	v_cvt_f64_f32_e32 v[116:117], v117
	v_cvt_f64_f32_e32 v[138:139], v120
	v_cvt_f64_f32_e32 v[120:121], v121
	v_cvt_f64_f32_e32 v[140:141], v124
	v_cvt_f64_f32_e32 v[124:125], v125
	v_cvt_f64_f32_e32 v[142:143], v128
	v_cvt_f64_f32_e32 v[128:129], v129
	s_wait_xcnt 0x4
	v_subrev_nc_u32_e32 v27, s12, v147
	s_delay_alu instid0(VALU_DEP_1)
	v_lshlrev_b32_e32 v27, 2, v27
	s_wait_loadcnt 0x11
	v_fmac_f64_e32 v[136:137], v[110:111], v[28:29]
	v_fmac_f64_e32 v[10:11], v[114:115], v[28:29]
	;; [unrolled: 1-line block ×8, first 2 shown]
	v_fma_f64 v[114:115], -v[114:115], v[30:31], v[136:137]
	v_fmac_f64_e32 v[10:11], v[110:111], v[30:31]
	v_fma_f64 v[110:111], -v[118:119], v[30:31], v[144:145]
	v_fmac_f64_e32 v[12:13], v[130:131], v[30:31]
	;; [unrolled: 2-line block ×4, first 2 shown]
	global_load_b128 v[28:31], v27, s[4:5] scale_offset
	s_wait_loadcnt 0x10
	v_cvt_f64_f32_e32 v[126:127], v46
	v_cvt_f64_f32_e32 v[46:47], v47
	s_wait_loadcnt 0xf
	v_cvt_f64_f32_e32 v[130:131], v50
	v_cvt_f64_f32_e32 v[50:51], v51
	;; [unrolled: 3-line block ×4, first 2 shown]
	v_fmac_f64_e32 v[114:115], v[112:113], v[42:43]
	v_fmac_f64_e32 v[10:11], v[116:117], v[42:43]
	;; [unrolled: 1-line block ×8, first 2 shown]
	v_fma_f64 v[136:137], -v[116:117], v[44:45], v[114:115]
	v_fmac_f64_e32 v[10:11], v[112:113], v[44:45]
	v_fma_f64 v[144:145], -v[120:121], v[44:45], v[110:111]
	v_fmac_f64_e32 v[12:13], v[138:139], v[44:45]
	;; [unrolled: 2-line block ×4, first 2 shown]
	global_load_b128 v[42:45], v27, s[4:5] offset:16 scale_offset
	s_clause 0x3
	global_load_b128 v[110:113], v[36:37], off offset:12336
	global_load_b128 v[114:117], v[36:37], off offset:12304
	;; [unrolled: 1-line block ×4, first 2 shown]
	v_cvt_f64_f32_e32 v[128:129], v49
	v_cvt_f64_f32_e32 v[138:139], v52
	;; [unrolled: 1-line block ×7, first 2 shown]
	s_wait_xcnt 0x0
	v_add_nc_u64_e32 v[36:37], 0x4000, v[36:37]
	s_wait_loadcnt 0x11
	v_fmac_f64_e32 v[136:137], v[126:127], v[62:63]
	v_fmac_f64_e32 v[10:11], v[46:47], v[62:63]
	;; [unrolled: 1-line block ×8, first 2 shown]
	v_cvt_f64_f32_e32 v[62:63], v48
	v_fma_f64 v[136:137], -v[46:47], v[64:65], v[136:137]
	v_fmac_f64_e32 v[10:11], v[126:127], v[64:65]
	v_fma_f64 v[50:51], -v[50:51], v[64:65], v[144:145]
	v_fmac_f64_e32 v[12:13], v[130:131], v[64:65]
	;; [unrolled: 2-line block ×4, first 2 shown]
	global_load_b128 v[46:49], v27, s[4:5] offset:32 scale_offset
	s_wait_loadcnt 0xf
	v_cvt_f64_f32_e32 v[54:55], v74
	v_cvt_f64_f32_e32 v[58:59], v75
	;; [unrolled: 1-line block ×3, first 2 shown]
	s_wait_loadcnt 0xe
	v_cvt_f64_f32_e32 v[74:75], v79
	v_fmac_f64_e32 v[136:137], v[62:63], v[66:67]
	v_fmac_f64_e32 v[10:11], v[128:129], v[66:67]
	;; [unrolled: 1-line block ×8, first 2 shown]
	v_cvt_f64_f32_e32 v[66:67], v71
	v_cvt_f64_f32_e32 v[70:71], v78
	s_wait_loadcnt 0xd
	v_cvt_f64_f32_e32 v[78:79], v82
	v_cvt_f64_f32_e32 v[82:83], v83
	v_fma_f64 v[126:127], -v[128:129], v[68:69], v[136:137]
	v_fmac_f64_e32 v[10:11], v[62:63], v[68:69]
	v_fma_f64 v[62:63], -v[52:53], v[68:69], v[50:51]
	v_fmac_f64_e32 v[12:13], v[138:139], v[68:69]
	;; [unrolled: 2-line block ×4, first 2 shown]
	global_load_b128 v[50:53], v27, s[4:5] offset:48 scale_offset
	v_cvt_f64_f32_e32 v[56:57], v76
	v_cvt_f64_f32_e32 v[60:61], v77
	;; [unrolled: 1-line block ×6, first 2 shown]
	s_wait_loadcnt 0xd
	v_fmac_f64_e32 v[126:127], v[54:55], v[86:87]
	v_fmac_f64_e32 v[10:11], v[58:59], v[86:87]
	;; [unrolled: 1-line block ×8, first 2 shown]
	v_cvt_f64_f32_e32 v[86:87], v84
	v_cvt_f64_f32_e32 v[84:85], v85
	v_fma_f64 v[58:59], -v[58:59], v[88:89], v[126:127]
	v_fmac_f64_e32 v[10:11], v[54:55], v[88:89]
	v_fma_f64 v[54:55], -v[66:67], v[88:89], v[62:63]
	v_fmac_f64_e32 v[12:13], v[64:65], v[88:89]
	;; [unrolled: 2-line block ×4, first 2 shown]
	s_wait_loadcnt 0xa
	v_cvt_f64_f32_e32 v[62:63], v98
	v_cvt_f64_f32_e32 v[64:65], v99
	;; [unrolled: 1-line block ×4, first 2 shown]
	s_wait_loadcnt 0x8
	v_cvt_f64_f32_e32 v[74:75], v106
	v_cvt_f64_f32_e32 v[78:79], v107
	;; [unrolled: 1-line block ×4, first 2 shown]
	v_fmac_f64_e32 v[58:59], v[56:57], v[90:91]
	v_fmac_f64_e32 v[10:11], v[60:61], v[90:91]
	;; [unrolled: 1-line block ×8, first 2 shown]
	v_fma_f64 v[58:59], -v[60:61], v[92:93], v[58:59]
	v_fmac_f64_e32 v[10:11], v[56:57], v[92:93]
	v_fma_f64 v[54:55], -v[72:73], v[92:93], v[54:55]
	v_fmac_f64_e32 v[12:13], v[68:69], v[92:93]
	;; [unrolled: 2-line block ×4, first 2 shown]
	v_cvt_f64_f32_e32 v[56:57], v101
	v_cvt_f64_f32_e32 v[60:61], v96
	v_cvt_f64_f32_e32 v[68:69], v97
	v_cvt_f64_f32_e32 v[72:73], v108
	v_cvt_f64_f32_e32 v[76:77], v109
	v_cvt_f64_f32_e32 v[80:81], v104
	v_cvt_f64_f32_e32 v[84:85], v105
	s_wait_loadcnt 0x7
	v_fmac_f64_e32 v[58:59], v[62:63], v[28:29]
	v_fmac_f64_e32 v[10:11], v[64:65], v[28:29]
	;; [unrolled: 1-line block ×8, first 2 shown]
	v_cvt_f64_f32_e32 v[28:29], v100
	v_fma_f64 v[58:59], -v[64:65], v[30:31], v[58:59]
	v_fmac_f64_e32 v[10:11], v[62:63], v[30:31]
	v_fma_f64 v[54:55], -v[70:71], v[30:31], v[54:55]
	v_fmac_f64_e32 v[12:13], v[66:67], v[30:31]
	v_fma_f64 v[32:33], -v[78:79], v[30:31], v[32:33]
	v_fmac_f64_e32 v[14:15], v[74:75], v[30:31]
	v_fma_f64 v[24:25], -v[88:89], v[30:31], v[24:25]
	v_fmac_f64_e32 v[16:17], v[82:83], v[30:31]
	s_wait_loadcnt 0x4
	v_cvt_f64_f32_e32 v[30:31], v114
	v_cvt_f64_f32_e32 v[62:63], v110
	;; [unrolled: 1-line block ×3, first 2 shown]
	s_wait_loadcnt 0x2
	v_cvt_f64_f32_e32 v[66:67], v122
	v_cvt_f64_f32_e32 v[70:71], v123
	;; [unrolled: 1-line block ×4, first 2 shown]
	v_fmac_f64_e32 v[58:59], v[28:29], v[42:43]
	v_fmac_f64_e32 v[10:11], v[56:57], v[42:43]
	;; [unrolled: 1-line block ×8, first 2 shown]
	v_cvt_f64_f32_e32 v[42:43], v115
	v_fma_f64 v[56:57], -v[56:57], v[44:45], v[58:59]
	v_fmac_f64_e32 v[10:11], v[28:29], v[44:45]
	v_fma_f64 v[28:29], -v[68:69], v[44:45], v[54:55]
	v_fmac_f64_e32 v[12:13], v[60:61], v[44:45]
	;; [unrolled: 2-line block ×4, first 2 shown]
	v_cvt_f64_f32_e32 v[44:45], v116
	v_cvt_f64_f32_e32 v[54:55], v112
	;; [unrolled: 1-line block ×7, first 2 shown]
	s_wait_loadcnt 0x1
	v_fmac_f64_e32 v[56:57], v[30:31], v[46:47]
	v_fmac_f64_e32 v[10:11], v[42:43], v[46:47]
	;; [unrolled: 1-line block ×8, first 2 shown]
	v_cvt_f64_f32_e32 v[46:47], v117
	v_fma_f64 v[42:43], -v[42:43], v[48:49], v[56:57]
	v_fmac_f64_e32 v[10:11], v[30:31], v[48:49]
	v_fma_f64 v[30:31], -v[64:65], v[48:49], v[28:29]
	v_fmac_f64_e32 v[12:13], v[62:63], v[48:49]
	v_fma_f64 v[32:33], -v[70:71], v[48:49], v[32:33]
	v_fmac_f64_e32 v[14:15], v[66:67], v[48:49]
	v_fma_f64 v[24:25], -v[78:79], v[48:49], v[24:25]
	v_fmac_f64_e32 v[16:17], v[74:75], v[48:49]
	s_wait_loadcnt 0x0
	v_fmac_f64_e32 v[42:43], v[44:45], v[50:51]
	v_fmac_f64_e32 v[10:11], v[46:47], v[50:51]
	;; [unrolled: 1-line block ×8, first 2 shown]
	v_fma_f64 v[28:29], -v[46:47], v[52:53], v[42:43]
	v_fmac_f64_e32 v[10:11], v[44:45], v[52:53]
	v_fma_f64 v[30:31], -v[58:59], v[52:53], v[30:31]
	v_fmac_f64_e32 v[12:13], v[54:55], v[52:53]
	;; [unrolled: 2-line block ×4, first 2 shown]
	s_and_not1_b32 exec_lo, exec_lo, s7
	s_cbranch_execnz .LBB173_19
; %bb.20:
	s_or_b32 exec_lo, exec_lo, s7
.LBB173_21:
	s_delay_alu instid0(SALU_CYCLE_1)
	s_or_b32 exec_lo, exec_lo, s6
.LBB173_22:
	s_delay_alu instid0(SALU_CYCLE_1)
	s_or_b32 exec_lo, exec_lo, s3
	s_cbranch_execz .LBB173_24
	s_branch .LBB173_35
.LBB173_23:
                                        ; implicit-def: $vgpr10_vgpr11
                                        ; implicit-def: $vgpr28_vgpr29
                                        ; implicit-def: $vgpr12_vgpr13
                                        ; implicit-def: $vgpr30_vgpr31
                                        ; implicit-def: $vgpr14_vgpr15
                                        ; implicit-def: $vgpr32_vgpr33
                                        ; implicit-def: $vgpr16_vgpr17
                                        ; implicit-def: $vgpr24_vgpr25
.LBB173_24:
	v_mov_b64_e32 v[10:11], 0
	v_mov_b64_e32 v[28:29], 0
	;; [unrolled: 1-line block ×8, first 2 shown]
	s_and_saveexec_b32 s3, s2
	s_cbranch_execz .LBB173_34
; %bb.25:
	v_dual_mov_b32 v11, v1 :: v_dual_bitop2_b32 v10, 32, v0 bitop3:0x54
	v_sub_nc_u64_e32 v[12:13], s[12:13], v[0:1]
	v_not_b32_e32 v15, v35
	v_not_b32_e32 v14, v34
	v_mov_b64_e32 v[24:25], 0
	v_sub_nc_u64_e64 v[10:11], v[10:11], s[12:13]
	v_mov_b64_e32 v[16:17], 0
	v_mov_b64_e32 v[32:33], 0
	v_add_nc_u64_e32 v[12:13], v[12:13], v[14:15]
	v_mov_b64_e32 v[14:15], 0
	v_mov_b64_e32 v[30:31], 0
	;; [unrolled: 1-line block ×3, first 2 shown]
	v_add_nc_u64_e32 v[10:11], v[10:11], v[34:35]
	v_mov_b32_e32 v37, 0
	s_mov_b32 s2, exec_lo
	s_delay_alu instid0(VALU_DEP_2) | instskip(NEXT) | instid1(VALU_DEP_1)
	v_max_i64 v[10:11], v[10:11], v[20:21]
	v_add_nc_u64_e32 v[34:35], v[12:13], v[10:11]
	v_mov_b64_e32 v[12:13], 0
	v_mov_b64_e32 v[10:11], 0
	s_delay_alu instid0(VALU_DEP_3) | instskip(NEXT) | instid1(VALU_DEP_1)
	v_and_b32_e32 v36, 0x60, v34
	v_cmpx_ne_u64_e32 0x60, v[36:37]
	s_cbranch_execz .LBB173_29
; %bb.26:
	v_lshrrev_b32_e32 v1, 5, v34
	v_mov_b64_e32 v[10:11], 0
	v_mov_b64_e32 v[28:29], 0
	;; [unrolled: 1-line block ×4, first 2 shown]
	v_add_nc_u32_e32 v1, 1, v1
	v_mov_b64_e32 v[14:15], 0
	v_mov_b64_e32 v[32:33], 0
	;; [unrolled: 1-line block ×4, first 2 shown]
	v_and_b32_e32 v36, 3, v1
	v_lshl_add_u64 v[38:39], v[18:19], 2, s[8:9]
	s_mov_b32 s6, 0
	s_delay_alu instid0(VALU_DEP_2)
	v_sub_nc_u64_e32 v[36:37], 0, v[36:37]
.LBB173_27:                             ; =>This Inner Loop Header: Depth=1
	global_load_b32 v1, v[38:39], off
	s_clause 0x1
	global_load_b128 v[40:43], v[22:23], off
	global_load_b128 v[44:47], v[22:23], off offset:16
	v_add_nc_u64_e32 v[36:37], 1, v[36:37]
	v_add_nc_u64_e32 v[18:19], 32, v[18:19]
	s_wait_xcnt 0x2
	v_add_nc_u64_e32 v[38:39], 0x80, v[38:39]
	s_delay_alu instid0(VALU_DEP_3)
	v_cmp_eq_u64_e32 vcc_lo, 0, v[36:37]
	s_or_b32 s6, vcc_lo, s6
	s_wait_loadcnt 0x2
	v_subrev_nc_u32_e32 v1, s12, v1
	s_wait_loadcnt 0x1
	v_cvt_f64_f32_e32 v[88:89], v40
	v_cvt_f64_f32_e32 v[40:41], v41
	;; [unrolled: 1-line block ×4, first 2 shown]
	v_lshlrev_b32_e32 v1, 2, v1
	s_wait_loadcnt 0x0
	v_cvt_f64_f32_e32 v[92:93], v44
	v_cvt_f64_f32_e32 v[44:45], v45
	;; [unrolled: 1-line block ×4, first 2 shown]
	s_wait_kmcnt 0x0
	s_clause 0x1
	global_load_b128 v[48:51], v1, s[4:5] scale_offset
	global_load_b128 v[52:55], v1, s[4:5] offset:16 scale_offset
	s_clause 0x3
	global_load_b128 v[56:59], v[22:23], off offset:32
	global_load_b128 v[60:63], v[22:23], off offset:48
	;; [unrolled: 1-line block ×4, first 2 shown]
	s_clause 0x1
	global_load_b128 v[72:75], v1, s[4:5] offset:32 scale_offset
	global_load_b128 v[76:79], v1, s[4:5] offset:48 scale_offset
	s_clause 0x1
	global_load_b128 v[80:83], v[22:23], off offset:96
	global_load_b128 v[84:87], v[22:23], off offset:112
	s_wait_xcnt 0x0
	v_add_nc_u64_e32 v[22:23], 0x1000, v[22:23]
	s_wait_loadcnt 0x9
	v_fmac_f64_e32 v[28:29], v[88:89], v[48:49]
	v_fmac_f64_e32 v[10:11], v[40:41], v[48:49]
	;; [unrolled: 1-line block ×8, first 2 shown]
	s_wait_loadcnt 0x7
	v_cvt_f64_f32_e32 v[48:49], v56
	v_cvt_f64_f32_e32 v[56:57], v57
	;; [unrolled: 1-line block ×4, first 2 shown]
	s_wait_loadcnt 0x6
	v_cvt_f64_f32_e32 v[98:99], v60
	v_cvt_f64_f32_e32 v[60:61], v61
	;; [unrolled: 1-line block ×4, first 2 shown]
	v_fma_f64 v[28:29], -v[40:41], v[50:51], v[28:29]
	v_fmac_f64_e32 v[10:11], v[88:89], v[50:51]
	v_fma_f64 v[30:31], -v[42:43], v[50:51], v[30:31]
	v_fmac_f64_e32 v[12:13], v[90:91], v[50:51]
	;; [unrolled: 2-line block ×4, first 2 shown]
	s_wait_loadcnt 0x5
	v_cvt_f64_f32_e32 v[40:41], v64
	v_cvt_f64_f32_e32 v[42:43], v65
	;; [unrolled: 1-line block ×4, first 2 shown]
	s_wait_loadcnt 0x4
	v_cvt_f64_f32_e32 v[50:51], v68
	v_cvt_f64_f32_e32 v[64:65], v70
	;; [unrolled: 1-line block ×3, first 2 shown]
	s_wait_loadcnt 0x0
	v_cvt_f64_f32_e32 v[70:71], v87
	v_fmac_f64_e32 v[28:29], v[48:49], v[52:53]
	v_fmac_f64_e32 v[10:11], v[56:57], v[52:53]
	;; [unrolled: 1-line block ×8, first 2 shown]
	v_cvt_f64_f32_e32 v[52:53], v69
	v_cvt_f64_f32_e32 v[68:69], v86
	v_fma_f64 v[28:29], -v[56:57], v[54:55], v[28:29]
	v_fmac_f64_e32 v[10:11], v[48:49], v[54:55]
	v_fma_f64 v[30:31], -v[58:59], v[54:55], v[30:31]
	v_fmac_f64_e32 v[12:13], v[96:97], v[54:55]
	v_fma_f64 v[32:33], -v[60:61], v[54:55], v[32:33]
	v_fmac_f64_e32 v[14:15], v[98:99], v[54:55]
	v_fma_f64 v[24:25], -v[62:63], v[54:55], v[24:25]
	v_fmac_f64_e32 v[16:17], v[100:101], v[54:55]
	v_cvt_f64_f32_e32 v[48:49], v80
	v_cvt_f64_f32_e32 v[54:55], v81
	;; [unrolled: 1-line block ×6, first 2 shown]
	v_fmac_f64_e32 v[28:29], v[40:41], v[72:73]
	v_fmac_f64_e32 v[10:11], v[42:43], v[72:73]
	;; [unrolled: 1-line block ×8, first 2 shown]
	v_fma_f64 v[28:29], -v[42:43], v[74:75], v[28:29]
	v_fmac_f64_e32 v[10:11], v[40:41], v[74:75]
	v_fma_f64 v[30:31], -v[46:47], v[74:75], v[30:31]
	v_fmac_f64_e32 v[12:13], v[44:45], v[74:75]
	;; [unrolled: 2-line block ×4, first 2 shown]
	v_fmac_f64_e32 v[28:29], v[48:49], v[76:77]
	v_fmac_f64_e32 v[10:11], v[54:55], v[76:77]
	;; [unrolled: 1-line block ×8, first 2 shown]
	v_fma_f64 v[28:29], -v[54:55], v[78:79], v[28:29]
	v_fmac_f64_e32 v[10:11], v[48:49], v[78:79]
	v_fma_f64 v[30:31], -v[58:59], v[78:79], v[30:31]
	v_fmac_f64_e32 v[12:13], v[56:57], v[78:79]
	v_fma_f64 v[32:33], -v[62:63], v[78:79], v[32:33]
	v_fmac_f64_e32 v[14:15], v[60:61], v[78:79]
	v_fma_f64 v[24:25], -v[70:71], v[78:79], v[24:25]
	v_fmac_f64_e32 v[16:17], v[68:69], v[78:79]
	s_and_not1_b32 exec_lo, exec_lo, s6
	s_cbranch_execnz .LBB173_27
; %bb.28:
	s_or_b32 exec_lo, exec_lo, s6
.LBB173_29:
	s_delay_alu instid0(SALU_CYCLE_1) | instskip(NEXT) | instid1(SALU_CYCLE_1)
	s_or_b32 exec_lo, exec_lo, s2
	s_mov_b32 s2, exec_lo
	v_cmpx_lt_u64_e32 0x5f, v[34:35]
	s_cbranch_execz .LBB173_33
; %bb.30:
	v_lshl_add_u64 v[34:35], v[18:19], 2, s[8:9]
	s_mov_b32 s6, 0
	s_delay_alu instid0(VALU_DEP_1)
	v_add_nc_u64_e32 v[34:35], 0x100, v[34:35]
.LBB173_31:                             ; =>This Inner Loop Header: Depth=1
	s_clause 0x1
	global_load_b32 v1, v[34:35], off offset:-256
	global_load_b32 v27, v[34:35], off offset:-128
	s_clause 0x1
	global_load_b128 v[36:39], v[22:23], off
	global_load_b128 v[40:43], v[22:23], off offset:16
	s_clause 0x1
	global_load_b32 v136, v[34:35], off
	global_load_b32 v140, v[34:35], off offset:128
	v_add_nc_u64_e32 v[18:19], 0x80, v[18:19]
	s_wait_xcnt 0x0
	v_add_nc_u64_e32 v[34:35], 0x200, v[34:35]
	s_delay_alu instid0(VALU_DEP_2)
	v_cmp_ge_i64_e32 vcc_lo, v[18:19], v[20:21]
	s_or_b32 s6, vcc_lo, s6
	s_wait_loadcnt 0x5
	v_subrev_nc_u32_e32 v1, s12, v1
	s_wait_loadcnt 0x3
	v_cvt_f64_f32_e32 v[110:111], v37
	v_cvt_f64_f32_e32 v[112:113], v38
	;; [unrolled: 1-line block ×3, first 2 shown]
	v_lshlrev_b32_e32 v1, 2, v1
	v_cvt_f64_f32_e32 v[114:115], v39
	s_wait_loadcnt 0x2
	v_cvt_f64_f32_e32 v[116:117], v40
	v_cvt_f64_f32_e32 v[118:119], v41
	;; [unrolled: 1-line block ×3, first 2 shown]
	s_wait_kmcnt 0x0
	global_load_b128 v[44:47], v1, s[4:5] scale_offset
	s_clause 0x1
	global_load_b128 v[48:51], v[22:23], off offset:32
	global_load_b128 v[52:55], v[22:23], off offset:48
	global_load_b128 v[56:59], v1, s[4:5] offset:16 scale_offset
	s_clause 0x1
	global_load_b128 v[60:63], v[22:23], off offset:64
	global_load_b128 v[64:67], v[22:23], off offset:80
	global_load_b128 v[68:71], v1, s[4:5] offset:32 scale_offset
	;; [unrolled: 4-line block ×3, first 2 shown]
	s_clause 0x1
	global_load_b128 v[84:87], v[22:23], off offset:4096
	global_load_b128 v[88:91], v[22:23], off offset:4112
	s_wait_xcnt 0x2
	v_subrev_nc_u32_e32 v1, s12, v27
	v_cvt_f64_f32_e32 v[122:123], v43
	s_wait_loadcnt 0xb
	v_fmac_f64_e32 v[10:11], v[110:111], v[44:45]
	v_fmac_f64_e32 v[30:31], v[112:113], v[44:45]
	v_lshlrev_b32_e32 v1, 2, v1
	v_fmac_f64_e32 v[28:29], v[108:109], v[44:45]
	v_fmac_f64_e32 v[12:13], v[114:115], v[44:45]
	;; [unrolled: 1-line block ×6, first 2 shown]
	s_wait_loadcnt 0xa
	v_cvt_f64_f32_e32 v[124:125], v48
	v_cvt_f64_f32_e32 v[126:127], v49
	;; [unrolled: 1-line block ×4, first 2 shown]
	s_wait_loadcnt 0x9
	v_cvt_f64_f32_e32 v[132:133], v52
	v_cvt_f64_f32_e32 v[52:53], v53
	;; [unrolled: 1-line block ×4, first 2 shown]
	v_fmac_f64_e32 v[10:11], v[108:109], v[46:47]
	v_fma_f64 v[108:109], -v[114:115], v[46:47], v[30:31]
	global_load_b128 v[92:95], v1, s[4:5] scale_offset
	s_clause 0x1
	global_load_b128 v[96:99], v[22:23], off offset:4128
	global_load_b128 v[100:103], v[22:23], off offset:4144
	global_load_b128 v[36:39], v1, s[4:5] offset:16 scale_offset
	s_clause 0x1
	global_load_b128 v[40:43], v[22:23], off offset:4160
	global_load_b128 v[104:107], v[22:23], off offset:4176
	v_fma_f64 v[110:111], -v[110:111], v[46:47], v[28:29]
	v_fmac_f64_e32 v[12:13], v[112:113], v[46:47]
	v_fma_f64 v[32:33], -v[118:119], v[46:47], v[32:33]
	v_fmac_f64_e32 v[14:15], v[116:117], v[46:47]
	;; [unrolled: 2-line block ×3, first 2 shown]
	global_load_b128 v[28:31], v1, s[4:5] offset:32 scale_offset
	s_clause 0x1
	global_load_b128 v[44:47], v[22:23], off offset:4192
	global_load_b128 v[48:51], v[22:23], off offset:4208
	s_wait_loadcnt 0x10
	v_cvt_f64_f32_e32 v[112:113], v60
	v_cvt_f64_f32_e32 v[114:115], v61
	v_cvt_f64_f32_e32 v[116:117], v62
	v_cvt_f64_f32_e32 v[118:119], v63
	s_wait_loadcnt 0xf
	v_cvt_f64_f32_e32 v[120:121], v64
	v_cvt_f64_f32_e32 v[64:65], v65
	v_cvt_f64_f32_e32 v[122:123], v66
	v_cvt_f64_f32_e32 v[66:67], v67
	v_fmac_f64_e32 v[10:11], v[126:127], v[56:57]
	v_fmac_f64_e32 v[108:109], v[128:129], v[56:57]
	;; [unrolled: 1-line block ×9, first 2 shown]
	v_fma_f64 v[108:109], -v[130:131], v[58:59], v[108:109]
	s_wait_loadcnt 0xd
	v_cvt_f64_f32_e32 v[124:125], v72
	v_cvt_f64_f32_e32 v[130:131], v75
	v_fma_f64 v[110:111], -v[126:127], v[58:59], v[110:111]
	v_fmac_f64_e32 v[12:13], v[128:129], v[58:59]
	v_fma_f64 v[32:33], -v[52:53], v[58:59], v[32:33]
	v_fmac_f64_e32 v[14:15], v[132:133], v[58:59]
	;; [unrolled: 2-line block ×3, first 2 shown]
	global_load_b128 v[52:55], v1, s[4:5] offset:48 scale_offset
	s_clause 0x1
	global_load_b128 v[56:59], v[22:23], off offset:8192
	global_load_b128 v[60:63], v[22:23], off offset:8208
	v_cvt_f64_f32_e32 v[126:127], v73
	v_cvt_f64_f32_e32 v[128:129], v74
	s_wait_loadcnt 0xf
	v_cvt_f64_f32_e32 v[132:133], v76
	v_cvt_f64_f32_e32 v[76:77], v77
	;; [unrolled: 1-line block ×4, first 2 shown]
	s_wait_xcnt 0x2
	v_subrev_nc_u32_e32 v1, s12, v136
	s_delay_alu instid0(VALU_DEP_1)
	v_lshlrev_b32_e32 v1, 2, v1
	v_fmac_f64_e32 v[10:11], v[114:115], v[68:69]
	v_fmac_f64_e32 v[108:109], v[116:117], v[68:69]
	;; [unrolled: 1-line block ×9, first 2 shown]
	v_fma_f64 v[108:109], -v[118:119], v[70:71], v[108:109]
	s_wait_loadcnt 0xd
	v_cvt_f64_f32_e32 v[112:113], v84
	v_cvt_f64_f32_e32 v[118:119], v87
	v_fma_f64 v[110:111], -v[114:115], v[70:71], v[110:111]
	v_fmac_f64_e32 v[12:13], v[116:117], v[70:71]
	v_fma_f64 v[32:33], -v[64:65], v[70:71], v[32:33]
	v_fmac_f64_e32 v[14:15], v[120:121], v[70:71]
	;; [unrolled: 2-line block ×3, first 2 shown]
	global_load_b128 v[64:67], v1, s[4:5] scale_offset
	s_clause 0x1
	global_load_b128 v[68:71], v[22:23], off offset:8224
	global_load_b128 v[72:75], v[22:23], off offset:8240
	v_cvt_f64_f32_e32 v[114:115], v85
	v_cvt_f64_f32_e32 v[116:117], v86
	s_wait_loadcnt 0xf
	v_cvt_f64_f32_e32 v[120:121], v88
	v_cvt_f64_f32_e32 v[88:89], v89
	;; [unrolled: 1-line block ×4, first 2 shown]
	v_fmac_f64_e32 v[10:11], v[126:127], v[80:81]
	v_fmac_f64_e32 v[108:109], v[128:129], v[80:81]
	;; [unrolled: 1-line block ×9, first 2 shown]
	v_fma_f64 v[108:109], -v[130:131], v[82:83], v[108:109]
	v_fma_f64 v[110:111], -v[126:127], v[82:83], v[110:111]
	v_fmac_f64_e32 v[12:13], v[128:129], v[82:83]
	v_fma_f64 v[32:33], -v[76:77], v[82:83], v[32:33]
	v_fmac_f64_e32 v[14:15], v[132:133], v[82:83]
	;; [unrolled: 2-line block ×3, first 2 shown]
	global_load_b128 v[76:79], v1, s[4:5] offset:16 scale_offset
	s_clause 0x1
	global_load_b128 v[80:83], v[22:23], off offset:8256
	global_load_b128 v[84:87], v[22:23], off offset:8272
	s_wait_loadcnt 0x11
	v_fmac_f64_e32 v[110:111], v[112:113], v[92:93]
	v_fmac_f64_e32 v[10:11], v[114:115], v[92:93]
	;; [unrolled: 1-line block ×8, first 2 shown]
	s_wait_loadcnt 0x10
	v_cvt_f64_f32_e32 v[124:125], v96
	v_cvt_f64_f32_e32 v[126:127], v97
	;; [unrolled: 1-line block ×4, first 2 shown]
	s_wait_loadcnt 0xf
	v_cvt_f64_f32_e32 v[132:133], v100
	v_cvt_f64_f32_e32 v[100:101], v101
	;; [unrolled: 1-line block ×4, first 2 shown]
	s_wait_loadcnt 0x9
	v_cvt_f64_f32_e32 v[136:137], v50
	v_cvt_f64_f32_e32 v[138:139], v51
	v_fma_f64 v[110:111], -v[114:115], v[94:95], v[110:111]
	v_fmac_f64_e32 v[10:11], v[112:113], v[94:95]
	v_fma_f64 v[108:109], -v[118:119], v[94:95], v[108:109]
	v_fmac_f64_e32 v[12:13], v[116:117], v[94:95]
	;; [unrolled: 2-line block ×4, first 2 shown]
	global_load_b128 v[88:91], v1, s[4:5] offset:32 scale_offset
	s_clause 0x1
	global_load_b128 v[92:95], v[22:23], off offset:8288
	global_load_b128 v[96:99], v[22:23], off offset:8304
	v_cvt_f64_f32_e32 v[112:113], v40
	v_cvt_f64_f32_e32 v[114:115], v41
	;; [unrolled: 1-line block ×8, first 2 shown]
	v_fmac_f64_e32 v[110:111], v[124:125], v[36:37]
	v_fmac_f64_e32 v[10:11], v[126:127], v[36:37]
	;; [unrolled: 1-line block ×8, first 2 shown]
	v_fma_f64 v[110:111], -v[126:127], v[38:39], v[110:111]
	v_fmac_f64_e32 v[10:11], v[124:125], v[38:39]
	v_fma_f64 v[108:109], -v[130:131], v[38:39], v[108:109]
	v_fmac_f64_e32 v[12:13], v[128:129], v[38:39]
	;; [unrolled: 2-line block ×4, first 2 shown]
	global_load_b128 v[36:39], v1, s[4:5] offset:48 scale_offset
	s_clause 0x1
	global_load_b128 v[40:43], v[22:23], off offset:12304
	global_load_b128 v[100:103], v[22:23], off offset:12288
	v_cvt_f64_f32_e32 v[124:125], v44
	v_cvt_f64_f32_e32 v[126:127], v45
	;; [unrolled: 1-line block ×6, first 2 shown]
	s_wait_xcnt 0x2
	v_subrev_nc_u32_e32 v1, s12, v140
	s_delay_alu instid0(VALU_DEP_1)
	v_lshlrev_b32_e32 v1, 2, v1
	v_fmac_f64_e32 v[110:111], v[112:113], v[28:29]
	v_fmac_f64_e32 v[10:11], v[114:115], v[28:29]
	;; [unrolled: 1-line block ×8, first 2 shown]
	v_fma_f64 v[110:111], -v[114:115], v[30:31], v[110:111]
	v_fmac_f64_e32 v[10:11], v[112:113], v[30:31]
	v_fma_f64 v[108:109], -v[118:119], v[30:31], v[108:109]
	v_fmac_f64_e32 v[12:13], v[116:117], v[30:31]
	;; [unrolled: 2-line block ×4, first 2 shown]
	s_clause 0x1
	global_load_b128 v[28:31], v1, s[4:5] offset:16 scale_offset
	global_load_b128 v[44:47], v1, s[4:5] scale_offset
	s_clause 0x1
	global_load_b128 v[48:51], v[22:23], off offset:12336
	global_load_b128 v[104:107], v[22:23], off offset:12320
	s_wait_loadcnt 0x11
	v_cvt_f64_f32_e32 v[112:113], v56
	v_cvt_f64_f32_e32 v[114:115], v57
	;; [unrolled: 1-line block ×4, first 2 shown]
	s_wait_loadcnt 0x10
	v_cvt_f64_f32_e32 v[120:121], v60
	v_cvt_f64_f32_e32 v[60:61], v61
	;; [unrolled: 1-line block ×4, first 2 shown]
	v_fmac_f64_e32 v[110:111], v[124:125], v[52:53]
	v_fmac_f64_e32 v[10:11], v[126:127], v[52:53]
	;; [unrolled: 1-line block ×8, first 2 shown]
	v_fma_f64 v[110:111], -v[126:127], v[54:55], v[110:111]
	v_fmac_f64_e32 v[10:11], v[124:125], v[54:55]
	v_fma_f64 v[108:109], -v[130:131], v[54:55], v[108:109]
	v_fmac_f64_e32 v[12:13], v[128:129], v[54:55]
	;; [unrolled: 2-line block ×4, first 2 shown]
	s_clause 0x1
	global_load_b128 v[52:55], v[22:23], off offset:12368
	global_load_b128 v[56:59], v[22:23], off offset:12352
	s_wait_loadcnt 0x10
	v_cvt_f64_f32_e32 v[124:125], v68
	v_cvt_f64_f32_e32 v[126:127], v69
	;; [unrolled: 1-line block ×4, first 2 shown]
	s_wait_loadcnt 0xf
	v_cvt_f64_f32_e32 v[132:133], v72
	v_cvt_f64_f32_e32 v[134:135], v73
	;; [unrolled: 1-line block ×4, first 2 shown]
	v_fmac_f64_e32 v[110:111], v[112:113], v[64:65]
	v_fmac_f64_e32 v[10:11], v[114:115], v[64:65]
	;; [unrolled: 1-line block ×8, first 2 shown]
	v_fma_f64 v[110:111], -v[114:115], v[66:67], v[110:111]
	v_fmac_f64_e32 v[10:11], v[112:113], v[66:67]
	v_fma_f64 v[108:109], -v[118:119], v[66:67], v[108:109]
	v_fmac_f64_e32 v[12:13], v[116:117], v[66:67]
	;; [unrolled: 2-line block ×4, first 2 shown]
	s_clause 0x1
	global_load_b128 v[60:63], v1, s[4:5] offset:48 scale_offset
	global_load_b128 v[64:67], v1, s[4:5] offset:32 scale_offset
	s_clause 0x1
	global_load_b128 v[68:71], v[22:23], off offset:12384
	global_load_b128 v[72:75], v[22:23], off offset:12400
	s_wait_loadcnt 0x11
	v_cvt_f64_f32_e32 v[112:113], v82
	v_cvt_f64_f32_e32 v[82:83], v83
	s_wait_loadcnt 0x10
	v_cvt_f64_f32_e32 v[114:115], v84
	v_cvt_f64_f32_e32 v[84:85], v85
	;; [unrolled: 1-line block ×4, first 2 shown]
	s_wait_xcnt 0x0
	v_add_nc_u64_e32 v[22:23], 0x4000, v[22:23]
	v_fmac_f64_e32 v[110:111], v[124:125], v[76:77]
	v_fmac_f64_e32 v[10:11], v[126:127], v[76:77]
	;; [unrolled: 1-line block ×8, first 2 shown]
	v_cvt_f64_f32_e32 v[76:77], v80
	v_cvt_f64_f32_e32 v[80:81], v81
	v_fma_f64 v[110:111], -v[126:127], v[78:79], v[110:111]
	v_fmac_f64_e32 v[10:11], v[124:125], v[78:79]
	v_fma_f64 v[108:109], -v[130:131], v[78:79], v[108:109]
	v_fmac_f64_e32 v[12:13], v[128:129], v[78:79]
	;; [unrolled: 2-line block ×4, first 2 shown]
	s_wait_loadcnt 0xe
	v_cvt_f64_f32_e32 v[78:79], v92
	s_wait_loadcnt 0xd
	v_cvt_f64_f32_e32 v[118:119], v96
	v_cvt_f64_f32_e32 v[96:97], v97
	;; [unrolled: 1-line block ×4, first 2 shown]
	v_fmac_f64_e32 v[110:111], v[76:77], v[88:89]
	v_fmac_f64_e32 v[10:11], v[80:81], v[88:89]
	;; [unrolled: 1-line block ×8, first 2 shown]
	v_cvt_f64_f32_e32 v[88:89], v93
	v_cvt_f64_f32_e32 v[92:93], v94
	v_cvt_f64_f32_e32 v[94:95], v95
	v_fma_f64 v[80:81], -v[80:81], v[90:91], v[110:111]
	v_fmac_f64_e32 v[10:11], v[76:77], v[90:91]
	v_fma_f64 v[76:77], -v[82:83], v[90:91], v[108:109]
	v_fmac_f64_e32 v[12:13], v[112:113], v[90:91]
	v_fma_f64 v[32:33], -v[84:85], v[90:91], v[32:33]
	v_fmac_f64_e32 v[14:15], v[114:115], v[90:91]
	v_fma_f64 v[24:25], -v[86:87], v[90:91], v[24:25]
	v_fmac_f64_e32 v[16:17], v[116:117], v[90:91]
	s_wait_loadcnt 0xb
	v_cvt_f64_f32_e32 v[90:91], v40
	s_wait_loadcnt 0xa
	v_cvt_f64_f32_e32 v[82:83], v101
	v_cvt_f64_f32_e32 v[84:85], v102
	;; [unrolled: 1-line block ×4, first 2 shown]
	v_fmac_f64_e32 v[80:81], v[78:79], v[36:37]
	v_fmac_f64_e32 v[10:11], v[88:89], v[36:37]
	;; [unrolled: 1-line block ×8, first 2 shown]
	v_cvt_f64_f32_e32 v[36:37], v100
	v_cvt_f64_f32_e32 v[100:101], v42
	;; [unrolled: 1-line block ×3, first 2 shown]
	v_fma_f64 v[80:81], -v[88:89], v[38:39], v[80:81]
	v_fmac_f64_e32 v[10:11], v[78:79], v[38:39]
	v_fma_f64 v[76:77], -v[94:95], v[38:39], v[76:77]
	v_fmac_f64_e32 v[12:13], v[92:93], v[38:39]
	v_fma_f64 v[32:33], -v[96:97], v[38:39], v[32:33]
	v_fmac_f64_e32 v[14:15], v[118:119], v[38:39]
	v_fma_f64 v[24:25], -v[98:99], v[38:39], v[24:25]
	v_fmac_f64_e32 v[16:17], v[120:121], v[38:39]
	s_wait_loadcnt 0x7
	v_cvt_f64_f32_e32 v[92:93], v48
	s_wait_loadcnt 0x6
	v_cvt_f64_f32_e32 v[38:39], v104
	v_cvt_f64_f32_e32 v[78:79], v106
	;; [unrolled: 1-line block ×6, first 2 shown]
	v_fmac_f64_e32 v[80:81], v[36:37], v[44:45]
	v_fmac_f64_e32 v[10:11], v[82:83], v[44:45]
	;; [unrolled: 1-line block ×8, first 2 shown]
	v_cvt_f64_f32_e32 v[44:45], v105
	v_fma_f64 v[80:81], -v[82:83], v[46:47], v[80:81]
	v_fmac_f64_e32 v[10:11], v[36:37], v[46:47]
	v_fma_f64 v[36:37], -v[86:87], v[46:47], v[76:77]
	v_fmac_f64_e32 v[12:13], v[84:85], v[46:47]
	;; [unrolled: 2-line block ×4, first 2 shown]
	s_wait_loadcnt 0x4
	v_cvt_f64_f32_e32 v[40:41], v57
	v_cvt_f64_f32_e32 v[42:43], v58
	;; [unrolled: 1-line block ×5, first 2 shown]
	v_fmac_f64_e32 v[80:81], v[38:39], v[28:29]
	v_fmac_f64_e32 v[10:11], v[44:45], v[28:29]
	v_fmac_f64_e32 v[36:37], v[78:79], v[28:29]
	v_fmac_f64_e32 v[12:13], v[88:89], v[28:29]
	v_fmac_f64_e32 v[32:33], v[92:93], v[28:29]
	v_fmac_f64_e32 v[14:15], v[48:49], v[28:29]
	v_fmac_f64_e32 v[24:25], v[94:95], v[28:29]
	v_fmac_f64_e32 v[16:17], v[50:51], v[28:29]
	v_cvt_f64_f32_e32 v[28:29], v56
	v_cvt_f64_f32_e32 v[56:57], v52
	;; [unrolled: 1-line block ×3, first 2 shown]
	v_fma_f64 v[44:45], -v[44:45], v[30:31], v[80:81]
	v_fmac_f64_e32 v[10:11], v[38:39], v[30:31]
	v_fma_f64 v[36:37], -v[88:89], v[30:31], v[36:37]
	v_fmac_f64_e32 v[12:13], v[78:79], v[30:31]
	;; [unrolled: 2-line block ×4, first 2 shown]
	s_wait_loadcnt 0x1
	v_cvt_f64_f32_e32 v[30:31], v68
	v_cvt_f64_f32_e32 v[38:39], v69
	;; [unrolled: 1-line block ×4, first 2 shown]
	s_wait_loadcnt 0x0
	v_cvt_f64_f32_e32 v[68:69], v73
	v_cvt_f64_f32_e32 v[70:71], v74
	v_fmac_f64_e32 v[44:45], v[28:29], v[64:65]
	v_fmac_f64_e32 v[10:11], v[40:41], v[64:65]
	;; [unrolled: 1-line block ×8, first 2 shown]
	v_cvt_f64_f32_e32 v[64:65], v72
	v_cvt_f64_f32_e32 v[72:73], v75
	v_fma_f64 v[40:41], -v[40:41], v[66:67], v[44:45]
	v_fmac_f64_e32 v[10:11], v[28:29], v[66:67]
	v_fma_f64 v[36:37], -v[46:47], v[66:67], v[36:37]
	v_fmac_f64_e32 v[12:13], v[42:43], v[66:67]
	;; [unrolled: 2-line block ×4, first 2 shown]
	v_fmac_f64_e32 v[40:41], v[30:31], v[60:61]
	v_fmac_f64_e32 v[10:11], v[38:39], v[60:61]
	;; [unrolled: 1-line block ×8, first 2 shown]
	v_fma_f64 v[28:29], -v[38:39], v[62:63], v[40:41]
	v_fmac_f64_e32 v[10:11], v[30:31], v[62:63]
	v_fma_f64 v[30:31], -v[50:51], v[62:63], v[36:37]
	v_fmac_f64_e32 v[12:13], v[48:49], v[62:63]
	;; [unrolled: 2-line block ×4, first 2 shown]
	s_and_not1_b32 exec_lo, exec_lo, s6
	s_cbranch_execnz .LBB173_31
; %bb.32:
	s_or_b32 exec_lo, exec_lo, s6
.LBB173_33:
	s_delay_alu instid0(SALU_CYCLE_1)
	s_or_b32 exec_lo, exec_lo, s2
.LBB173_34:
	s_delay_alu instid0(SALU_CYCLE_1)
	s_or_b32 exec_lo, exec_lo, s3
.LBB173_35:
	v_mbcnt_lo_u32_b32 v1, -1, 0
	s_delay_alu instid0(VALU_DEP_1) | instskip(NEXT) | instid1(VALU_DEP_1)
	v_xor_b32_e32 v18, 16, v1
	v_cmp_gt_i32_e32 vcc_lo, 32, v18
	v_cndmask_b32_e32 v18, v1, v18, vcc_lo
	s_delay_alu instid0(VALU_DEP_1)
	v_lshlrev_b32_e32 v27, 2, v18
	ds_bpermute_b32 v20, v27, v10
	ds_bpermute_b32 v21, v27, v11
	;; [unrolled: 1-line block ×6, first 2 shown]
	s_wait_dscnt 0x4
	v_add_f64_e32 v[10:11], v[10:11], v[20:21]
	s_wait_dscnt 0x2
	v_add_f64_e32 v[20:21], v[30:31], v[22:23]
	s_wait_dscnt 0x0
	v_add_f64_e32 v[22:23], v[32:33], v[36:37]
	ds_bpermute_b32 v18, v27, v28
	ds_bpermute_b32 v19, v27, v29
	;; [unrolled: 1-line block ×10, first 2 shown]
	v_xor_b32_e32 v27, 8, v1
	s_delay_alu instid0(VALU_DEP_1)
	v_cmp_gt_i32_e32 vcc_lo, 32, v27
	s_wait_dscnt 0x8
	v_add_f64_e32 v[18:19], v[28:29], v[18:19]
	v_cndmask_b32_e32 v27, v1, v27, vcc_lo
	s_wait_dscnt 0x6
	v_add_f64_e32 v[24:25], v[24:25], v[40:41]
	s_wait_dscnt 0x4
	v_add_f64_e32 v[12:13], v[12:13], v[34:35]
	;; [unrolled: 2-line block ×3, first 2 shown]
	v_lshlrev_b32_e32 v27, 2, v27
	s_wait_dscnt 0x0
	v_add_f64_e32 v[16:17], v[16:17], v[42:43]
	ds_bpermute_b32 v30, v27, v10
	ds_bpermute_b32 v31, v27, v11
	;; [unrolled: 1-line block ×8, first 2 shown]
	s_wait_dscnt 0x6
	v_add_f64_e32 v[10:11], v[10:11], v[30:31]
	ds_bpermute_b32 v40, v27, v24
	ds_bpermute_b32 v34, v27, v12
	;; [unrolled: 1-line block ×8, first 2 shown]
	v_xor_b32_e32 v27, 4, v1
	s_delay_alu instid0(VALU_DEP_1)
	v_cmp_gt_i32_e32 vcc_lo, 32, v27
	s_wait_dscnt 0xa
	v_dual_add_f64 v[22:23], v[22:23], v[36:37] :: v_dual_cndmask_b32 v27, v1, v27, vcc_lo
	s_wait_dscnt 0x8
	v_add_f64_e32 v[18:19], v[18:19], v[28:29]
	v_add_f64_e32 v[20:21], v[20:21], v[32:33]
	s_wait_dscnt 0x5
	v_add_f64_e32 v[12:13], v[12:13], v[34:35]
	s_wait_dscnt 0x2
	v_dual_add_f64 v[24:25], v[24:25], v[40:41] :: v_dual_lshlrev_b32 v27, 2, v27
	ds_bpermute_b32 v30, v27, v10
	ds_bpermute_b32 v31, v27, v11
	;; [unrolled: 1-line block ×12, first 2 shown]
	s_wait_dscnt 0x8
	v_add_f64_e32 v[22:23], v[22:23], v[36:37]
	s_wait_dscnt 0x6
	v_add_f64_e32 v[18:19], v[18:19], v[28:29]
	v_dual_add_f64 v[28:29], v[10:11], v[30:31] :: v_dual_bitop2_b32 v10, 2, v1 bitop3:0x14
	v_add_f64_e32 v[14:15], v[14:15], v[38:39]
	s_wait_dscnt 0x0
	v_add_f64_e32 v[36:37], v[24:25], v[40:41]
	s_delay_alu instid0(VALU_DEP_3) | instskip(SKIP_3) | instid1(VALU_DEP_3)
	v_cmp_gt_i32_e32 vcc_lo, 32, v10
	v_cndmask_b32_e32 v10, v1, v10, vcc_lo
	v_add_f64_e32 v[20:21], v[20:21], v[32:33]
	v_add_f64_e32 v[32:33], v[12:13], v[34:35]
	v_lshlrev_b32_e32 v24, 2, v10
	ds_bpermute_b32 v40, v24, v22
	ds_bpermute_b32 v41, v24, v23
	ds_bpermute_b32 v10, v24, v18
	ds_bpermute_b32 v12, v24, v28
	ds_bpermute_b32 v13, v24, v29
	ds_bpermute_b32 v38, v27, v14
	ds_bpermute_b32 v39, v27, v15
	ds_bpermute_b32 v11, v24, v19
	ds_bpermute_b32 v44, v24, v36
	ds_bpermute_b32 v45, v24, v37
	s_wait_dscnt 0x5
	v_add_f64_e32 v[30:31], v[28:29], v[12:13]
	s_wait_dscnt 0x3
	v_add_f64_e32 v[34:35], v[14:15], v[38:39]
	ds_bpermute_b32 v14, v24, v20
	ds_bpermute_b32 v15, v24, v21
	s_wait_dscnt 0x4
	v_add_f64_e32 v[10:11], v[18:19], v[10:11]
	s_wait_dscnt 0x0
	v_add_f64_e32 v[12:13], v[20:21], v[14:15]
	v_add_f64_e32 v[14:15], v[22:23], v[40:41]
	v_dual_add_f64 v[16:17], v[16:17], v[42:43] :: v_dual_bitop2_b32 v22, 1, v1 bitop3:0x14
	s_delay_alu instid0(VALU_DEP_1) | instskip(SKIP_2) | instid1(VALU_DEP_2)
	v_cmp_gt_i32_e32 vcc_lo, 32, v22
	v_cndmask_b32_e32 v1, v1, v22, vcc_lo
	v_cmp_eq_u32_e32 vcc_lo, 31, v0
	v_lshlrev_b32_e32 v1, 2, v1
	ds_bpermute_b32 v22, v1, v10
	ds_bpermute_b32 v23, v1, v11
	;; [unrolled: 1-line block ×6, first 2 shown]
	s_wait_dscnt 0x0
	v_add_f64_e32 v[38:39], v[16:17], v[42:43]
	ds_bpermute_b32 v16, v24, v32
	ds_bpermute_b32 v17, v24, v33
	ds_bpermute_b32 v42, v24, v34
	ds_bpermute_b32 v43, v24, v35
	s_wait_dscnt 0x0
	v_add_f64_e32 v[20:21], v[34:35], v[42:43]
	ds_bpermute_b32 v42, v1, v30
	ds_bpermute_b32 v43, v1, v31
	;; [unrolled: 1-line block ×4, first 2 shown]
	v_add_f64_e32 v[24:25], v[32:33], v[16:17]
	v_add_f64_e32 v[16:17], v[36:37], v[44:45]
	ds_bpermute_b32 v32, v1, v14
	ds_bpermute_b32 v33, v1, v15
	s_wait_dscnt 0x2
	v_add_f64_e32 v[18:19], v[38:39], v[46:47]
	ds_bpermute_b32 v38, v1, v20
	ds_bpermute_b32 v39, v1, v21
	;; [unrolled: 1-line block ×8, first 2 shown]
	s_and_b32 exec_lo, exec_lo, vcc_lo
	s_cbranch_execz .LBB173_8
; %bb.36:
	v_add_f64_e32 v[0:1], v[30:31], v[42:43]
	s_wait_dscnt 0x4
	v_add_f64_e32 v[30:31], v[24:25], v[40:41]
	v_add_f64_e32 v[38:39], v[20:21], v[38:39]
	s_wait_dscnt 0x0
	v_add_f64_e32 v[36:37], v[18:19], v[36:37]
	v_add_f64_e32 v[40:41], v[10:11], v[22:23]
	;; [unrolled: 1-line block ×5, first 2 shown]
	v_cmp_eq_f64_e32 vcc_lo, 0, v[2:3]
	v_cmp_eq_f64_e64 s2, 0, v[4:5]
	s_load_b64 s[0:1], s[0:1], 0x60
	v_mul_f64_e64 v[22:23], v[0:1], -v[8:9]
	v_mul_f64_e32 v[24:25], v[6:7], v[0:1]
	v_mul_f64_e64 v[14:15], v[38:39], -v[8:9]
	v_mul_f64_e32 v[16:17], v[6:7], v[38:39]
	v_mul_f64_e64 v[10:11], v[36:37], -v[8:9]
	v_dual_mul_f64 v[12:13], v[6:7], v[36:37] :: v_dual_lshlrev_b32 v0, 2, v26
	v_mul_f64_e64 v[18:19], v[30:31], -v[8:9]
	v_mul_f64_e32 v[20:21], v[6:7], v[30:31]
	s_and_b32 s2, vcc_lo, s2
	v_fmac_f64_e32 v[22:23], v[6:7], v[40:41]
	v_fmac_f64_e32 v[24:25], v[8:9], v[40:41]
	;; [unrolled: 1-line block ×8, first 2 shown]
	s_and_saveexec_b32 s3, s2
	s_delay_alu instid0(SALU_CYCLE_1)
	s_xor_b32 s2, exec_lo, s3
	s_cbranch_execz .LBB173_38
; %bb.37:
	s_wait_kmcnt 0x0
	s_clause 0x3
	global_store_b128 v0, v[22:25], s[0:1] scale_offset
	global_store_b128 v0, v[18:21], s[0:1] offset:16 scale_offset
	global_store_b128 v0, v[14:17], s[0:1] offset:32 scale_offset
	;; [unrolled: 1-line block ×3, first 2 shown]
                                        ; implicit-def: $vgpr4_vgpr5
                                        ; implicit-def: $vgpr22_vgpr23
                                        ; implicit-def: $vgpr0
                                        ; implicit-def: $vgpr18_vgpr19
                                        ; implicit-def: $vgpr14_vgpr15
                                        ; implicit-def: $vgpr10_vgpr11
.LBB173_38:
	s_wait_xcnt 0x0
	s_and_not1_saveexec_b32 s2, s2
	s_cbranch_execz .LBB173_8
; %bb.39:
	s_wait_kmcnt 0x0
	s_clause 0x3
	global_load_b128 v[6:9], v0, s[0:1] scale_offset
	global_load_b128 v[26:29], v0, s[0:1] offset:16 scale_offset
	global_load_b128 v[30:33], v0, s[0:1] offset:32 scale_offset
	global_load_b128 v[34:37], v0, s[0:1] offset:48 scale_offset
	s_wait_loadcnt 0x3
	v_fmac_f64_e32 v[22:23], v[2:3], v[6:7]
	v_fmac_f64_e32 v[24:25], v[4:5], v[6:7]
	s_wait_loadcnt 0x2
	v_fmac_f64_e32 v[18:19], v[2:3], v[26:27]
	v_fmac_f64_e32 v[20:21], v[4:5], v[26:27]
	;; [unrolled: 3-line block ×4, first 2 shown]
	v_fma_f64 v[22:23], -v[4:5], v[8:9], v[22:23]
	v_fmac_f64_e32 v[24:25], v[2:3], v[8:9]
	v_fma_f64 v[18:19], -v[4:5], v[28:29], v[18:19]
	v_fmac_f64_e32 v[20:21], v[2:3], v[28:29]
	;; [unrolled: 2-line block ×4, first 2 shown]
	s_clause 0x3
	global_store_b128 v0, v[22:25], s[0:1] scale_offset
	global_store_b128 v0, v[18:21], s[0:1] offset:16 scale_offset
	global_store_b128 v0, v[14:17], s[0:1] offset:32 scale_offset
	;; [unrolled: 1-line block ×3, first 2 shown]
	s_sendmsg sendmsg(MSG_DEALLOC_VGPRS)
	s_endpgm
	.section	.rodata,"a",@progbits
	.p2align	6, 0x0
	.amdhsa_kernel _ZN9rocsparseL18bsrxmvn_4x4_kernelILj128ELj32E21rocsparse_complex_numIdEliS1_IfES2_S2_EEvT3_20rocsparse_direction_NS_24const_host_device_scalarIT1_EES4_PKS4_PKT2_SD_SA_PKT4_PKT5_S8_PT6_21rocsparse_index_base_b
		.amdhsa_group_segment_fixed_size 0
		.amdhsa_private_segment_fixed_size 0
		.amdhsa_kernarg_size 112
		.amdhsa_user_sgpr_count 2
		.amdhsa_user_sgpr_dispatch_ptr 0
		.amdhsa_user_sgpr_queue_ptr 0
		.amdhsa_user_sgpr_kernarg_segment_ptr 1
		.amdhsa_user_sgpr_dispatch_id 0
		.amdhsa_user_sgpr_kernarg_preload_length 0
		.amdhsa_user_sgpr_kernarg_preload_offset 0
		.amdhsa_user_sgpr_private_segment_size 0
		.amdhsa_wavefront_size32 1
		.amdhsa_uses_dynamic_stack 0
		.amdhsa_enable_private_segment 0
		.amdhsa_system_sgpr_workgroup_id_x 1
		.amdhsa_system_sgpr_workgroup_id_y 0
		.amdhsa_system_sgpr_workgroup_id_z 0
		.amdhsa_system_sgpr_workgroup_info 0
		.amdhsa_system_vgpr_workitem_id 0
		.amdhsa_next_free_vgpr 148
		.amdhsa_next_free_sgpr 14
		.amdhsa_named_barrier_count 0
		.amdhsa_reserve_vcc 1
		.amdhsa_float_round_mode_32 0
		.amdhsa_float_round_mode_16_64 0
		.amdhsa_float_denorm_mode_32 3
		.amdhsa_float_denorm_mode_16_64 3
		.amdhsa_fp16_overflow 0
		.amdhsa_memory_ordered 1
		.amdhsa_forward_progress 1
		.amdhsa_inst_pref_size 75
		.amdhsa_round_robin_scheduling 0
		.amdhsa_exception_fp_ieee_invalid_op 0
		.amdhsa_exception_fp_denorm_src 0
		.amdhsa_exception_fp_ieee_div_zero 0
		.amdhsa_exception_fp_ieee_overflow 0
		.amdhsa_exception_fp_ieee_underflow 0
		.amdhsa_exception_fp_ieee_inexact 0
		.amdhsa_exception_int_div_zero 0
	.end_amdhsa_kernel
	.section	.text._ZN9rocsparseL18bsrxmvn_4x4_kernelILj128ELj32E21rocsparse_complex_numIdEliS1_IfES2_S2_EEvT3_20rocsparse_direction_NS_24const_host_device_scalarIT1_EES4_PKS4_PKT2_SD_SA_PKT4_PKT5_S8_PT6_21rocsparse_index_base_b,"axG",@progbits,_ZN9rocsparseL18bsrxmvn_4x4_kernelILj128ELj32E21rocsparse_complex_numIdEliS1_IfES2_S2_EEvT3_20rocsparse_direction_NS_24const_host_device_scalarIT1_EES4_PKS4_PKT2_SD_SA_PKT4_PKT5_S8_PT6_21rocsparse_index_base_b,comdat
.Lfunc_end173:
	.size	_ZN9rocsparseL18bsrxmvn_4x4_kernelILj128ELj32E21rocsparse_complex_numIdEliS1_IfES2_S2_EEvT3_20rocsparse_direction_NS_24const_host_device_scalarIT1_EES4_PKS4_PKT2_SD_SA_PKT4_PKT5_S8_PT6_21rocsparse_index_base_b, .Lfunc_end173-_ZN9rocsparseL18bsrxmvn_4x4_kernelILj128ELj32E21rocsparse_complex_numIdEliS1_IfES2_S2_EEvT3_20rocsparse_direction_NS_24const_host_device_scalarIT1_EES4_PKS4_PKT2_SD_SA_PKT4_PKT5_S8_PT6_21rocsparse_index_base_b
                                        ; -- End function
	.set _ZN9rocsparseL18bsrxmvn_4x4_kernelILj128ELj32E21rocsparse_complex_numIdEliS1_IfES2_S2_EEvT3_20rocsparse_direction_NS_24const_host_device_scalarIT1_EES4_PKS4_PKT2_SD_SA_PKT4_PKT5_S8_PT6_21rocsparse_index_base_b.num_vgpr, 148
	.set _ZN9rocsparseL18bsrxmvn_4x4_kernelILj128ELj32E21rocsparse_complex_numIdEliS1_IfES2_S2_EEvT3_20rocsparse_direction_NS_24const_host_device_scalarIT1_EES4_PKS4_PKT2_SD_SA_PKT4_PKT5_S8_PT6_21rocsparse_index_base_b.num_agpr, 0
	.set _ZN9rocsparseL18bsrxmvn_4x4_kernelILj128ELj32E21rocsparse_complex_numIdEliS1_IfES2_S2_EEvT3_20rocsparse_direction_NS_24const_host_device_scalarIT1_EES4_PKS4_PKT2_SD_SA_PKT4_PKT5_S8_PT6_21rocsparse_index_base_b.numbered_sgpr, 14
	.set _ZN9rocsparseL18bsrxmvn_4x4_kernelILj128ELj32E21rocsparse_complex_numIdEliS1_IfES2_S2_EEvT3_20rocsparse_direction_NS_24const_host_device_scalarIT1_EES4_PKS4_PKT2_SD_SA_PKT4_PKT5_S8_PT6_21rocsparse_index_base_b.num_named_barrier, 0
	.set _ZN9rocsparseL18bsrxmvn_4x4_kernelILj128ELj32E21rocsparse_complex_numIdEliS1_IfES2_S2_EEvT3_20rocsparse_direction_NS_24const_host_device_scalarIT1_EES4_PKS4_PKT2_SD_SA_PKT4_PKT5_S8_PT6_21rocsparse_index_base_b.private_seg_size, 0
	.set _ZN9rocsparseL18bsrxmvn_4x4_kernelILj128ELj32E21rocsparse_complex_numIdEliS1_IfES2_S2_EEvT3_20rocsparse_direction_NS_24const_host_device_scalarIT1_EES4_PKS4_PKT2_SD_SA_PKT4_PKT5_S8_PT6_21rocsparse_index_base_b.uses_vcc, 1
	.set _ZN9rocsparseL18bsrxmvn_4x4_kernelILj128ELj32E21rocsparse_complex_numIdEliS1_IfES2_S2_EEvT3_20rocsparse_direction_NS_24const_host_device_scalarIT1_EES4_PKS4_PKT2_SD_SA_PKT4_PKT5_S8_PT6_21rocsparse_index_base_b.uses_flat_scratch, 0
	.set _ZN9rocsparseL18bsrxmvn_4x4_kernelILj128ELj32E21rocsparse_complex_numIdEliS1_IfES2_S2_EEvT3_20rocsparse_direction_NS_24const_host_device_scalarIT1_EES4_PKS4_PKT2_SD_SA_PKT4_PKT5_S8_PT6_21rocsparse_index_base_b.has_dyn_sized_stack, 0
	.set _ZN9rocsparseL18bsrxmvn_4x4_kernelILj128ELj32E21rocsparse_complex_numIdEliS1_IfES2_S2_EEvT3_20rocsparse_direction_NS_24const_host_device_scalarIT1_EES4_PKS4_PKT2_SD_SA_PKT4_PKT5_S8_PT6_21rocsparse_index_base_b.has_recursion, 0
	.set _ZN9rocsparseL18bsrxmvn_4x4_kernelILj128ELj32E21rocsparse_complex_numIdEliS1_IfES2_S2_EEvT3_20rocsparse_direction_NS_24const_host_device_scalarIT1_EES4_PKS4_PKT2_SD_SA_PKT4_PKT5_S8_PT6_21rocsparse_index_base_b.has_indirect_call, 0
	.section	.AMDGPU.csdata,"",@progbits
; Kernel info:
; codeLenInByte = 9516
; TotalNumSgprs: 16
; NumVgprs: 148
; ScratchSize: 0
; MemoryBound: 0
; FloatMode: 240
; IeeeMode: 1
; LDSByteSize: 0 bytes/workgroup (compile time only)
; SGPRBlocks: 0
; VGPRBlocks: 9
; NumSGPRsForWavesPerEU: 16
; NumVGPRsForWavesPerEU: 148
; NamedBarCnt: 0
; Occupancy: 6
; WaveLimiterHint : 1
; COMPUTE_PGM_RSRC2:SCRATCH_EN: 0
; COMPUTE_PGM_RSRC2:USER_SGPR: 2
; COMPUTE_PGM_RSRC2:TRAP_HANDLER: 0
; COMPUTE_PGM_RSRC2:TGID_X_EN: 1
; COMPUTE_PGM_RSRC2:TGID_Y_EN: 0
; COMPUTE_PGM_RSRC2:TGID_Z_EN: 0
; COMPUTE_PGM_RSRC2:TIDIG_COMP_CNT: 0
	.section	.text._ZN9rocsparseL18bsrxmvn_4x4_kernelILj128ELj64E21rocsparse_complex_numIdEliS1_IfES2_S2_EEvT3_20rocsparse_direction_NS_24const_host_device_scalarIT1_EES4_PKS4_PKT2_SD_SA_PKT4_PKT5_S8_PT6_21rocsparse_index_base_b,"axG",@progbits,_ZN9rocsparseL18bsrxmvn_4x4_kernelILj128ELj64E21rocsparse_complex_numIdEliS1_IfES2_S2_EEvT3_20rocsparse_direction_NS_24const_host_device_scalarIT1_EES4_PKS4_PKT2_SD_SA_PKT4_PKT5_S8_PT6_21rocsparse_index_base_b,comdat
	.globl	_ZN9rocsparseL18bsrxmvn_4x4_kernelILj128ELj64E21rocsparse_complex_numIdEliS1_IfES2_S2_EEvT3_20rocsparse_direction_NS_24const_host_device_scalarIT1_EES4_PKS4_PKT2_SD_SA_PKT4_PKT5_S8_PT6_21rocsparse_index_base_b ; -- Begin function _ZN9rocsparseL18bsrxmvn_4x4_kernelILj128ELj64E21rocsparse_complex_numIdEliS1_IfES2_S2_EEvT3_20rocsparse_direction_NS_24const_host_device_scalarIT1_EES4_PKS4_PKT2_SD_SA_PKT4_PKT5_S8_PT6_21rocsparse_index_base_b
	.p2align	8
	.type	_ZN9rocsparseL18bsrxmvn_4x4_kernelILj128ELj64E21rocsparse_complex_numIdEliS1_IfES2_S2_EEvT3_20rocsparse_direction_NS_24const_host_device_scalarIT1_EES4_PKS4_PKT2_SD_SA_PKT4_PKT5_S8_PT6_21rocsparse_index_base_b,@function
_ZN9rocsparseL18bsrxmvn_4x4_kernelILj128ELj64E21rocsparse_complex_numIdEliS1_IfES2_S2_EEvT3_20rocsparse_direction_NS_24const_host_device_scalarIT1_EES4_PKS4_PKT2_SD_SA_PKT4_PKT5_S8_PT6_21rocsparse_index_base_b: ; @_ZN9rocsparseL18bsrxmvn_4x4_kernelILj128ELj64E21rocsparse_complex_numIdEliS1_IfES2_S2_EEvT3_20rocsparse_direction_NS_24const_host_device_scalarIT1_EES4_PKS4_PKT2_SD_SA_PKT4_PKT5_S8_PT6_21rocsparse_index_base_b
; %bb.0:
	s_clause 0x1
	s_load_b64 s[12:13], s[0:1], 0x68
	s_load_b64 s[2:3], s[0:1], 0x8
	v_mov_b32_e32 v1, 0
	s_add_nc_u64 s[4:5], s[0:1], 8
	s_load_b64 s[6:7], s[0:1], 0x50
	s_wait_kmcnt 0x0
	s_bitcmp1_b32 s13, 0
	s_cselect_b32 s3, s5, s3
	s_cselect_b32 s2, s4, s2
	flat_load_b128 v[6:9], v1, s[2:3]
	s_wait_xcnt 0x0
	s_add_nc_u64 s[2:3], s[0:1], 0x50
	s_delay_alu instid0(SALU_CYCLE_1)
	s_cselect_b32 s3, s3, s7
	s_cselect_b32 s2, s2, s6
	flat_load_b128 v[2:5], v1, s[2:3]
	s_wait_loadcnt_dscnt 0x101
	v_cmp_eq_f64_e32 vcc_lo, 0, v[6:7]
	s_wait_xcnt 0x0
	v_cmp_eq_f64_e64 s2, 0, v[8:9]
	s_and_b32 s4, vcc_lo, s2
	s_mov_b32 s2, -1
	s_and_saveexec_b32 s3, s4
	s_cbranch_execz .LBB174_2
; %bb.1:
	s_wait_loadcnt_dscnt 0x0
	v_cmp_neq_f64_e32 vcc_lo, 1.0, v[2:3]
	v_cmp_neq_f64_e64 s2, 0, v[4:5]
	s_or_b32 s2, vcc_lo, s2
	s_delay_alu instid0(SALU_CYCLE_1)
	s_or_not1_b32 s2, s2, exec_lo
.LBB174_2:
	s_or_b32 exec_lo, exec_lo, s3
	s_and_saveexec_b32 s3, s2
	s_cbranch_execz .LBB174_8
; %bb.3:
	s_clause 0x1
	s_load_b64 s[4:5], s[0:1], 0x20
	s_load_b64 s[2:3], s[0:1], 0x0
	s_bfe_u32 s6, ttmp6, 0x4000c
	s_and_b32 s7, ttmp6, 15
	s_add_co_i32 s6, s6, 1
	s_getreg_b32 s8, hwreg(HW_REG_IB_STS2, 6, 4)
	s_mul_i32 s6, ttmp9, s6
	v_lshrrev_b32_e32 v1, 6, v0
	s_add_co_i32 s7, s7, s6
	s_cmp_eq_u32 s8, 0
	s_cselect_b32 s6, ttmp9, s7
	s_delay_alu instid0(VALU_DEP_1) | instid1(SALU_CYCLE_1)
	v_lshl_or_b32 v26, s6, 1, v1
	s_mov_b32 s6, 0
	s_wait_kmcnt 0x0
	s_cmp_lg_u64 s[4:5], 0
	s_cbranch_scc0 .LBB174_9
; %bb.4:
	s_load_b32 s6, s[0:1], 0x18
	s_mov_b32 s7, 0
                                        ; implicit-def: $vgpr1
	s_wait_kmcnt 0x0
	v_cmp_gt_i32_e32 vcc_lo, s6, v26
	s_mov_b32 s6, 0
	s_and_saveexec_b32 s8, vcc_lo
	s_delay_alu instid0(SALU_CYCLE_1)
	s_xor_b32 s8, exec_lo, s8
	s_cbranch_execz .LBB174_6
; %bb.5:
	global_load_b32 v1, v26, s[4:5] scale_offset
	s_mov_b32 s6, exec_lo
	s_wait_loadcnt 0x0
	v_subrev_nc_u32_e32 v1, s12, v1
.LBB174_6:
	s_or_b32 exec_lo, exec_lo, s8
	s_delay_alu instid0(SALU_CYCLE_1)
	s_and_b32 vcc_lo, exec_lo, s7
	s_cbranch_vccz .LBB174_10
.LBB174_7:
	v_cmp_gt_i32_e32 vcc_lo, s2, v26
	s_and_not1_b32 s2, s6, exec_lo
	s_and_b32 s4, vcc_lo, exec_lo
	s_delay_alu instid0(SALU_CYCLE_1) | instskip(NEXT) | instid1(SALU_CYCLE_1)
	s_or_b32 s6, s2, s4
	s_and_b32 exec_lo, exec_lo, s6
	s_cbranch_execnz .LBB174_11
.LBB174_8:
	s_sendmsg sendmsg(MSG_DEALLOC_VGPRS)
	s_endpgm
.LBB174_9:
                                        ; implicit-def: $vgpr1
	s_cbranch_execnz .LBB174_7
.LBB174_10:
	s_delay_alu instid0(VALU_DEP_1)
	v_mov_b32_e32 v26, v1
	s_and_b32 exec_lo, exec_lo, s6
	s_cbranch_execz .LBB174_8
.LBB174_11:
	s_load_b256 s[4:11], s[0:1], 0x28
	s_mov_b32 s13, 0
	v_dual_mov_b32 v1, 0 :: v_dual_bitop2_b32 v0, 63, v0 bitop3:0x40
	s_wait_kmcnt 0x0
	s_cmp_eq_u64 s[6:7], 0
	global_load_b64 v[34:35], v26, s[4:5] scale_offset
	s_cselect_b32 vcc_lo, -1, 0
	v_ashrrev_i32_e32 v27, 31, v26
	s_cmp_eq_u32 s3, 1
	s_delay_alu instid0(VALU_DEP_1) | instskip(NEXT) | instid1(VALU_DEP_1)
	v_lshlrev_b64_e32 v[10:11], 3, v[26:27]
	v_add_nc_u64_e32 v[12:13], s[4:5], v[10:11]
	v_add_nc_u64_e32 v[10:11], s[6:7], v[10:11]
	s_wait_xcnt 0x0
	s_load_b64 s[4:5], s[0:1], 0x48
	s_delay_alu instid0(VALU_DEP_2) | instskip(NEXT) | instid1(VALU_DEP_1)
	v_add_nc_u64_e32 v[12:13], 8, v[12:13]
	v_dual_cndmask_b32 v11, v11, v13 :: v_dual_cndmask_b32 v10, v10, v12
	global_load_b64 v[10:11], v[10:11], off
	s_wait_loadcnt 0x1
	v_sub_nc_u64_e64 v[12:13], v[34:35], s[12:13]
	s_delay_alu instid0(VALU_DEP_1) | instskip(NEXT) | instid1(VALU_DEP_1)
	v_add_nc_u64_e32 v[18:19], v[12:13], v[0:1]
	v_lshlrev_b64_e32 v[12:13], 7, v[18:19]
	s_delay_alu instid0(VALU_DEP_1) | instskip(SKIP_2) | instid1(VALU_DEP_1)
	v_add_nc_u64_e32 v[22:23], s[10:11], v[12:13]
	s_wait_loadcnt 0x0
	v_sub_nc_u64_e64 v[20:21], v[10:11], s[12:13]
	v_cmp_lt_i64_e64 s2, v[18:19], v[20:21]
	s_cbranch_scc1 .LBB174_23
; %bb.12:
	v_mov_b64_e32 v[10:11], 0
	v_mov_b64_e32 v[28:29], 0
	;; [unrolled: 1-line block ×8, first 2 shown]
	s_and_saveexec_b32 s3, s2
	s_cbranch_execz .LBB174_22
; %bb.13:
	v_dual_mov_b32 v11, v1 :: v_dual_bitop2_b32 v10, 64, v0 bitop3:0x54
	v_sub_nc_u64_e32 v[12:13], s[12:13], v[0:1]
	v_not_b32_e32 v15, v35
	v_not_b32_e32 v14, v34
	v_mov_b64_e32 v[24:25], 0
	v_sub_nc_u64_e64 v[10:11], v[10:11], s[12:13]
	v_mov_b64_e32 v[16:17], 0
	v_mov_b64_e32 v[32:33], 0
	v_add_nc_u64_e32 v[12:13], v[12:13], v[14:15]
	v_mov_b64_e32 v[14:15], 0
	v_mov_b64_e32 v[30:31], 0
	;; [unrolled: 1-line block ×3, first 2 shown]
	v_add_nc_u64_e32 v[10:11], v[10:11], v[34:35]
	v_mov_b64_e32 v[36:37], v[22:23]
	v_mov_b64_e32 v[38:39], v[18:19]
	v_mov_b32_e32 v45, 0
	s_mov_b32 s6, exec_lo
	s_delay_alu instid0(VALU_DEP_4) | instskip(NEXT) | instid1(VALU_DEP_1)
	v_max_i64 v[10:11], v[10:11], v[20:21]
	v_add_nc_u64_e32 v[40:41], v[12:13], v[10:11]
	v_mov_b64_e32 v[12:13], 0
	v_mov_b64_e32 v[10:11], 0
	s_delay_alu instid0(VALU_DEP_3) | instskip(NEXT) | instid1(VALU_DEP_1)
	v_and_b32_e32 v44, 0xc0, v40
	v_cmpx_ne_u64_e32 0xc0, v[44:45]
	s_cbranch_execz .LBB174_17
; %bb.14:
	v_lshrrev_b32_e32 v10, 6, v40
	v_mov_b64_e32 v[28:29], 0
	v_mov_b64_e32 v[12:13], 0
	;; [unrolled: 1-line block ×4, first 2 shown]
	v_add_nc_u32_e32 v14, 1, v10
	v_mov_b64_e32 v[10:11], 0
	v_mov_b64_e32 v[16:17], 0
	;; [unrolled: 1-line block ×4, first 2 shown]
	v_and_b32_e32 v44, 3, v14
	v_mov_b64_e32 v[14:15], 0
	v_mov_b64_e32 v[36:37], v[22:23]
	v_lshl_add_u64 v[42:43], v[18:19], 2, s[8:9]
	s_mov_b32 s7, 0
	v_sub_nc_u64_e32 v[44:45], 0, v[44:45]
.LBB174_15:                             ; =>This Inner Loop Header: Depth=1
	global_load_b32 v27, v[42:43], off
	s_clause 0x3
	global_load_b128 v[46:49], v[36:37], off
	global_load_b128 v[50:53], v[36:37], off offset:32
	global_load_b128 v[54:57], v[36:37], off offset:64
	;; [unrolled: 1-line block ×3, first 2 shown]
	v_add_nc_u64_e32 v[44:45], 1, v[44:45]
	v_add_nc_u64_e32 v[38:39], 64, v[38:39]
	s_wait_xcnt 0x4
	v_add_nc_u64_e32 v[42:43], 0x100, v[42:43]
	s_delay_alu instid0(VALU_DEP_3)
	v_cmp_eq_u64_e32 vcc_lo, 0, v[44:45]
	s_or_b32 s7, vcc_lo, s7
	s_wait_loadcnt 0x4
	v_subrev_nc_u32_e32 v27, s12, v27
	s_wait_loadcnt 0x3
	v_cvt_f64_f32_e32 v[94:95], v46
	v_cvt_f64_f32_e32 v[46:47], v47
	s_wait_loadcnt 0x2
	v_cvt_f64_f32_e32 v[96:97], v50
	v_cvt_f64_f32_e32 v[50:51], v51
	v_lshlrev_b32_e32 v27, 2, v27
	s_wait_loadcnt 0x1
	v_cvt_f64_f32_e32 v[98:99], v54
	v_cvt_f64_f32_e32 v[54:55], v55
	s_wait_loadcnt 0x0
	v_cvt_f64_f32_e32 v[100:101], v58
	v_cvt_f64_f32_e32 v[58:59], v59
	s_wait_kmcnt 0x0
	s_clause 0x1
	global_load_b128 v[62:65], v27, s[4:5] scale_offset
	global_load_b128 v[66:69], v27, s[4:5] offset:16 scale_offset
	s_clause 0x3
	global_load_b128 v[70:73], v[36:37], off offset:16
	global_load_b128 v[74:77], v[36:37], off offset:48
	;; [unrolled: 1-line block ×4, first 2 shown]
	s_clause 0x1
	global_load_b128 v[86:89], v27, s[4:5] offset:32 scale_offset
	global_load_b128 v[90:93], v27, s[4:5] offset:48 scale_offset
	v_cvt_f64_f32_e32 v[102:103], v52
	v_cvt_f64_f32_e32 v[52:53], v53
	;; [unrolled: 1-line block ×6, first 2 shown]
	s_wait_xcnt 0x2
	v_add_nc_u64_e32 v[36:37], 0x2000, v[36:37]
	s_wait_loadcnt 0x7
	v_fmac_f64_e32 v[28:29], v[94:95], v[62:63]
	v_fmac_f64_e32 v[10:11], v[46:47], v[62:63]
	;; [unrolled: 1-line block ×8, first 2 shown]
	v_cvt_f64_f32_e32 v[62:63], v48
	v_cvt_f64_f32_e32 v[48:49], v49
	v_fma_f64 v[28:29], -v[46:47], v[64:65], v[28:29]
	v_fmac_f64_e32 v[10:11], v[94:95], v[64:65]
	v_fma_f64 v[30:31], -v[50:51], v[64:65], v[30:31]
	v_fmac_f64_e32 v[12:13], v[96:97], v[64:65]
	;; [unrolled: 2-line block ×4, first 2 shown]
	s_wait_loadcnt 0x5
	v_cvt_f64_f32_e32 v[46:47], v70
	v_cvt_f64_f32_e32 v[50:51], v71
	s_wait_loadcnt 0x4
	v_cvt_f64_f32_e32 v[54:55], v74
	v_cvt_f64_f32_e32 v[58:59], v75
	s_wait_loadcnt 0x3
	v_cvt_f64_f32_e32 v[64:65], v78
	s_wait_loadcnt 0x2
	v_cvt_f64_f32_e32 v[70:71], v82
	v_cvt_f64_f32_e32 v[74:75], v83
	v_fmac_f64_e32 v[28:29], v[62:63], v[66:67]
	v_fmac_f64_e32 v[10:11], v[48:49], v[66:67]
	;; [unrolled: 1-line block ×8, first 2 shown]
	v_cvt_f64_f32_e32 v[66:67], v79
	v_fma_f64 v[28:29], -v[48:49], v[68:69], v[28:29]
	v_fmac_f64_e32 v[10:11], v[62:63], v[68:69]
	v_fma_f64 v[30:31], -v[52:53], v[68:69], v[30:31]
	v_fmac_f64_e32 v[12:13], v[102:103], v[68:69]
	;; [unrolled: 2-line block ×4, first 2 shown]
	v_cvt_f64_f32_e32 v[48:49], v72
	v_cvt_f64_f32_e32 v[52:53], v73
	;; [unrolled: 1-line block ×8, first 2 shown]
	s_wait_loadcnt 0x1
	v_fmac_f64_e32 v[28:29], v[46:47], v[86:87]
	v_fmac_f64_e32 v[10:11], v[50:51], v[86:87]
	;; [unrolled: 1-line block ×8, first 2 shown]
	v_fma_f64 v[28:29], -v[50:51], v[88:89], v[28:29]
	v_fmac_f64_e32 v[10:11], v[46:47], v[88:89]
	v_fma_f64 v[30:31], -v[58:59], v[88:89], v[30:31]
	v_fmac_f64_e32 v[12:13], v[54:55], v[88:89]
	v_fma_f64 v[32:33], -v[66:67], v[88:89], v[32:33]
	v_fmac_f64_e32 v[14:15], v[64:65], v[88:89]
	v_fma_f64 v[24:25], -v[74:75], v[88:89], v[24:25]
	v_fmac_f64_e32 v[16:17], v[70:71], v[88:89]
	s_wait_loadcnt 0x0
	v_fmac_f64_e32 v[28:29], v[48:49], v[90:91]
	v_fmac_f64_e32 v[10:11], v[52:53], v[90:91]
	v_fmac_f64_e32 v[30:31], v[56:57], v[90:91]
	v_fmac_f64_e32 v[12:13], v[60:61], v[90:91]
	v_fmac_f64_e32 v[32:33], v[62:63], v[90:91]
	v_fmac_f64_e32 v[14:15], v[68:69], v[90:91]
	v_fmac_f64_e32 v[24:25], v[72:73], v[90:91]
	v_fmac_f64_e32 v[16:17], v[76:77], v[90:91]
	v_fma_f64 v[28:29], -v[52:53], v[92:93], v[28:29]
	v_fmac_f64_e32 v[10:11], v[48:49], v[92:93]
	v_fma_f64 v[30:31], -v[60:61], v[92:93], v[30:31]
	v_fmac_f64_e32 v[12:13], v[56:57], v[92:93]
	v_fma_f64 v[32:33], -v[68:69], v[92:93], v[32:33]
	v_fmac_f64_e32 v[14:15], v[62:63], v[92:93]
	v_fma_f64 v[24:25], -v[76:77], v[92:93], v[24:25]
	v_fmac_f64_e32 v[16:17], v[72:73], v[92:93]
	s_and_not1_b32 exec_lo, exec_lo, s7
	s_cbranch_execnz .LBB174_15
; %bb.16:
	s_or_b32 exec_lo, exec_lo, s7
.LBB174_17:
	s_delay_alu instid0(SALU_CYCLE_1) | instskip(NEXT) | instid1(SALU_CYCLE_1)
	s_or_b32 exec_lo, exec_lo, s6
	s_mov_b32 s6, exec_lo
	v_cmpx_lt_u64_e32 0xbf, v[40:41]
	s_cbranch_execz .LBB174_21
; %bb.18:
	v_lshl_add_u64 v[40:41], v[38:39], 2, s[8:9]
	s_mov_b32 s7, 0
	s_delay_alu instid0(VALU_DEP_1)
	v_add_nc_u64_e32 v[40:41], 0x200, v[40:41]
.LBB174_19:                             ; =>This Inner Loop Header: Depth=1
	s_clause 0x1
	global_load_b32 v27, v[40:41], off offset:-512
	global_load_b32 v106, v[40:41], off offset:-256
	s_clause 0x3
	global_load_b128 v[42:45], v[36:37], off
	global_load_b128 v[46:49], v[36:37], off offset:32
	global_load_b128 v[50:53], v[36:37], off offset:64
	;; [unrolled: 1-line block ×3, first 2 shown]
	s_clause 0x1
	global_load_b32 v146, v[40:41], off
	global_load_b32 v147, v[40:41], off offset:256
	v_add_nc_u64_e32 v[38:39], 0x100, v[38:39]
	s_wait_xcnt 0x0
	v_add_nc_u64_e32 v[40:41], 0x400, v[40:41]
	s_delay_alu instid0(VALU_DEP_2)
	v_cmp_ge_i64_e32 vcc_lo, v[38:39], v[20:21]
	s_or_b32 s7, vcc_lo, s7
	s_wait_loadcnt 0x7
	v_subrev_nc_u32_e32 v27, s12, v27
	s_wait_loadcnt 0x5
	v_cvt_f64_f32_e32 v[130:131], v42
	v_cvt_f64_f32_e32 v[42:43], v43
	s_wait_loadcnt 0x4
	v_cvt_f64_f32_e32 v[132:133], v46
	v_lshlrev_b32_e32 v27, 2, v27
	v_cvt_f64_f32_e32 v[46:47], v47
	s_wait_loadcnt 0x3
	v_cvt_f64_f32_e32 v[134:135], v50
	v_cvt_f64_f32_e32 v[50:51], v51
	s_wait_loadcnt 0x2
	v_cvt_f64_f32_e32 v[136:137], v54
	s_wait_kmcnt 0x0
	s_clause 0x1
	global_load_b128 v[58:61], v27, s[4:5] scale_offset
	global_load_b128 v[62:65], v27, s[4:5] offset:16 scale_offset
	s_clause 0x3
	global_load_b128 v[66:69], v[36:37], off offset:16
	global_load_b128 v[70:73], v[36:37], off offset:48
	;; [unrolled: 1-line block ×4, first 2 shown]
	s_clause 0x1
	global_load_b128 v[82:85], v27, s[4:5] offset:32 scale_offset
	global_load_b128 v[86:89], v27, s[4:5] offset:48 scale_offset
	s_clause 0x3
	global_load_b128 v[90:93], v[36:37], off offset:8192
	global_load_b128 v[94:97], v[36:37], off offset:8224
	;; [unrolled: 1-line block ×4, first 2 shown]
	s_wait_xcnt 0x4
	v_subrev_nc_u32_e32 v27, s12, v106
	v_cvt_f64_f32_e32 v[54:55], v55
	v_cvt_f64_f32_e32 v[138:139], v48
	;; [unrolled: 1-line block ×7, first 2 shown]
	s_wait_loadcnt 0xb
	v_fmac_f64_e32 v[30:31], v[132:133], v[58:59]
	v_lshlrev_b32_e32 v27, 2, v27
	v_fmac_f64_e32 v[28:29], v[130:131], v[58:59]
	v_fmac_f64_e32 v[12:13], v[46:47], v[58:59]
	;; [unrolled: 1-line block ×7, first 2 shown]
	v_cvt_f64_f32_e32 v[58:59], v44
	v_cvt_f64_f32_e32 v[44:45], v45
	v_fma_f64 v[46:47], -v[46:47], v[60:61], v[30:31]
	s_clause 0x1
	global_load_b128 v[106:109], v27, s[4:5] scale_offset
	global_load_b128 v[110:113], v27, s[4:5] offset:16 scale_offset
	v_fma_f64 v[42:43], -v[42:43], v[60:61], v[28:29]
	v_fmac_f64_e32 v[10:11], v[130:131], v[60:61]
	s_clause 0x3
	global_load_b128 v[114:117], v[36:37], off offset:8208
	global_load_b128 v[118:121], v[36:37], off offset:8240
	;; [unrolled: 1-line block ×4, first 2 shown]
	v_fmac_f64_e32 v[12:13], v[132:133], v[60:61]
	v_fmac_f64_e32 v[14:15], v[134:135], v[60:61]
	v_fma_f64 v[24:25], -v[54:55], v[60:61], v[24:25]
	v_fmac_f64_e32 v[16:17], v[136:137], v[60:61]
	global_load_b128 v[28:31], v27, s[4:5] offset:32 scale_offset
	s_wait_loadcnt 0xf
	v_cvt_f64_f32_e32 v[130:131], v70
	v_cvt_f64_f32_e32 v[70:71], v71
	s_wait_loadcnt 0xe
	v_cvt_f64_f32_e32 v[132:133], v74
	v_cvt_f64_f32_e32 v[74:75], v75
	;; [unrolled: 3-line block ×3, first 2 shown]
	v_fmac_f64_e32 v[46:47], v[138:139], v[62:63]
	v_fmac_f64_e32 v[42:43], v[58:59], v[62:63]
	;; [unrolled: 1-line block ×7, first 2 shown]
	v_fma_f64 v[144:145], -v[48:49], v[64:65], v[46:47]
	v_fma_f64 v[136:137], -v[44:45], v[64:65], v[42:43]
	global_load_b128 v[42:45], v27, s[4:5] offset:48 scale_offset
	s_wait_xcnt 0x0
	v_subrev_nc_u32_e32 v27, s12, v146
	v_fma_f64 v[32:33], -v[50:51], v[60:61], v[32:33]
	v_fmac_f64_e32 v[10:11], v[58:59], v[64:65]
	v_fmac_f64_e32 v[12:13], v[138:139], v[64:65]
	;; [unrolled: 1-line block ×3, first 2 shown]
	v_dual_fma_f64 v[24:25], -v[56:57], v[64:65], v[24:25] :: v_dual_lshlrev_b32 v27, 2, v27
	v_fmac_f64_e32 v[16:17], v[142:143], v[64:65]
	v_cvt_f64_f32_e32 v[138:139], v72
	v_cvt_f64_f32_e32 v[72:73], v73
	;; [unrolled: 1-line block ×4, first 2 shown]
	s_wait_loadcnt 0xd
	v_fmac_f64_e32 v[144:145], v[130:131], v[82:83]
	v_fmac_f64_e32 v[32:33], v[140:141], v[62:63]
	v_cvt_f64_f32_e32 v[62:63], v66
	v_cvt_f64_f32_e32 v[66:67], v67
	v_fmac_f64_e32 v[12:13], v[70:71], v[82:83]
	v_fmac_f64_e32 v[14:15], v[74:75], v[82:83]
	v_fmac_f64_e32 v[24:25], v[134:135], v[82:83]
	v_fmac_f64_e32 v[16:17], v[78:79], v[82:83]
	v_cvt_f64_f32_e32 v[140:141], v76
	v_cvt_f64_f32_e32 v[76:77], v77
	v_fma_f64 v[70:71], -v[70:71], v[84:85], v[144:145]
	v_fma_f64 v[32:33], -v[52:53], v[64:65], v[32:33]
	v_fmac_f64_e32 v[136:137], v[62:63], v[82:83]
	v_fmac_f64_e32 v[10:11], v[66:67], v[82:83]
	s_clause 0x3
	global_load_b128 v[46:49], v[36:37], off offset:16384
	global_load_b128 v[50:53], v[36:37], off offset:16416
	;; [unrolled: 1-line block ×4, first 2 shown]
	v_fmac_f64_e32 v[12:13], v[130:131], v[84:85]
	v_fmac_f64_e32 v[14:15], v[132:133], v[84:85]
	v_fma_f64 v[24:25], -v[78:79], v[84:85], v[24:25]
	v_fmac_f64_e32 v[16:17], v[134:135], v[84:85]
	s_wait_loadcnt 0xe
	v_cvt_f64_f32_e32 v[130:131], v94
	v_cvt_f64_f32_e32 v[94:95], v95
	s_wait_loadcnt 0xc
	v_cvt_f64_f32_e32 v[134:135], v102
	v_cvt_f64_f32_e32 v[102:103], v103
	v_fmac_f64_e32 v[70:71], v[138:139], v[86:87]
	v_fmac_f64_e32 v[32:33], v[132:133], v[82:83]
	v_cvt_f64_f32_e32 v[82:83], v68
	v_cvt_f64_f32_e32 v[68:69], v69
	v_fma_f64 v[66:67], -v[66:67], v[84:85], v[136:137]
	v_fmac_f64_e32 v[10:11], v[62:63], v[84:85]
	global_load_b128 v[62:65], v27, s[4:5] scale_offset
	v_fmac_f64_e32 v[12:13], v[72:73], v[86:87]
	v_fmac_f64_e32 v[14:15], v[76:77], v[86:87]
	v_fmac_f64_e32 v[24:25], v[142:143], v[86:87]
	v_fmac_f64_e32 v[16:17], v[80:81], v[86:87]
	v_cvt_f64_f32_e32 v[132:133], v98
	v_cvt_f64_f32_e32 v[98:99], v99
	v_fma_f64 v[144:145], -v[72:73], v[88:89], v[70:71]
	v_fma_f64 v[32:33], -v[74:75], v[84:85], v[32:33]
	v_fmac_f64_e32 v[66:67], v[82:83], v[86:87]
	v_fmac_f64_e32 v[10:11], v[68:69], v[86:87]
	;; [unrolled: 1-line block ×4, first 2 shown]
	v_fma_f64 v[24:25], -v[80:81], v[88:89], v[24:25]
	v_fmac_f64_e32 v[16:17], v[142:143], v[88:89]
	v_cvt_f64_f32_e32 v[138:139], v96
	v_cvt_f64_f32_e32 v[96:97], v97
	;; [unrolled: 1-line block ×4, first 2 shown]
	v_fmac_f64_e32 v[32:33], v[140:141], v[86:87]
	v_cvt_f64_f32_e32 v[86:87], v90
	v_cvt_f64_f32_e32 v[90:91], v91
	v_fma_f64 v[136:137], -v[68:69], v[88:89], v[66:67]
	v_fmac_f64_e32 v[10:11], v[82:83], v[88:89]
	global_load_b128 v[66:69], v27, s[4:5] offset:16 scale_offset
	v_cvt_f64_f32_e32 v[140:141], v100
	v_cvt_f64_f32_e32 v[100:101], v101
	v_fma_f64 v[32:33], -v[76:77], v[88:89], v[32:33]
	s_clause 0x3
	global_load_b128 v[70:73], v[36:37], off offset:16432
	global_load_b128 v[74:77], v[36:37], off offset:16400
	global_load_b128 v[78:81], v[36:37], off offset:16464
	global_load_b128 v[82:85], v[36:37], off offset:16496
	s_wait_loadcnt 0x11
	v_fmac_f64_e32 v[136:137], v[86:87], v[106:107]
	v_fmac_f64_e32 v[10:11], v[90:91], v[106:107]
	;; [unrolled: 1-line block ×8, first 2 shown]
	v_cvt_f64_f32_e32 v[106:107], v92
	v_cvt_f64_f32_e32 v[92:93], v93
	v_fma_f64 v[90:91], -v[90:91], v[108:109], v[136:137]
	v_fmac_f64_e32 v[10:11], v[86:87], v[108:109]
	v_fma_f64 v[94:95], -v[94:95], v[108:109], v[144:145]
	v_fmac_f64_e32 v[12:13], v[130:131], v[108:109]
	;; [unrolled: 2-line block ×4, first 2 shown]
	global_load_b128 v[86:89], v27, s[4:5] offset:32 scale_offset
	s_wait_loadcnt 0xf
	v_cvt_f64_f32_e32 v[130:131], v118
	v_cvt_f64_f32_e32 v[118:119], v119
	s_wait_loadcnt 0xe
	v_cvt_f64_f32_e32 v[132:133], v122
	v_cvt_f64_f32_e32 v[122:123], v123
	s_wait_loadcnt 0xd
	v_cvt_f64_f32_e32 v[134:135], v126
	v_cvt_f64_f32_e32 v[126:127], v127
	v_fmac_f64_e32 v[90:91], v[106:107], v[110:111]
	v_fmac_f64_e32 v[10:11], v[92:93], v[110:111]
	;; [unrolled: 1-line block ×8, first 2 shown]
	v_cvt_f64_f32_e32 v[110:111], v114
	v_cvt_f64_f32_e32 v[114:115], v115
	v_fma_f64 v[136:137], -v[92:93], v[112:113], v[90:91]
	v_fmac_f64_e32 v[10:11], v[106:107], v[112:113]
	v_fma_f64 v[144:145], -v[96:97], v[112:113], v[94:95]
	v_fmac_f64_e32 v[12:13], v[138:139], v[112:113]
	;; [unrolled: 2-line block ×4, first 2 shown]
	global_load_b128 v[90:93], v27, s[4:5] offset:48 scale_offset
	s_clause 0x3
	global_load_b128 v[94:97], v[36:37], off offset:24608
	global_load_b128 v[98:101], v[36:37], off offset:24576
	;; [unrolled: 1-line block ×4, first 2 shown]
	v_cvt_f64_f32_e32 v[112:113], v116
	v_cvt_f64_f32_e32 v[116:117], v117
	;; [unrolled: 1-line block ×8, first 2 shown]
	s_wait_xcnt 0x4
	v_subrev_nc_u32_e32 v27, s12, v147
	s_delay_alu instid0(VALU_DEP_1)
	v_lshlrev_b32_e32 v27, 2, v27
	s_wait_loadcnt 0x11
	v_fmac_f64_e32 v[136:137], v[110:111], v[28:29]
	v_fmac_f64_e32 v[10:11], v[114:115], v[28:29]
	;; [unrolled: 1-line block ×8, first 2 shown]
	v_fma_f64 v[114:115], -v[114:115], v[30:31], v[136:137]
	v_fmac_f64_e32 v[10:11], v[110:111], v[30:31]
	v_fma_f64 v[110:111], -v[118:119], v[30:31], v[144:145]
	v_fmac_f64_e32 v[12:13], v[130:131], v[30:31]
	;; [unrolled: 2-line block ×4, first 2 shown]
	global_load_b128 v[28:31], v27, s[4:5] scale_offset
	s_wait_loadcnt 0x10
	v_cvt_f64_f32_e32 v[126:127], v46
	v_cvt_f64_f32_e32 v[46:47], v47
	s_wait_loadcnt 0xf
	v_cvt_f64_f32_e32 v[130:131], v50
	v_cvt_f64_f32_e32 v[50:51], v51
	;; [unrolled: 3-line block ×4, first 2 shown]
	v_fmac_f64_e32 v[114:115], v[112:113], v[42:43]
	v_fmac_f64_e32 v[10:11], v[116:117], v[42:43]
	;; [unrolled: 1-line block ×8, first 2 shown]
	v_fma_f64 v[136:137], -v[116:117], v[44:45], v[114:115]
	v_fmac_f64_e32 v[10:11], v[112:113], v[44:45]
	v_fma_f64 v[144:145], -v[120:121], v[44:45], v[110:111]
	v_fmac_f64_e32 v[12:13], v[138:139], v[44:45]
	v_fma_f64 v[32:33], -v[124:125], v[44:45], v[32:33]
	v_fmac_f64_e32 v[14:15], v[140:141], v[44:45]
	v_fma_f64 v[24:25], -v[128:129], v[44:45], v[24:25]
	v_fmac_f64_e32 v[16:17], v[142:143], v[44:45]
	global_load_b128 v[42:45], v27, s[4:5] offset:16 scale_offset
	s_clause 0x3
	global_load_b128 v[110:113], v[36:37], off offset:24624
	global_load_b128 v[114:117], v[36:37], off offset:24592
	;; [unrolled: 1-line block ×4, first 2 shown]
	v_cvt_f64_f32_e32 v[128:129], v49
	v_cvt_f64_f32_e32 v[138:139], v52
	v_cvt_f64_f32_e32 v[52:53], v53
	v_cvt_f64_f32_e32 v[140:141], v56
	v_cvt_f64_f32_e32 v[56:57], v57
	v_cvt_f64_f32_e32 v[142:143], v60
	v_cvt_f64_f32_e32 v[60:61], v61
	s_wait_xcnt 0x0
	v_add_nc_u64_e32 v[36:37], 0x8000, v[36:37]
	s_wait_loadcnt 0x11
	v_fmac_f64_e32 v[136:137], v[126:127], v[62:63]
	v_fmac_f64_e32 v[10:11], v[46:47], v[62:63]
	;; [unrolled: 1-line block ×8, first 2 shown]
	v_cvt_f64_f32_e32 v[62:63], v48
	v_fma_f64 v[136:137], -v[46:47], v[64:65], v[136:137]
	v_fmac_f64_e32 v[10:11], v[126:127], v[64:65]
	v_fma_f64 v[50:51], -v[50:51], v[64:65], v[144:145]
	v_fmac_f64_e32 v[12:13], v[130:131], v[64:65]
	;; [unrolled: 2-line block ×4, first 2 shown]
	global_load_b128 v[46:49], v27, s[4:5] offset:32 scale_offset
	s_wait_loadcnt 0xf
	v_cvt_f64_f32_e32 v[54:55], v74
	v_cvt_f64_f32_e32 v[58:59], v75
	;; [unrolled: 1-line block ×3, first 2 shown]
	s_wait_loadcnt 0xe
	v_cvt_f64_f32_e32 v[74:75], v79
	v_fmac_f64_e32 v[136:137], v[62:63], v[66:67]
	v_fmac_f64_e32 v[10:11], v[128:129], v[66:67]
	;; [unrolled: 1-line block ×8, first 2 shown]
	v_cvt_f64_f32_e32 v[66:67], v71
	v_cvt_f64_f32_e32 v[70:71], v78
	s_wait_loadcnt 0xd
	v_cvt_f64_f32_e32 v[78:79], v82
	v_cvt_f64_f32_e32 v[82:83], v83
	v_fma_f64 v[126:127], -v[128:129], v[68:69], v[136:137]
	v_fmac_f64_e32 v[10:11], v[62:63], v[68:69]
	v_fma_f64 v[62:63], -v[52:53], v[68:69], v[50:51]
	v_fmac_f64_e32 v[12:13], v[138:139], v[68:69]
	;; [unrolled: 2-line block ×4, first 2 shown]
	global_load_b128 v[50:53], v27, s[4:5] offset:48 scale_offset
	v_cvt_f64_f32_e32 v[56:57], v76
	v_cvt_f64_f32_e32 v[60:61], v77
	;; [unrolled: 1-line block ×6, first 2 shown]
	s_wait_loadcnt 0xd
	v_fmac_f64_e32 v[126:127], v[54:55], v[86:87]
	v_fmac_f64_e32 v[10:11], v[58:59], v[86:87]
	;; [unrolled: 1-line block ×8, first 2 shown]
	v_cvt_f64_f32_e32 v[86:87], v84
	v_cvt_f64_f32_e32 v[84:85], v85
	v_fma_f64 v[58:59], -v[58:59], v[88:89], v[126:127]
	v_fmac_f64_e32 v[10:11], v[54:55], v[88:89]
	v_fma_f64 v[54:55], -v[66:67], v[88:89], v[62:63]
	v_fmac_f64_e32 v[12:13], v[64:65], v[88:89]
	;; [unrolled: 2-line block ×4, first 2 shown]
	s_wait_loadcnt 0xa
	v_cvt_f64_f32_e32 v[62:63], v98
	v_cvt_f64_f32_e32 v[64:65], v99
	;; [unrolled: 1-line block ×4, first 2 shown]
	s_wait_loadcnt 0x8
	v_cvt_f64_f32_e32 v[74:75], v106
	v_cvt_f64_f32_e32 v[78:79], v107
	;; [unrolled: 1-line block ×4, first 2 shown]
	v_fmac_f64_e32 v[58:59], v[56:57], v[90:91]
	v_fmac_f64_e32 v[10:11], v[60:61], v[90:91]
	;; [unrolled: 1-line block ×8, first 2 shown]
	v_fma_f64 v[58:59], -v[60:61], v[92:93], v[58:59]
	v_fmac_f64_e32 v[10:11], v[56:57], v[92:93]
	v_fma_f64 v[54:55], -v[72:73], v[92:93], v[54:55]
	v_fmac_f64_e32 v[12:13], v[68:69], v[92:93]
	;; [unrolled: 2-line block ×4, first 2 shown]
	v_cvt_f64_f32_e32 v[56:57], v101
	v_cvt_f64_f32_e32 v[60:61], v96
	;; [unrolled: 1-line block ×7, first 2 shown]
	s_wait_loadcnt 0x7
	v_fmac_f64_e32 v[58:59], v[62:63], v[28:29]
	v_fmac_f64_e32 v[10:11], v[64:65], v[28:29]
	;; [unrolled: 1-line block ×8, first 2 shown]
	v_cvt_f64_f32_e32 v[28:29], v100
	v_fma_f64 v[58:59], -v[64:65], v[30:31], v[58:59]
	v_fmac_f64_e32 v[10:11], v[62:63], v[30:31]
	v_fma_f64 v[54:55], -v[70:71], v[30:31], v[54:55]
	v_fmac_f64_e32 v[12:13], v[66:67], v[30:31]
	;; [unrolled: 2-line block ×4, first 2 shown]
	s_wait_loadcnt 0x4
	v_cvt_f64_f32_e32 v[30:31], v114
	v_cvt_f64_f32_e32 v[62:63], v110
	;; [unrolled: 1-line block ×3, first 2 shown]
	s_wait_loadcnt 0x2
	v_cvt_f64_f32_e32 v[66:67], v122
	v_cvt_f64_f32_e32 v[70:71], v123
	;; [unrolled: 1-line block ×4, first 2 shown]
	v_fmac_f64_e32 v[58:59], v[28:29], v[42:43]
	v_fmac_f64_e32 v[10:11], v[56:57], v[42:43]
	;; [unrolled: 1-line block ×8, first 2 shown]
	v_cvt_f64_f32_e32 v[42:43], v115
	v_fma_f64 v[56:57], -v[56:57], v[44:45], v[58:59]
	v_fmac_f64_e32 v[10:11], v[28:29], v[44:45]
	v_fma_f64 v[28:29], -v[68:69], v[44:45], v[54:55]
	v_fmac_f64_e32 v[12:13], v[60:61], v[44:45]
	;; [unrolled: 2-line block ×4, first 2 shown]
	v_cvt_f64_f32_e32 v[44:45], v116
	v_cvt_f64_f32_e32 v[54:55], v112
	;; [unrolled: 1-line block ×7, first 2 shown]
	s_wait_loadcnt 0x1
	v_fmac_f64_e32 v[56:57], v[30:31], v[46:47]
	v_fmac_f64_e32 v[10:11], v[42:43], v[46:47]
	;; [unrolled: 1-line block ×8, first 2 shown]
	v_cvt_f64_f32_e32 v[46:47], v117
	v_fma_f64 v[42:43], -v[42:43], v[48:49], v[56:57]
	v_fmac_f64_e32 v[10:11], v[30:31], v[48:49]
	v_fma_f64 v[30:31], -v[64:65], v[48:49], v[28:29]
	v_fmac_f64_e32 v[12:13], v[62:63], v[48:49]
	;; [unrolled: 2-line block ×4, first 2 shown]
	s_wait_loadcnt 0x0
	v_fmac_f64_e32 v[42:43], v[44:45], v[50:51]
	v_fmac_f64_e32 v[10:11], v[46:47], v[50:51]
	;; [unrolled: 1-line block ×8, first 2 shown]
	v_fma_f64 v[28:29], -v[46:47], v[52:53], v[42:43]
	v_fmac_f64_e32 v[10:11], v[44:45], v[52:53]
	v_fma_f64 v[30:31], -v[58:59], v[52:53], v[30:31]
	v_fmac_f64_e32 v[12:13], v[54:55], v[52:53]
	;; [unrolled: 2-line block ×4, first 2 shown]
	s_and_not1_b32 exec_lo, exec_lo, s7
	s_cbranch_execnz .LBB174_19
; %bb.20:
	s_or_b32 exec_lo, exec_lo, s7
.LBB174_21:
	s_delay_alu instid0(SALU_CYCLE_1)
	s_or_b32 exec_lo, exec_lo, s6
.LBB174_22:
	s_delay_alu instid0(SALU_CYCLE_1)
	s_or_b32 exec_lo, exec_lo, s3
	s_cbranch_execz .LBB174_24
	s_branch .LBB174_35
.LBB174_23:
                                        ; implicit-def: $vgpr10_vgpr11
                                        ; implicit-def: $vgpr28_vgpr29
                                        ; implicit-def: $vgpr12_vgpr13
                                        ; implicit-def: $vgpr30_vgpr31
                                        ; implicit-def: $vgpr14_vgpr15
                                        ; implicit-def: $vgpr32_vgpr33
                                        ; implicit-def: $vgpr16_vgpr17
                                        ; implicit-def: $vgpr24_vgpr25
.LBB174_24:
	v_mov_b64_e32 v[10:11], 0
	v_mov_b64_e32 v[28:29], 0
	;; [unrolled: 1-line block ×8, first 2 shown]
	s_and_saveexec_b32 s3, s2
	s_cbranch_execz .LBB174_34
; %bb.25:
	v_dual_mov_b32 v11, v1 :: v_dual_bitop2_b32 v10, 64, v0 bitop3:0x54
	v_sub_nc_u64_e32 v[12:13], s[12:13], v[0:1]
	v_not_b32_e32 v15, v35
	v_not_b32_e32 v14, v34
	v_mov_b64_e32 v[24:25], 0
	v_sub_nc_u64_e64 v[10:11], v[10:11], s[12:13]
	v_mov_b64_e32 v[16:17], 0
	v_mov_b64_e32 v[32:33], 0
	v_add_nc_u64_e32 v[12:13], v[12:13], v[14:15]
	v_mov_b64_e32 v[14:15], 0
	v_mov_b64_e32 v[30:31], 0
	;; [unrolled: 1-line block ×3, first 2 shown]
	v_add_nc_u64_e32 v[10:11], v[10:11], v[34:35]
	v_mov_b32_e32 v37, 0
	s_mov_b32 s2, exec_lo
	s_delay_alu instid0(VALU_DEP_2) | instskip(NEXT) | instid1(VALU_DEP_1)
	v_max_i64 v[10:11], v[10:11], v[20:21]
	v_add_nc_u64_e32 v[34:35], v[12:13], v[10:11]
	v_mov_b64_e32 v[12:13], 0
	v_mov_b64_e32 v[10:11], 0
	s_delay_alu instid0(VALU_DEP_3) | instskip(NEXT) | instid1(VALU_DEP_1)
	v_and_b32_e32 v36, 0xc0, v34
	v_cmpx_ne_u64_e32 0xc0, v[36:37]
	s_cbranch_execz .LBB174_29
; %bb.26:
	v_lshrrev_b32_e32 v1, 6, v34
	v_mov_b64_e32 v[10:11], 0
	v_mov_b64_e32 v[28:29], 0
	;; [unrolled: 1-line block ×4, first 2 shown]
	v_add_nc_u32_e32 v1, 1, v1
	v_mov_b64_e32 v[14:15], 0
	v_mov_b64_e32 v[32:33], 0
	;; [unrolled: 1-line block ×4, first 2 shown]
	v_and_b32_e32 v36, 3, v1
	v_lshl_add_u64 v[38:39], v[18:19], 2, s[8:9]
	s_mov_b32 s6, 0
	s_delay_alu instid0(VALU_DEP_2)
	v_sub_nc_u64_e32 v[36:37], 0, v[36:37]
.LBB174_27:                             ; =>This Inner Loop Header: Depth=1
	global_load_b32 v1, v[38:39], off
	s_clause 0x1
	global_load_b128 v[40:43], v[22:23], off
	global_load_b128 v[44:47], v[22:23], off offset:16
	v_add_nc_u64_e32 v[36:37], 1, v[36:37]
	v_add_nc_u64_e32 v[18:19], 64, v[18:19]
	s_wait_xcnt 0x2
	v_add_nc_u64_e32 v[38:39], 0x100, v[38:39]
	s_delay_alu instid0(VALU_DEP_3)
	v_cmp_eq_u64_e32 vcc_lo, 0, v[36:37]
	s_or_b32 s6, vcc_lo, s6
	s_wait_loadcnt 0x2
	v_subrev_nc_u32_e32 v1, s12, v1
	s_wait_loadcnt 0x1
	v_cvt_f64_f32_e32 v[88:89], v40
	v_cvt_f64_f32_e32 v[40:41], v41
	;; [unrolled: 1-line block ×4, first 2 shown]
	v_lshlrev_b32_e32 v1, 2, v1
	s_wait_loadcnt 0x0
	v_cvt_f64_f32_e32 v[92:93], v44
	v_cvt_f64_f32_e32 v[44:45], v45
	;; [unrolled: 1-line block ×4, first 2 shown]
	s_wait_kmcnt 0x0
	s_clause 0x1
	global_load_b128 v[48:51], v1, s[4:5] scale_offset
	global_load_b128 v[52:55], v1, s[4:5] offset:16 scale_offset
	s_clause 0x3
	global_load_b128 v[56:59], v[22:23], off offset:32
	global_load_b128 v[60:63], v[22:23], off offset:48
	;; [unrolled: 1-line block ×4, first 2 shown]
	s_clause 0x1
	global_load_b128 v[72:75], v1, s[4:5] offset:32 scale_offset
	global_load_b128 v[76:79], v1, s[4:5] offset:48 scale_offset
	s_clause 0x1
	global_load_b128 v[80:83], v[22:23], off offset:96
	global_load_b128 v[84:87], v[22:23], off offset:112
	s_wait_xcnt 0x0
	v_add_nc_u64_e32 v[22:23], 0x2000, v[22:23]
	s_wait_loadcnt 0x9
	v_fmac_f64_e32 v[28:29], v[88:89], v[48:49]
	v_fmac_f64_e32 v[10:11], v[40:41], v[48:49]
	;; [unrolled: 1-line block ×8, first 2 shown]
	s_wait_loadcnt 0x7
	v_cvt_f64_f32_e32 v[48:49], v56
	v_cvt_f64_f32_e32 v[56:57], v57
	;; [unrolled: 1-line block ×4, first 2 shown]
	s_wait_loadcnt 0x6
	v_cvt_f64_f32_e32 v[98:99], v60
	v_cvt_f64_f32_e32 v[60:61], v61
	;; [unrolled: 1-line block ×4, first 2 shown]
	v_fma_f64 v[28:29], -v[40:41], v[50:51], v[28:29]
	v_fmac_f64_e32 v[10:11], v[88:89], v[50:51]
	v_fma_f64 v[30:31], -v[42:43], v[50:51], v[30:31]
	v_fmac_f64_e32 v[12:13], v[90:91], v[50:51]
	;; [unrolled: 2-line block ×4, first 2 shown]
	s_wait_loadcnt 0x5
	v_cvt_f64_f32_e32 v[40:41], v64
	v_cvt_f64_f32_e32 v[42:43], v65
	;; [unrolled: 1-line block ×4, first 2 shown]
	s_wait_loadcnt 0x4
	v_cvt_f64_f32_e32 v[50:51], v68
	v_cvt_f64_f32_e32 v[64:65], v70
	;; [unrolled: 1-line block ×3, first 2 shown]
	s_wait_loadcnt 0x0
	v_cvt_f64_f32_e32 v[70:71], v87
	v_fmac_f64_e32 v[28:29], v[48:49], v[52:53]
	v_fmac_f64_e32 v[10:11], v[56:57], v[52:53]
	;; [unrolled: 1-line block ×8, first 2 shown]
	v_cvt_f64_f32_e32 v[52:53], v69
	v_cvt_f64_f32_e32 v[68:69], v86
	v_fma_f64 v[28:29], -v[56:57], v[54:55], v[28:29]
	v_fmac_f64_e32 v[10:11], v[48:49], v[54:55]
	v_fma_f64 v[30:31], -v[58:59], v[54:55], v[30:31]
	v_fmac_f64_e32 v[12:13], v[96:97], v[54:55]
	;; [unrolled: 2-line block ×4, first 2 shown]
	v_cvt_f64_f32_e32 v[48:49], v80
	v_cvt_f64_f32_e32 v[54:55], v81
	;; [unrolled: 1-line block ×6, first 2 shown]
	v_fmac_f64_e32 v[28:29], v[40:41], v[72:73]
	v_fmac_f64_e32 v[10:11], v[42:43], v[72:73]
	;; [unrolled: 1-line block ×8, first 2 shown]
	v_fma_f64 v[28:29], -v[42:43], v[74:75], v[28:29]
	v_fmac_f64_e32 v[10:11], v[40:41], v[74:75]
	v_fma_f64 v[30:31], -v[46:47], v[74:75], v[30:31]
	v_fmac_f64_e32 v[12:13], v[44:45], v[74:75]
	;; [unrolled: 2-line block ×4, first 2 shown]
	v_fmac_f64_e32 v[28:29], v[48:49], v[76:77]
	v_fmac_f64_e32 v[10:11], v[54:55], v[76:77]
	;; [unrolled: 1-line block ×8, first 2 shown]
	v_fma_f64 v[28:29], -v[54:55], v[78:79], v[28:29]
	v_fmac_f64_e32 v[10:11], v[48:49], v[78:79]
	v_fma_f64 v[30:31], -v[58:59], v[78:79], v[30:31]
	v_fmac_f64_e32 v[12:13], v[56:57], v[78:79]
	;; [unrolled: 2-line block ×4, first 2 shown]
	s_and_not1_b32 exec_lo, exec_lo, s6
	s_cbranch_execnz .LBB174_27
; %bb.28:
	s_or_b32 exec_lo, exec_lo, s6
.LBB174_29:
	s_delay_alu instid0(SALU_CYCLE_1) | instskip(NEXT) | instid1(SALU_CYCLE_1)
	s_or_b32 exec_lo, exec_lo, s2
	s_mov_b32 s2, exec_lo
	v_cmpx_lt_u64_e32 0xbf, v[34:35]
	s_cbranch_execz .LBB174_33
; %bb.30:
	v_lshl_add_u64 v[34:35], v[18:19], 2, s[8:9]
	s_mov_b32 s6, 0
	s_delay_alu instid0(VALU_DEP_1)
	v_add_nc_u64_e32 v[34:35], 0x200, v[34:35]
.LBB174_31:                             ; =>This Inner Loop Header: Depth=1
	s_clause 0x1
	global_load_b32 v1, v[34:35], off offset:-512
	global_load_b32 v27, v[34:35], off offset:-256
	s_clause 0x1
	global_load_b128 v[36:39], v[22:23], off
	global_load_b128 v[40:43], v[22:23], off offset:16
	s_clause 0x1
	global_load_b32 v136, v[34:35], off
	global_load_b32 v140, v[34:35], off offset:256
	v_add_nc_u64_e32 v[18:19], 0x100, v[18:19]
	s_wait_xcnt 0x0
	v_add_nc_u64_e32 v[34:35], 0x400, v[34:35]
	s_delay_alu instid0(VALU_DEP_2)
	v_cmp_ge_i64_e32 vcc_lo, v[18:19], v[20:21]
	s_or_b32 s6, vcc_lo, s6
	s_wait_loadcnt 0x5
	v_subrev_nc_u32_e32 v1, s12, v1
	s_wait_loadcnt 0x3
	v_cvt_f64_f32_e32 v[110:111], v37
	v_cvt_f64_f32_e32 v[112:113], v38
	;; [unrolled: 1-line block ×3, first 2 shown]
	v_lshlrev_b32_e32 v1, 2, v1
	v_cvt_f64_f32_e32 v[114:115], v39
	s_wait_loadcnt 0x2
	v_cvt_f64_f32_e32 v[116:117], v40
	v_cvt_f64_f32_e32 v[118:119], v41
	;; [unrolled: 1-line block ×3, first 2 shown]
	s_wait_kmcnt 0x0
	global_load_b128 v[44:47], v1, s[4:5] scale_offset
	s_clause 0x1
	global_load_b128 v[48:51], v[22:23], off offset:32
	global_load_b128 v[52:55], v[22:23], off offset:48
	global_load_b128 v[56:59], v1, s[4:5] offset:16 scale_offset
	s_clause 0x1
	global_load_b128 v[60:63], v[22:23], off offset:64
	global_load_b128 v[64:67], v[22:23], off offset:80
	global_load_b128 v[68:71], v1, s[4:5] offset:32 scale_offset
	;; [unrolled: 4-line block ×3, first 2 shown]
	s_clause 0x1
	global_load_b128 v[84:87], v[22:23], off offset:8192
	global_load_b128 v[88:91], v[22:23], off offset:8208
	s_wait_xcnt 0x2
	v_subrev_nc_u32_e32 v1, s12, v27
	v_cvt_f64_f32_e32 v[122:123], v43
	s_wait_loadcnt 0xb
	v_fmac_f64_e32 v[10:11], v[110:111], v[44:45]
	v_fmac_f64_e32 v[30:31], v[112:113], v[44:45]
	v_lshlrev_b32_e32 v1, 2, v1
	v_fmac_f64_e32 v[28:29], v[108:109], v[44:45]
	v_fmac_f64_e32 v[12:13], v[114:115], v[44:45]
	;; [unrolled: 1-line block ×6, first 2 shown]
	s_wait_loadcnt 0xa
	v_cvt_f64_f32_e32 v[124:125], v48
	v_cvt_f64_f32_e32 v[126:127], v49
	v_cvt_f64_f32_e32 v[128:129], v50
	v_cvt_f64_f32_e32 v[130:131], v51
	s_wait_loadcnt 0x9
	v_cvt_f64_f32_e32 v[132:133], v52
	v_cvt_f64_f32_e32 v[52:53], v53
	;; [unrolled: 1-line block ×4, first 2 shown]
	v_fmac_f64_e32 v[10:11], v[108:109], v[46:47]
	v_fma_f64 v[108:109], -v[114:115], v[46:47], v[30:31]
	global_load_b128 v[92:95], v1, s[4:5] scale_offset
	s_clause 0x1
	global_load_b128 v[96:99], v[22:23], off offset:8224
	global_load_b128 v[100:103], v[22:23], off offset:8240
	global_load_b128 v[36:39], v1, s[4:5] offset:16 scale_offset
	s_clause 0x1
	global_load_b128 v[40:43], v[22:23], off offset:8256
	global_load_b128 v[104:107], v[22:23], off offset:8272
	v_fma_f64 v[110:111], -v[110:111], v[46:47], v[28:29]
	v_fmac_f64_e32 v[12:13], v[112:113], v[46:47]
	v_fma_f64 v[32:33], -v[118:119], v[46:47], v[32:33]
	v_fmac_f64_e32 v[14:15], v[116:117], v[46:47]
	;; [unrolled: 2-line block ×3, first 2 shown]
	global_load_b128 v[28:31], v1, s[4:5] offset:32 scale_offset
	s_clause 0x1
	global_load_b128 v[44:47], v[22:23], off offset:8288
	global_load_b128 v[48:51], v[22:23], off offset:8304
	s_wait_loadcnt 0x10
	v_cvt_f64_f32_e32 v[112:113], v60
	v_cvt_f64_f32_e32 v[114:115], v61
	;; [unrolled: 1-line block ×4, first 2 shown]
	s_wait_loadcnt 0xf
	v_cvt_f64_f32_e32 v[120:121], v64
	v_cvt_f64_f32_e32 v[64:65], v65
	;; [unrolled: 1-line block ×4, first 2 shown]
	v_fmac_f64_e32 v[10:11], v[126:127], v[56:57]
	v_fmac_f64_e32 v[108:109], v[128:129], v[56:57]
	v_fmac_f64_e32 v[110:111], v[124:125], v[56:57]
	v_fmac_f64_e32 v[12:13], v[130:131], v[56:57]
	v_fmac_f64_e32 v[32:33], v[132:133], v[56:57]
	v_fmac_f64_e32 v[14:15], v[52:53], v[56:57]
	v_fmac_f64_e32 v[24:25], v[134:135], v[56:57]
	v_fmac_f64_e32 v[16:17], v[54:55], v[56:57]
	v_fmac_f64_e32 v[10:11], v[124:125], v[58:59]
	v_fma_f64 v[108:109], -v[130:131], v[58:59], v[108:109]
	s_wait_loadcnt 0xd
	v_cvt_f64_f32_e32 v[124:125], v72
	v_cvt_f64_f32_e32 v[130:131], v75
	v_fma_f64 v[110:111], -v[126:127], v[58:59], v[110:111]
	v_fmac_f64_e32 v[12:13], v[128:129], v[58:59]
	v_fma_f64 v[32:33], -v[52:53], v[58:59], v[32:33]
	v_fmac_f64_e32 v[14:15], v[132:133], v[58:59]
	;; [unrolled: 2-line block ×3, first 2 shown]
	global_load_b128 v[52:55], v1, s[4:5] offset:48 scale_offset
	s_clause 0x1
	global_load_b128 v[56:59], v[22:23], off offset:16384
	global_load_b128 v[60:63], v[22:23], off offset:16400
	v_cvt_f64_f32_e32 v[126:127], v73
	v_cvt_f64_f32_e32 v[128:129], v74
	s_wait_loadcnt 0xf
	v_cvt_f64_f32_e32 v[132:133], v76
	v_cvt_f64_f32_e32 v[76:77], v77
	;; [unrolled: 1-line block ×4, first 2 shown]
	s_wait_xcnt 0x2
	v_subrev_nc_u32_e32 v1, s12, v136
	s_delay_alu instid0(VALU_DEP_1)
	v_lshlrev_b32_e32 v1, 2, v1
	v_fmac_f64_e32 v[10:11], v[114:115], v[68:69]
	v_fmac_f64_e32 v[108:109], v[116:117], v[68:69]
	;; [unrolled: 1-line block ×9, first 2 shown]
	v_fma_f64 v[108:109], -v[118:119], v[70:71], v[108:109]
	s_wait_loadcnt 0xd
	v_cvt_f64_f32_e32 v[112:113], v84
	v_cvt_f64_f32_e32 v[118:119], v87
	v_fma_f64 v[110:111], -v[114:115], v[70:71], v[110:111]
	v_fmac_f64_e32 v[12:13], v[116:117], v[70:71]
	v_fma_f64 v[32:33], -v[64:65], v[70:71], v[32:33]
	v_fmac_f64_e32 v[14:15], v[120:121], v[70:71]
	;; [unrolled: 2-line block ×3, first 2 shown]
	global_load_b128 v[64:67], v1, s[4:5] scale_offset
	s_clause 0x1
	global_load_b128 v[68:71], v[22:23], off offset:16416
	global_load_b128 v[72:75], v[22:23], off offset:16432
	v_cvt_f64_f32_e32 v[114:115], v85
	v_cvt_f64_f32_e32 v[116:117], v86
	s_wait_loadcnt 0xf
	v_cvt_f64_f32_e32 v[120:121], v88
	v_cvt_f64_f32_e32 v[88:89], v89
	;; [unrolled: 1-line block ×4, first 2 shown]
	v_fmac_f64_e32 v[10:11], v[126:127], v[80:81]
	v_fmac_f64_e32 v[108:109], v[128:129], v[80:81]
	;; [unrolled: 1-line block ×9, first 2 shown]
	v_fma_f64 v[108:109], -v[130:131], v[82:83], v[108:109]
	v_fma_f64 v[110:111], -v[126:127], v[82:83], v[110:111]
	v_fmac_f64_e32 v[12:13], v[128:129], v[82:83]
	v_fma_f64 v[32:33], -v[76:77], v[82:83], v[32:33]
	v_fmac_f64_e32 v[14:15], v[132:133], v[82:83]
	;; [unrolled: 2-line block ×3, first 2 shown]
	global_load_b128 v[76:79], v1, s[4:5] offset:16 scale_offset
	s_clause 0x1
	global_load_b128 v[80:83], v[22:23], off offset:16448
	global_load_b128 v[84:87], v[22:23], off offset:16464
	s_wait_loadcnt 0x11
	v_fmac_f64_e32 v[110:111], v[112:113], v[92:93]
	v_fmac_f64_e32 v[10:11], v[114:115], v[92:93]
	;; [unrolled: 1-line block ×8, first 2 shown]
	s_wait_loadcnt 0x10
	v_cvt_f64_f32_e32 v[124:125], v96
	v_cvt_f64_f32_e32 v[126:127], v97
	;; [unrolled: 1-line block ×4, first 2 shown]
	s_wait_loadcnt 0xf
	v_cvt_f64_f32_e32 v[132:133], v100
	v_cvt_f64_f32_e32 v[100:101], v101
	;; [unrolled: 1-line block ×4, first 2 shown]
	s_wait_loadcnt 0x9
	v_cvt_f64_f32_e32 v[136:137], v50
	v_cvt_f64_f32_e32 v[138:139], v51
	v_fma_f64 v[110:111], -v[114:115], v[94:95], v[110:111]
	v_fmac_f64_e32 v[10:11], v[112:113], v[94:95]
	v_fma_f64 v[108:109], -v[118:119], v[94:95], v[108:109]
	v_fmac_f64_e32 v[12:13], v[116:117], v[94:95]
	;; [unrolled: 2-line block ×4, first 2 shown]
	global_load_b128 v[88:91], v1, s[4:5] offset:32 scale_offset
	s_clause 0x1
	global_load_b128 v[92:95], v[22:23], off offset:16480
	global_load_b128 v[96:99], v[22:23], off offset:16496
	v_cvt_f64_f32_e32 v[112:113], v40
	v_cvt_f64_f32_e32 v[114:115], v41
	;; [unrolled: 1-line block ×8, first 2 shown]
	v_fmac_f64_e32 v[110:111], v[124:125], v[36:37]
	v_fmac_f64_e32 v[10:11], v[126:127], v[36:37]
	;; [unrolled: 1-line block ×8, first 2 shown]
	v_fma_f64 v[110:111], -v[126:127], v[38:39], v[110:111]
	v_fmac_f64_e32 v[10:11], v[124:125], v[38:39]
	v_fma_f64 v[108:109], -v[130:131], v[38:39], v[108:109]
	v_fmac_f64_e32 v[12:13], v[128:129], v[38:39]
	;; [unrolled: 2-line block ×4, first 2 shown]
	global_load_b128 v[36:39], v1, s[4:5] offset:48 scale_offset
	s_clause 0x1
	global_load_b128 v[40:43], v[22:23], off offset:24592
	global_load_b128 v[100:103], v[22:23], off offset:24576
	v_cvt_f64_f32_e32 v[124:125], v44
	v_cvt_f64_f32_e32 v[126:127], v45
	;; [unrolled: 1-line block ×6, first 2 shown]
	s_wait_xcnt 0x2
	v_subrev_nc_u32_e32 v1, s12, v140
	s_delay_alu instid0(VALU_DEP_1)
	v_lshlrev_b32_e32 v1, 2, v1
	v_fmac_f64_e32 v[110:111], v[112:113], v[28:29]
	v_fmac_f64_e32 v[10:11], v[114:115], v[28:29]
	v_fmac_f64_e32 v[108:109], v[116:117], v[28:29]
	v_fmac_f64_e32 v[12:13], v[118:119], v[28:29]
	v_fmac_f64_e32 v[32:33], v[120:121], v[28:29]
	v_fmac_f64_e32 v[14:15], v[104:105], v[28:29]
	v_fmac_f64_e32 v[24:25], v[122:123], v[28:29]
	v_fmac_f64_e32 v[16:17], v[106:107], v[28:29]
	v_fma_f64 v[110:111], -v[114:115], v[30:31], v[110:111]
	v_fmac_f64_e32 v[10:11], v[112:113], v[30:31]
	v_fma_f64 v[108:109], -v[118:119], v[30:31], v[108:109]
	v_fmac_f64_e32 v[12:13], v[116:117], v[30:31]
	;; [unrolled: 2-line block ×4, first 2 shown]
	s_clause 0x1
	global_load_b128 v[28:31], v1, s[4:5] offset:16 scale_offset
	global_load_b128 v[44:47], v1, s[4:5] scale_offset
	s_clause 0x1
	global_load_b128 v[48:51], v[22:23], off offset:24624
	global_load_b128 v[104:107], v[22:23], off offset:24608
	s_wait_loadcnt 0x11
	v_cvt_f64_f32_e32 v[112:113], v56
	v_cvt_f64_f32_e32 v[114:115], v57
	;; [unrolled: 1-line block ×4, first 2 shown]
	s_wait_loadcnt 0x10
	v_cvt_f64_f32_e32 v[120:121], v60
	v_cvt_f64_f32_e32 v[60:61], v61
	;; [unrolled: 1-line block ×4, first 2 shown]
	v_fmac_f64_e32 v[110:111], v[124:125], v[52:53]
	v_fmac_f64_e32 v[10:11], v[126:127], v[52:53]
	;; [unrolled: 1-line block ×8, first 2 shown]
	v_fma_f64 v[110:111], -v[126:127], v[54:55], v[110:111]
	v_fmac_f64_e32 v[10:11], v[124:125], v[54:55]
	v_fma_f64 v[108:109], -v[130:131], v[54:55], v[108:109]
	v_fmac_f64_e32 v[12:13], v[128:129], v[54:55]
	;; [unrolled: 2-line block ×4, first 2 shown]
	s_clause 0x1
	global_load_b128 v[52:55], v[22:23], off offset:24656
	global_load_b128 v[56:59], v[22:23], off offset:24640
	s_wait_loadcnt 0x10
	v_cvt_f64_f32_e32 v[124:125], v68
	v_cvt_f64_f32_e32 v[126:127], v69
	;; [unrolled: 1-line block ×4, first 2 shown]
	s_wait_loadcnt 0xf
	v_cvt_f64_f32_e32 v[132:133], v72
	v_cvt_f64_f32_e32 v[134:135], v73
	;; [unrolled: 1-line block ×4, first 2 shown]
	v_fmac_f64_e32 v[110:111], v[112:113], v[64:65]
	v_fmac_f64_e32 v[10:11], v[114:115], v[64:65]
	;; [unrolled: 1-line block ×8, first 2 shown]
	v_fma_f64 v[110:111], -v[114:115], v[66:67], v[110:111]
	v_fmac_f64_e32 v[10:11], v[112:113], v[66:67]
	v_fma_f64 v[108:109], -v[118:119], v[66:67], v[108:109]
	v_fmac_f64_e32 v[12:13], v[116:117], v[66:67]
	v_fma_f64 v[32:33], -v[60:61], v[66:67], v[32:33]
	v_fmac_f64_e32 v[14:15], v[120:121], v[66:67]
	v_fma_f64 v[24:25], -v[62:63], v[66:67], v[24:25]
	v_fmac_f64_e32 v[16:17], v[122:123], v[66:67]
	s_clause 0x1
	global_load_b128 v[60:63], v1, s[4:5] offset:48 scale_offset
	global_load_b128 v[64:67], v1, s[4:5] offset:32 scale_offset
	s_clause 0x1
	global_load_b128 v[68:71], v[22:23], off offset:24672
	global_load_b128 v[72:75], v[22:23], off offset:24688
	s_wait_loadcnt 0x11
	v_cvt_f64_f32_e32 v[112:113], v82
	v_cvt_f64_f32_e32 v[82:83], v83
	s_wait_loadcnt 0x10
	v_cvt_f64_f32_e32 v[114:115], v84
	v_cvt_f64_f32_e32 v[84:85], v85
	;; [unrolled: 1-line block ×4, first 2 shown]
	s_wait_xcnt 0x0
	v_add_nc_u64_e32 v[22:23], 0x8000, v[22:23]
	v_fmac_f64_e32 v[110:111], v[124:125], v[76:77]
	v_fmac_f64_e32 v[10:11], v[126:127], v[76:77]
	;; [unrolled: 1-line block ×8, first 2 shown]
	v_cvt_f64_f32_e32 v[76:77], v80
	v_cvt_f64_f32_e32 v[80:81], v81
	v_fma_f64 v[110:111], -v[126:127], v[78:79], v[110:111]
	v_fmac_f64_e32 v[10:11], v[124:125], v[78:79]
	v_fma_f64 v[108:109], -v[130:131], v[78:79], v[108:109]
	v_fmac_f64_e32 v[12:13], v[128:129], v[78:79]
	;; [unrolled: 2-line block ×4, first 2 shown]
	s_wait_loadcnt 0xe
	v_cvt_f64_f32_e32 v[78:79], v92
	s_wait_loadcnt 0xd
	v_cvt_f64_f32_e32 v[118:119], v96
	v_cvt_f64_f32_e32 v[96:97], v97
	;; [unrolled: 1-line block ×4, first 2 shown]
	v_fmac_f64_e32 v[110:111], v[76:77], v[88:89]
	v_fmac_f64_e32 v[10:11], v[80:81], v[88:89]
	;; [unrolled: 1-line block ×8, first 2 shown]
	v_cvt_f64_f32_e32 v[88:89], v93
	v_cvt_f64_f32_e32 v[92:93], v94
	v_cvt_f64_f32_e32 v[94:95], v95
	v_fma_f64 v[80:81], -v[80:81], v[90:91], v[110:111]
	v_fmac_f64_e32 v[10:11], v[76:77], v[90:91]
	v_fma_f64 v[76:77], -v[82:83], v[90:91], v[108:109]
	v_fmac_f64_e32 v[12:13], v[112:113], v[90:91]
	;; [unrolled: 2-line block ×4, first 2 shown]
	s_wait_loadcnt 0xb
	v_cvt_f64_f32_e32 v[90:91], v40
	s_wait_loadcnt 0xa
	v_cvt_f64_f32_e32 v[82:83], v101
	v_cvt_f64_f32_e32 v[84:85], v102
	;; [unrolled: 1-line block ×4, first 2 shown]
	v_fmac_f64_e32 v[80:81], v[78:79], v[36:37]
	v_fmac_f64_e32 v[10:11], v[88:89], v[36:37]
	;; [unrolled: 1-line block ×8, first 2 shown]
	v_cvt_f64_f32_e32 v[36:37], v100
	v_cvt_f64_f32_e32 v[100:101], v42
	;; [unrolled: 1-line block ×3, first 2 shown]
	v_fma_f64 v[80:81], -v[88:89], v[38:39], v[80:81]
	v_fmac_f64_e32 v[10:11], v[78:79], v[38:39]
	v_fma_f64 v[76:77], -v[94:95], v[38:39], v[76:77]
	v_fmac_f64_e32 v[12:13], v[92:93], v[38:39]
	;; [unrolled: 2-line block ×4, first 2 shown]
	s_wait_loadcnt 0x7
	v_cvt_f64_f32_e32 v[92:93], v48
	s_wait_loadcnt 0x6
	v_cvt_f64_f32_e32 v[38:39], v104
	v_cvt_f64_f32_e32 v[78:79], v106
	;; [unrolled: 1-line block ×6, first 2 shown]
	v_fmac_f64_e32 v[80:81], v[36:37], v[44:45]
	v_fmac_f64_e32 v[10:11], v[82:83], v[44:45]
	;; [unrolled: 1-line block ×8, first 2 shown]
	v_cvt_f64_f32_e32 v[44:45], v105
	v_fma_f64 v[80:81], -v[82:83], v[46:47], v[80:81]
	v_fmac_f64_e32 v[10:11], v[36:37], v[46:47]
	v_fma_f64 v[36:37], -v[86:87], v[46:47], v[76:77]
	v_fmac_f64_e32 v[12:13], v[84:85], v[46:47]
	;; [unrolled: 2-line block ×4, first 2 shown]
	s_wait_loadcnt 0x4
	v_cvt_f64_f32_e32 v[40:41], v57
	v_cvt_f64_f32_e32 v[42:43], v58
	;; [unrolled: 1-line block ×5, first 2 shown]
	v_fmac_f64_e32 v[80:81], v[38:39], v[28:29]
	v_fmac_f64_e32 v[10:11], v[44:45], v[28:29]
	;; [unrolled: 1-line block ×8, first 2 shown]
	v_cvt_f64_f32_e32 v[28:29], v56
	v_cvt_f64_f32_e32 v[56:57], v52
	v_cvt_f64_f32_e32 v[52:53], v53
	v_fma_f64 v[44:45], -v[44:45], v[30:31], v[80:81]
	v_fmac_f64_e32 v[10:11], v[38:39], v[30:31]
	v_fma_f64 v[36:37], -v[88:89], v[30:31], v[36:37]
	v_fmac_f64_e32 v[12:13], v[78:79], v[30:31]
	;; [unrolled: 2-line block ×4, first 2 shown]
	s_wait_loadcnt 0x1
	v_cvt_f64_f32_e32 v[30:31], v68
	v_cvt_f64_f32_e32 v[38:39], v69
	v_cvt_f64_f32_e32 v[48:49], v70
	v_cvt_f64_f32_e32 v[50:51], v71
	s_wait_loadcnt 0x0
	v_cvt_f64_f32_e32 v[68:69], v73
	v_cvt_f64_f32_e32 v[70:71], v74
	v_fmac_f64_e32 v[44:45], v[28:29], v[64:65]
	v_fmac_f64_e32 v[10:11], v[40:41], v[64:65]
	;; [unrolled: 1-line block ×8, first 2 shown]
	v_cvt_f64_f32_e32 v[64:65], v72
	v_cvt_f64_f32_e32 v[72:73], v75
	v_fma_f64 v[40:41], -v[40:41], v[66:67], v[44:45]
	v_fmac_f64_e32 v[10:11], v[28:29], v[66:67]
	v_fma_f64 v[36:37], -v[46:47], v[66:67], v[36:37]
	v_fmac_f64_e32 v[12:13], v[42:43], v[66:67]
	;; [unrolled: 2-line block ×4, first 2 shown]
	v_fmac_f64_e32 v[40:41], v[30:31], v[60:61]
	v_fmac_f64_e32 v[10:11], v[38:39], v[60:61]
	;; [unrolled: 1-line block ×8, first 2 shown]
	v_fma_f64 v[28:29], -v[38:39], v[62:63], v[40:41]
	v_fmac_f64_e32 v[10:11], v[30:31], v[62:63]
	v_fma_f64 v[30:31], -v[50:51], v[62:63], v[36:37]
	v_fmac_f64_e32 v[12:13], v[48:49], v[62:63]
	v_fma_f64 v[32:33], -v[68:69], v[62:63], v[32:33]
	v_fmac_f64_e32 v[14:15], v[64:65], v[62:63]
	v_fma_f64 v[24:25], -v[72:73], v[62:63], v[24:25]
	v_fmac_f64_e32 v[16:17], v[70:71], v[62:63]
	s_and_not1_b32 exec_lo, exec_lo, s6
	s_cbranch_execnz .LBB174_31
; %bb.32:
	s_or_b32 exec_lo, exec_lo, s6
.LBB174_33:
	s_delay_alu instid0(SALU_CYCLE_1)
	s_or_b32 exec_lo, exec_lo, s2
.LBB174_34:
	s_delay_alu instid0(SALU_CYCLE_1)
	s_or_b32 exec_lo, exec_lo, s3
.LBB174_35:
	v_mbcnt_lo_u32_b32 v1, -1, 0
	s_delay_alu instid0(VALU_DEP_1) | instskip(NEXT) | instid1(VALU_DEP_1)
	v_or_b32_e32 v18, 32, v1
	v_cmp_gt_i32_e32 vcc_lo, 32, v18
	v_cndmask_b32_e32 v18, v1, v18, vcc_lo
	s_delay_alu instid0(VALU_DEP_1)
	v_lshlrev_b32_e32 v27, 2, v18
	ds_bpermute_b32 v20, v27, v10
	ds_bpermute_b32 v21, v27, v11
	;; [unrolled: 1-line block ×6, first 2 shown]
	s_wait_dscnt 0x4
	v_add_f64_e32 v[10:11], v[10:11], v[20:21]
	s_wait_dscnt 0x2
	v_add_f64_e32 v[20:21], v[30:31], v[22:23]
	s_wait_dscnt 0x0
	v_add_f64_e32 v[22:23], v[32:33], v[36:37]
	ds_bpermute_b32 v18, v27, v28
	ds_bpermute_b32 v19, v27, v29
	;; [unrolled: 1-line block ×10, first 2 shown]
	v_xor_b32_e32 v27, 16, v1
	s_delay_alu instid0(VALU_DEP_1)
	v_cmp_gt_i32_e32 vcc_lo, 32, v27
	s_wait_dscnt 0x8
	v_add_f64_e32 v[18:19], v[28:29], v[18:19]
	v_cndmask_b32_e32 v27, v1, v27, vcc_lo
	s_wait_dscnt 0x6
	v_add_f64_e32 v[12:13], v[12:13], v[34:35]
	s_wait_dscnt 0x4
	v_add_f64_e32 v[14:15], v[14:15], v[38:39]
	s_wait_dscnt 0x2
	v_dual_add_f64 v[24:25], v[24:25], v[40:41] :: v_dual_lshlrev_b32 v27, 2, v27
	s_wait_dscnt 0x0
	v_add_f64_e32 v[16:17], v[16:17], v[42:43]
	ds_bpermute_b32 v30, v27, v10
	ds_bpermute_b32 v31, v27, v11
	;; [unrolled: 1-line block ×16, first 2 shown]
	s_wait_dscnt 0xe
	v_dual_add_f64 v[10:11], v[10:11], v[30:31] :: v_dual_bitop2_b32 v27, 8, v1 bitop3:0x14
	s_delay_alu instid0(VALU_DEP_1)
	v_cmp_gt_i32_e32 vcc_lo, 32, v27
	s_wait_dscnt 0xa
	v_dual_add_f64 v[22:23], v[22:23], v[36:37] :: v_dual_cndmask_b32 v27, v1, v27, vcc_lo
	s_wait_dscnt 0x8
	v_add_f64_e32 v[18:19], v[18:19], v[28:29]
	v_add_f64_e32 v[20:21], v[20:21], v[32:33]
	s_wait_dscnt 0x6
	v_add_f64_e32 v[12:13], v[12:13], v[34:35]
	s_wait_dscnt 0x4
	;; [unrolled: 2-line block ×3, first 2 shown]
	v_dual_add_f64 v[24:25], v[24:25], v[40:41] :: v_dual_lshlrev_b32 v27, 2, v27
	s_wait_dscnt 0x0
	v_add_f64_e32 v[16:17], v[16:17], v[42:43]
	ds_bpermute_b32 v30, v27, v10
	ds_bpermute_b32 v31, v27, v11
	;; [unrolled: 1-line block ×16, first 2 shown]
	s_wait_dscnt 0xe
	v_dual_add_f64 v[10:11], v[10:11], v[30:31] :: v_dual_bitop2_b32 v27, 4, v1 bitop3:0x14
	s_delay_alu instid0(VALU_DEP_1) | instskip(SKIP_4) | instid1(VALU_DEP_2)
	v_cmp_gt_i32_e32 vcc_lo, 32, v27
	s_wait_dscnt 0xa
	v_dual_add_f64 v[18:19], v[18:19], v[28:29] :: v_dual_cndmask_b32 v27, v1, v27, vcc_lo
	s_wait_dscnt 0x6
	v_add_f64_e32 v[12:13], v[12:13], v[34:35]
	v_lshlrev_b32_e32 v27, 2, v27
	s_wait_dscnt 0x4
	v_add_f64_e32 v[14:15], v[14:15], v[38:39]
	s_wait_dscnt 0x2
	v_add_f64_e32 v[24:25], v[24:25], v[40:41]
	;; [unrolled: 2-line block ×3, first 2 shown]
	ds_bpermute_b32 v30, v27, v10
	ds_bpermute_b32 v31, v27, v11
	;; [unrolled: 1-line block ×12, first 2 shown]
	s_wait_dscnt 0x8
	v_add_f64_e32 v[18:19], v[18:19], v[28:29]
	v_dual_add_f64 v[28:29], v[10:11], v[30:31] :: v_dual_bitop2_b32 v10, 2, v1 bitop3:0x14
	s_delay_alu instid0(VALU_DEP_1)
	v_cmp_gt_i32_e32 vcc_lo, 32, v10
	v_dual_add_f64 v[22:23], v[22:23], v[36:37] :: v_dual_cndmask_b32 v10, v1, v10, vcc_lo
	v_add_f64_e32 v[20:21], v[20:21], v[32:33]
	ds_bpermute_b32 v36, v27, v22
	ds_bpermute_b32 v37, v27, v23
	s_wait_dscnt 0x0
	v_add_f64_e32 v[22:23], v[22:23], v[36:37]
	v_dual_add_f64 v[36:37], v[24:25], v[40:41] :: v_dual_lshlrev_b32 v24, 2, v10
	ds_bpermute_b32 v32, v27, v20
	ds_bpermute_b32 v33, v27, v21
	s_wait_dscnt 0x0
	v_add_f64_e32 v[20:21], v[20:21], v[32:33]
	v_add_f64_e32 v[32:33], v[12:13], v[34:35]
	;; [unrolled: 1-line block ×4, first 2 shown]
	ds_bpermute_b32 v12, v24, v28
	ds_bpermute_b32 v13, v24, v29
	;; [unrolled: 1-line block ×6, first 2 shown]
	s_wait_dscnt 0x4
	v_add_f64_e32 v[30:31], v[28:29], v[12:13]
	ds_bpermute_b32 v14, v24, v20
	ds_bpermute_b32 v15, v24, v21
	;; [unrolled: 1-line block ×8, first 2 shown]
	s_wait_dscnt 0x6
	v_add_f64_e32 v[12:13], v[20:21], v[14:15]
	v_add_f64_e32 v[14:15], v[22:23], v[40:41]
	s_wait_dscnt 0x2
	v_dual_add_f64 v[20:21], v[34:35], v[42:43] :: v_dual_bitop2_b32 v22, 1, v1 bitop3:0x14
	s_delay_alu instid0(VALU_DEP_1)
	v_cmp_gt_i32_e32 vcc_lo, 32, v22
	v_cndmask_b32_e32 v1, v1, v22, vcc_lo
	ds_bpermute_b32 v10, v24, v18
	ds_bpermute_b32 v11, v24, v19
	v_add_f64_e32 v[24:25], v[32:33], v[16:17]
	v_add_f64_e32 v[16:17], v[36:37], v[44:45]
	v_lshlrev_b32_e32 v1, 2, v1
	v_cmp_eq_u32_e32 vcc_lo, 63, v0
	ds_bpermute_b32 v42, v1, v30
	ds_bpermute_b32 v43, v1, v31
	;; [unrolled: 1-line block ×4, first 2 shown]
	s_wait_dscnt 0x4
	v_add_f64_e32 v[10:11], v[18:19], v[10:11]
	v_add_f64_e32 v[18:19], v[38:39], v[46:47]
	ds_bpermute_b32 v32, v1, v14
	ds_bpermute_b32 v33, v1, v15
	;; [unrolled: 1-line block ×12, first 2 shown]
	s_and_b32 exec_lo, exec_lo, vcc_lo
	s_cbranch_execz .LBB174_8
; %bb.36:
	s_wait_dscnt 0xe
	v_add_f64_e32 v[0:1], v[30:31], v[42:43]
	s_wait_dscnt 0x6
	v_add_f64_e32 v[30:31], v[24:25], v[40:41]
	v_add_f64_e32 v[38:39], v[20:21], v[38:39]
	s_wait_dscnt 0x0
	v_add_f64_e32 v[36:37], v[18:19], v[36:37]
	v_add_f64_e32 v[40:41], v[10:11], v[22:23]
	;; [unrolled: 1-line block ×5, first 2 shown]
	v_cmp_eq_f64_e32 vcc_lo, 0, v[2:3]
	v_cmp_eq_f64_e64 s2, 0, v[4:5]
	s_load_b64 s[0:1], s[0:1], 0x60
	v_mul_f64_e64 v[22:23], v[0:1], -v[8:9]
	v_mul_f64_e32 v[24:25], v[6:7], v[0:1]
	v_mul_f64_e64 v[14:15], v[38:39], -v[8:9]
	v_mul_f64_e32 v[16:17], v[6:7], v[38:39]
	v_mul_f64_e64 v[10:11], v[36:37], -v[8:9]
	v_dual_mul_f64 v[12:13], v[6:7], v[36:37] :: v_dual_lshlrev_b32 v0, 2, v26
	v_mul_f64_e64 v[18:19], v[30:31], -v[8:9]
	v_mul_f64_e32 v[20:21], v[6:7], v[30:31]
	s_and_b32 s2, vcc_lo, s2
	v_fmac_f64_e32 v[22:23], v[6:7], v[40:41]
	v_fmac_f64_e32 v[24:25], v[8:9], v[40:41]
	;; [unrolled: 1-line block ×8, first 2 shown]
	s_and_saveexec_b32 s3, s2
	s_delay_alu instid0(SALU_CYCLE_1)
	s_xor_b32 s2, exec_lo, s3
	s_cbranch_execz .LBB174_38
; %bb.37:
	s_wait_kmcnt 0x0
	s_clause 0x3
	global_store_b128 v0, v[22:25], s[0:1] scale_offset
	global_store_b128 v0, v[18:21], s[0:1] offset:16 scale_offset
	global_store_b128 v0, v[14:17], s[0:1] offset:32 scale_offset
	;; [unrolled: 1-line block ×3, first 2 shown]
                                        ; implicit-def: $vgpr4_vgpr5
                                        ; implicit-def: $vgpr22_vgpr23
                                        ; implicit-def: $vgpr0
                                        ; implicit-def: $vgpr18_vgpr19
                                        ; implicit-def: $vgpr14_vgpr15
                                        ; implicit-def: $vgpr10_vgpr11
.LBB174_38:
	s_wait_xcnt 0x0
	s_and_not1_saveexec_b32 s2, s2
	s_cbranch_execz .LBB174_8
; %bb.39:
	s_wait_kmcnt 0x0
	s_clause 0x3
	global_load_b128 v[6:9], v0, s[0:1] scale_offset
	global_load_b128 v[26:29], v0, s[0:1] offset:16 scale_offset
	global_load_b128 v[30:33], v0, s[0:1] offset:32 scale_offset
	;; [unrolled: 1-line block ×3, first 2 shown]
	s_wait_loadcnt 0x3
	v_fmac_f64_e32 v[22:23], v[2:3], v[6:7]
	v_fmac_f64_e32 v[24:25], v[4:5], v[6:7]
	s_wait_loadcnt 0x2
	v_fmac_f64_e32 v[18:19], v[2:3], v[26:27]
	v_fmac_f64_e32 v[20:21], v[4:5], v[26:27]
	;; [unrolled: 3-line block ×4, first 2 shown]
	v_fma_f64 v[22:23], -v[4:5], v[8:9], v[22:23]
	v_fmac_f64_e32 v[24:25], v[2:3], v[8:9]
	v_fma_f64 v[18:19], -v[4:5], v[28:29], v[18:19]
	v_fmac_f64_e32 v[20:21], v[2:3], v[28:29]
	;; [unrolled: 2-line block ×4, first 2 shown]
	s_clause 0x3
	global_store_b128 v0, v[22:25], s[0:1] scale_offset
	global_store_b128 v0, v[18:21], s[0:1] offset:16 scale_offset
	global_store_b128 v0, v[14:17], s[0:1] offset:32 scale_offset
	;; [unrolled: 1-line block ×3, first 2 shown]
	s_sendmsg sendmsg(MSG_DEALLOC_VGPRS)
	s_endpgm
	.section	.rodata,"a",@progbits
	.p2align	6, 0x0
	.amdhsa_kernel _ZN9rocsparseL18bsrxmvn_4x4_kernelILj128ELj64E21rocsparse_complex_numIdEliS1_IfES2_S2_EEvT3_20rocsparse_direction_NS_24const_host_device_scalarIT1_EES4_PKS4_PKT2_SD_SA_PKT4_PKT5_S8_PT6_21rocsparse_index_base_b
		.amdhsa_group_segment_fixed_size 0
		.amdhsa_private_segment_fixed_size 0
		.amdhsa_kernarg_size 112
		.amdhsa_user_sgpr_count 2
		.amdhsa_user_sgpr_dispatch_ptr 0
		.amdhsa_user_sgpr_queue_ptr 0
		.amdhsa_user_sgpr_kernarg_segment_ptr 1
		.amdhsa_user_sgpr_dispatch_id 0
		.amdhsa_user_sgpr_kernarg_preload_length 0
		.amdhsa_user_sgpr_kernarg_preload_offset 0
		.amdhsa_user_sgpr_private_segment_size 0
		.amdhsa_wavefront_size32 1
		.amdhsa_uses_dynamic_stack 0
		.amdhsa_enable_private_segment 0
		.amdhsa_system_sgpr_workgroup_id_x 1
		.amdhsa_system_sgpr_workgroup_id_y 0
		.amdhsa_system_sgpr_workgroup_id_z 0
		.amdhsa_system_sgpr_workgroup_info 0
		.amdhsa_system_vgpr_workitem_id 0
		.amdhsa_next_free_vgpr 148
		.amdhsa_next_free_sgpr 14
		.amdhsa_named_barrier_count 0
		.amdhsa_reserve_vcc 1
		.amdhsa_float_round_mode_32 0
		.amdhsa_float_round_mode_16_64 0
		.amdhsa_float_denorm_mode_32 3
		.amdhsa_float_denorm_mode_16_64 3
		.amdhsa_fp16_overflow 0
		.amdhsa_memory_ordered 1
		.amdhsa_forward_progress 1
		.amdhsa_inst_pref_size 77
		.amdhsa_round_robin_scheduling 0
		.amdhsa_exception_fp_ieee_invalid_op 0
		.amdhsa_exception_fp_denorm_src 0
		.amdhsa_exception_fp_ieee_div_zero 0
		.amdhsa_exception_fp_ieee_overflow 0
		.amdhsa_exception_fp_ieee_underflow 0
		.amdhsa_exception_fp_ieee_inexact 0
		.amdhsa_exception_int_div_zero 0
	.end_amdhsa_kernel
	.section	.text._ZN9rocsparseL18bsrxmvn_4x4_kernelILj128ELj64E21rocsparse_complex_numIdEliS1_IfES2_S2_EEvT3_20rocsparse_direction_NS_24const_host_device_scalarIT1_EES4_PKS4_PKT2_SD_SA_PKT4_PKT5_S8_PT6_21rocsparse_index_base_b,"axG",@progbits,_ZN9rocsparseL18bsrxmvn_4x4_kernelILj128ELj64E21rocsparse_complex_numIdEliS1_IfES2_S2_EEvT3_20rocsparse_direction_NS_24const_host_device_scalarIT1_EES4_PKS4_PKT2_SD_SA_PKT4_PKT5_S8_PT6_21rocsparse_index_base_b,comdat
.Lfunc_end174:
	.size	_ZN9rocsparseL18bsrxmvn_4x4_kernelILj128ELj64E21rocsparse_complex_numIdEliS1_IfES2_S2_EEvT3_20rocsparse_direction_NS_24const_host_device_scalarIT1_EES4_PKS4_PKT2_SD_SA_PKT4_PKT5_S8_PT6_21rocsparse_index_base_b, .Lfunc_end174-_ZN9rocsparseL18bsrxmvn_4x4_kernelILj128ELj64E21rocsparse_complex_numIdEliS1_IfES2_S2_EEvT3_20rocsparse_direction_NS_24const_host_device_scalarIT1_EES4_PKS4_PKT2_SD_SA_PKT4_PKT5_S8_PT6_21rocsparse_index_base_b
                                        ; -- End function
	.set _ZN9rocsparseL18bsrxmvn_4x4_kernelILj128ELj64E21rocsparse_complex_numIdEliS1_IfES2_S2_EEvT3_20rocsparse_direction_NS_24const_host_device_scalarIT1_EES4_PKS4_PKT2_SD_SA_PKT4_PKT5_S8_PT6_21rocsparse_index_base_b.num_vgpr, 148
	.set _ZN9rocsparseL18bsrxmvn_4x4_kernelILj128ELj64E21rocsparse_complex_numIdEliS1_IfES2_S2_EEvT3_20rocsparse_direction_NS_24const_host_device_scalarIT1_EES4_PKS4_PKT2_SD_SA_PKT4_PKT5_S8_PT6_21rocsparse_index_base_b.num_agpr, 0
	.set _ZN9rocsparseL18bsrxmvn_4x4_kernelILj128ELj64E21rocsparse_complex_numIdEliS1_IfES2_S2_EEvT3_20rocsparse_direction_NS_24const_host_device_scalarIT1_EES4_PKS4_PKT2_SD_SA_PKT4_PKT5_S8_PT6_21rocsparse_index_base_b.numbered_sgpr, 14
	.set _ZN9rocsparseL18bsrxmvn_4x4_kernelILj128ELj64E21rocsparse_complex_numIdEliS1_IfES2_S2_EEvT3_20rocsparse_direction_NS_24const_host_device_scalarIT1_EES4_PKS4_PKT2_SD_SA_PKT4_PKT5_S8_PT6_21rocsparse_index_base_b.num_named_barrier, 0
	.set _ZN9rocsparseL18bsrxmvn_4x4_kernelILj128ELj64E21rocsparse_complex_numIdEliS1_IfES2_S2_EEvT3_20rocsparse_direction_NS_24const_host_device_scalarIT1_EES4_PKS4_PKT2_SD_SA_PKT4_PKT5_S8_PT6_21rocsparse_index_base_b.private_seg_size, 0
	.set _ZN9rocsparseL18bsrxmvn_4x4_kernelILj128ELj64E21rocsparse_complex_numIdEliS1_IfES2_S2_EEvT3_20rocsparse_direction_NS_24const_host_device_scalarIT1_EES4_PKS4_PKT2_SD_SA_PKT4_PKT5_S8_PT6_21rocsparse_index_base_b.uses_vcc, 1
	.set _ZN9rocsparseL18bsrxmvn_4x4_kernelILj128ELj64E21rocsparse_complex_numIdEliS1_IfES2_S2_EEvT3_20rocsparse_direction_NS_24const_host_device_scalarIT1_EES4_PKS4_PKT2_SD_SA_PKT4_PKT5_S8_PT6_21rocsparse_index_base_b.uses_flat_scratch, 0
	.set _ZN9rocsparseL18bsrxmvn_4x4_kernelILj128ELj64E21rocsparse_complex_numIdEliS1_IfES2_S2_EEvT3_20rocsparse_direction_NS_24const_host_device_scalarIT1_EES4_PKS4_PKT2_SD_SA_PKT4_PKT5_S8_PT6_21rocsparse_index_base_b.has_dyn_sized_stack, 0
	.set _ZN9rocsparseL18bsrxmvn_4x4_kernelILj128ELj64E21rocsparse_complex_numIdEliS1_IfES2_S2_EEvT3_20rocsparse_direction_NS_24const_host_device_scalarIT1_EES4_PKS4_PKT2_SD_SA_PKT4_PKT5_S8_PT6_21rocsparse_index_base_b.has_recursion, 0
	.set _ZN9rocsparseL18bsrxmvn_4x4_kernelILj128ELj64E21rocsparse_complex_numIdEliS1_IfES2_S2_EEvT3_20rocsparse_direction_NS_24const_host_device_scalarIT1_EES4_PKS4_PKT2_SD_SA_PKT4_PKT5_S8_PT6_21rocsparse_index_base_b.has_indirect_call, 0
	.section	.AMDGPU.csdata,"",@progbits
; Kernel info:
; codeLenInByte = 9744
; TotalNumSgprs: 16
; NumVgprs: 148
; ScratchSize: 0
; MemoryBound: 0
; FloatMode: 240
; IeeeMode: 1
; LDSByteSize: 0 bytes/workgroup (compile time only)
; SGPRBlocks: 0
; VGPRBlocks: 9
; NumSGPRsForWavesPerEU: 16
; NumVGPRsForWavesPerEU: 148
; NamedBarCnt: 0
; Occupancy: 6
; WaveLimiterHint : 1
; COMPUTE_PGM_RSRC2:SCRATCH_EN: 0
; COMPUTE_PGM_RSRC2:USER_SGPR: 2
; COMPUTE_PGM_RSRC2:TRAP_HANDLER: 0
; COMPUTE_PGM_RSRC2:TGID_X_EN: 1
; COMPUTE_PGM_RSRC2:TGID_Y_EN: 0
; COMPUTE_PGM_RSRC2:TGID_Z_EN: 0
; COMPUTE_PGM_RSRC2:TIDIG_COMP_CNT: 0
	.section	.text._ZN9rocsparseL18bsrxmvn_4x4_kernelILj128ELj4E21rocsparse_complex_numIdEllS1_IfES2_S2_EEvT3_20rocsparse_direction_NS_24const_host_device_scalarIT1_EES4_PKS4_PKT2_SD_SA_PKT4_PKT5_S8_PT6_21rocsparse_index_base_b,"axG",@progbits,_ZN9rocsparseL18bsrxmvn_4x4_kernelILj128ELj4E21rocsparse_complex_numIdEllS1_IfES2_S2_EEvT3_20rocsparse_direction_NS_24const_host_device_scalarIT1_EES4_PKS4_PKT2_SD_SA_PKT4_PKT5_S8_PT6_21rocsparse_index_base_b,comdat
	.globl	_ZN9rocsparseL18bsrxmvn_4x4_kernelILj128ELj4E21rocsparse_complex_numIdEllS1_IfES2_S2_EEvT3_20rocsparse_direction_NS_24const_host_device_scalarIT1_EES4_PKS4_PKT2_SD_SA_PKT4_PKT5_S8_PT6_21rocsparse_index_base_b ; -- Begin function _ZN9rocsparseL18bsrxmvn_4x4_kernelILj128ELj4E21rocsparse_complex_numIdEllS1_IfES2_S2_EEvT3_20rocsparse_direction_NS_24const_host_device_scalarIT1_EES4_PKS4_PKT2_SD_SA_PKT4_PKT5_S8_PT6_21rocsparse_index_base_b
	.p2align	8
	.type	_ZN9rocsparseL18bsrxmvn_4x4_kernelILj128ELj4E21rocsparse_complex_numIdEllS1_IfES2_S2_EEvT3_20rocsparse_direction_NS_24const_host_device_scalarIT1_EES4_PKS4_PKT2_SD_SA_PKT4_PKT5_S8_PT6_21rocsparse_index_base_b,@function
_ZN9rocsparseL18bsrxmvn_4x4_kernelILj128ELj4E21rocsparse_complex_numIdEllS1_IfES2_S2_EEvT3_20rocsparse_direction_NS_24const_host_device_scalarIT1_EES4_PKS4_PKT2_SD_SA_PKT4_PKT5_S8_PT6_21rocsparse_index_base_b: ; @_ZN9rocsparseL18bsrxmvn_4x4_kernelILj128ELj4E21rocsparse_complex_numIdEllS1_IfES2_S2_EEvT3_20rocsparse_direction_NS_24const_host_device_scalarIT1_EES4_PKS4_PKT2_SD_SA_PKT4_PKT5_S8_PT6_21rocsparse_index_base_b
; %bb.0:
	s_clause 0x1
	s_load_b64 s[4:5], s[0:1], 0x70
	s_load_b64 s[2:3], s[0:1], 0x10
	v_mov_b32_e32 v1, 0
	s_add_nc_u64 s[6:7], s[0:1], 16
	s_load_b64 s[8:9], s[0:1], 0x58
	s_wait_kmcnt 0x0
	s_bitcmp1_b32 s5, 0
	s_cselect_b32 s3, s7, s3
	s_cselect_b32 s2, s6, s2
	flat_load_b128 v[6:9], v1, s[2:3]
	s_wait_xcnt 0x0
	s_add_nc_u64 s[2:3], s[0:1], 0x58
	s_delay_alu instid0(SALU_CYCLE_1)
	s_cselect_b32 s3, s3, s9
	s_cselect_b32 s2, s2, s8
	flat_load_b128 v[2:5], v1, s[2:3]
	s_wait_loadcnt_dscnt 0x101
	v_cmp_eq_f64_e32 vcc_lo, 0, v[6:7]
	s_wait_xcnt 0x0
	v_cmp_eq_f64_e64 s2, 0, v[8:9]
	s_and_b32 s5, vcc_lo, s2
	s_mov_b32 s2, -1
	s_and_saveexec_b32 s3, s5
	s_cbranch_execz .LBB175_2
; %bb.1:
	s_wait_loadcnt_dscnt 0x0
	v_cmp_neq_f64_e32 vcc_lo, 1.0, v[2:3]
	v_cmp_neq_f64_e64 s2, 0, v[4:5]
	s_or_b32 s2, vcc_lo, s2
	s_delay_alu instid0(SALU_CYCLE_1)
	s_or_not1_b32 s2, s2, exec_lo
.LBB175_2:
	s_or_b32 exec_lo, exec_lo, s3
	s_and_saveexec_b32 s3, s2
	s_cbranch_execz .LBB175_8
; %bb.3:
	s_load_b64 s[2:3], s[0:1], 0x28
	s_bfe_u32 s5, ttmp6, 0x4000c
	s_and_b32 s6, ttmp6, 15
	s_add_co_i32 s5, s5, 1
	s_getreg_b32 s7, hwreg(HW_REG_IB_STS2, 6, 4)
	s_mul_i32 s5, ttmp9, s5
	v_dual_lshrrev_b32 v1, 2, v0 :: v_dual_mov_b32 v13, 0
	s_add_co_i32 s6, s6, s5
	s_cmp_eq_u32 s7, 0
	s_cselect_b32 s5, ttmp9, s6
	s_mov_b32 s6, 0
	v_lshl_or_b32 v12, s5, 5, v1
	s_wait_kmcnt 0x0
	s_cmp_lg_u64 s[2:3], 0
	s_cbranch_scc0 .LBB175_9
; %bb.4:
	s_load_b64 s[6:7], s[0:1], 0x20
                                        ; implicit-def: $vgpr26_vgpr27
                                        ; implicit-def: $vgpr10_vgpr11
	s_wait_kmcnt 0x0
	v_cmp_gt_i64_e32 vcc_lo, s[6:7], v[12:13]
	s_mov_b32 s7, 0
	s_mov_b32 s6, 0
	s_and_saveexec_b32 s5, vcc_lo
	s_delay_alu instid0(SALU_CYCLE_1)
	s_xor_b32 s8, exec_lo, s5
	s_cbranch_execz .LBB175_6
; %bb.5:
	v_lshl_add_u64 v[10:11], v[12:13], 3, s[2:3]
	s_mov_b32 s5, 0
	s_mov_b32 s6, exec_lo
	global_load_b64 v[10:11], v[10:11], off
	s_wait_loadcnt 0x0
	v_sub_nc_u64_e64 v[26:27], v[10:11], s[4:5]
	v_mov_b64_e32 v[10:11], s[4:5]
.LBB175_6:
	s_or_b32 exec_lo, exec_lo, s8
	s_delay_alu instid0(SALU_CYCLE_1)
	s_and_b32 vcc_lo, exec_lo, s7
	s_cbranch_vccnz .LBB175_10
.LBB175_7:
	s_and_b32 exec_lo, exec_lo, s6
	s_cbranch_execnz .LBB175_13
.LBB175_8:
	s_sendmsg sendmsg(MSG_DEALLOC_VGPRS)
	s_endpgm
.LBB175_9:
                                        ; implicit-def: $vgpr26_vgpr27
                                        ; implicit-def: $vgpr10_vgpr11
	s_cbranch_execz .LBB175_7
.LBB175_10:
	s_load_b64 s[2:3], s[0:1], 0x0
	s_wait_kmcnt 0x0
	v_cmp_gt_i64_e32 vcc_lo, s[2:3], v[12:13]
	s_and_saveexec_b32 s2, vcc_lo
; %bb.11:
	s_mov_b32 s5, 0
	s_or_b32 s6, s6, exec_lo
; %bb.12:
	s_or_b32 exec_lo, exec_lo, s2
	v_mov_b64_e32 v[10:11], s[4:5]
	v_mov_b64_e32 v[26:27], v[12:13]
	s_and_b32 exec_lo, exec_lo, s6
	s_cbranch_execz .LBB175_8
.LBB175_13:
	s_load_b256 s[4:11], s[0:1], 0x30
	s_delay_alu instid0(VALU_DEP_1) | instskip(SKIP_3) | instid1(VALU_DEP_2)
	v_lshlrev_b64_e32 v[12:13], 3, v[26:27]
	v_dual_mov_b32 v1, 0 :: v_dual_bitop2_b32 v0, 3, v0 bitop3:0x40
	s_load_b32 s3, s[0:1], 0x8
	s_wait_kmcnt 0x0
	v_add_nc_u64_e32 v[14:15], s[4:5], v[12:13]
	v_add_nc_u64_e32 v[12:13], s[6:7], v[12:13]
	s_cmp_eq_u64 s[6:7], 0
	s_load_b64 s[4:5], s[0:1], 0x50
	s_cselect_b32 vcc_lo, -1, 0
	s_cmp_eq_u32 s3, 1
	global_load_b64 v[36:37], v[14:15], off
	s_wait_xcnt 0x0
	v_add_nc_u64_e32 v[14:15], 8, v[14:15]
	s_delay_alu instid0(VALU_DEP_1) | instskip(SKIP_3) | instid1(VALU_DEP_1)
	v_dual_cndmask_b32 v13, v13, v15 :: v_dual_cndmask_b32 v12, v12, v14
	global_load_b64 v[12:13], v[12:13], off
	s_wait_loadcnt 0x1
	v_sub_nc_u64_e32 v[14:15], v[36:37], v[10:11]
	v_add_nc_u64_e32 v[14:15], v[14:15], v[0:1]
	s_wait_loadcnt 0x0
	v_sub_nc_u64_e32 v[16:17], v[12:13], v[10:11]
	s_delay_alu instid0(VALU_DEP_2) | instskip(NEXT) | instid1(VALU_DEP_2)
	v_lshlrev_b64_e32 v[18:19], 7, v[14:15]
	v_cmp_lt_i64_e64 s2, v[14:15], v[16:17]
	s_delay_alu instid0(VALU_DEP_2)
	v_add_nc_u64_e32 v[18:19], s[10:11], v[18:19]
	s_cbranch_scc1 .LBB175_25
; %bb.14:
	v_mov_b64_e32 v[12:13], 0
	v_mov_b64_e32 v[30:31], 0
	;; [unrolled: 1-line block ×8, first 2 shown]
	s_and_saveexec_b32 s3, s2
	s_cbranch_execz .LBB175_24
; %bb.15:
	v_dual_mov_b32 v13, v1 :: v_dual_bitop2_b32 v12, 4, v0 bitop3:0x54
	v_sub_nc_u64_e32 v[20:21], v[10:11], v[0:1]
	v_not_b32_e32 v23, v37
	v_not_b32_e32 v22, v36
	v_mov_b64_e32 v[28:29], 0
	v_sub_nc_u64_e32 v[12:13], v[12:13], v[10:11]
	v_mov_b64_e32 v[24:25], 0
	v_mov_b64_e32 v[34:35], 0
	v_add_nc_u64_e32 v[20:21], v[20:21], v[22:23]
	v_mov_b64_e32 v[22:23], 0
	v_mov_b64_e32 v[32:33], 0
	;; [unrolled: 1-line block ×3, first 2 shown]
	v_add_nc_u64_e32 v[12:13], v[12:13], v[36:37]
	v_mov_b64_e32 v[38:39], v[18:19]
	v_mov_b64_e32 v[40:41], v[14:15]
	s_mov_b32 s6, exec_lo
	s_delay_alu instid0(VALU_DEP_3) | instskip(NEXT) | instid1(VALU_DEP_1)
	v_max_i64 v[12:13], v[12:13], v[16:17]
	v_add_nc_u64_e32 v[42:43], v[20:21], v[12:13]
	v_mov_b64_e32 v[20:21], 0
	v_mov_b64_e32 v[12:13], 0
	s_delay_alu instid0(VALU_DEP_3) | instskip(NEXT) | instid1(VALU_DEP_1)
	v_dual_mov_b32 v47, 0 :: v_dual_bitop2_b32 v46, 12, v42 bitop3:0x40
	v_cmpx_ne_u64_e32 12, v[46:47]
	s_cbranch_execz .LBB175_19
; %bb.16:
	v_lshrrev_b32_e32 v12, 2, v42
	v_mov_b64_e32 v[30:31], 0
	v_mov_b64_e32 v[20:21], 0
	v_mov_b64_e32 v[32:33], 0
	v_mov_b64_e32 v[34:35], 0
	v_add_nc_u32_e32 v22, 1, v12
	v_mov_b64_e32 v[12:13], 0
	v_mov_b64_e32 v[24:25], 0
	;; [unrolled: 1-line block ×4, first 2 shown]
	v_and_b32_e32 v46, 3, v22
	v_mov_b64_e32 v[22:23], 0
	v_mov_b64_e32 v[38:39], v[18:19]
	v_lshl_add_u64 v[44:45], v[14:15], 3, s[8:9]
	s_mov_b32 s7, 0
	v_sub_nc_u64_e32 v[46:47], 0, v[46:47]
.LBB175_17:                             ; =>This Inner Loop Header: Depth=1
	global_load_b64 v[68:69], v[44:45], off
	s_clause 0x4
	global_load_b128 v[48:51], v[38:39], off
	global_load_b128 v[52:55], v[38:39], off offset:32
	global_load_b128 v[56:59], v[38:39], off offset:64
	;; [unrolled: 1-line block ×4, first 2 shown]
	v_add_nc_u64_e32 v[46:47], 1, v[46:47]
	v_add_nc_u64_e32 v[40:41], 4, v[40:41]
	s_wait_xcnt 0x5
	v_add_nc_u64_e32 v[44:45], 32, v[44:45]
	s_delay_alu instid0(VALU_DEP_3)
	v_cmp_eq_u64_e32 vcc_lo, 0, v[46:47]
	s_or_b32 s7, vcc_lo, s7
	s_wait_loadcnt 0x5
	v_sub_nc_u64_e32 v[68:69], v[68:69], v[10:11]
	s_wait_loadcnt 0x3
	v_cvt_f64_f32_e32 v[98:99], v52
	v_cvt_f64_f32_e32 v[52:53], v53
	s_wait_loadcnt 0x2
	v_cvt_f64_f32_e32 v[100:101], v56
	v_cvt_f64_f32_e32 v[56:57], v57
	s_wait_loadcnt 0x1
	v_cvt_f64_f32_e32 v[102:103], v60
	v_lshlrev_b64_e32 v[68:69], 6, v[68:69]
	v_cvt_f64_f32_e32 v[60:61], v61
	v_cvt_f64_f32_e32 v[104:105], v54
	v_cvt_f64_f32_e32 v[54:55], v55
	v_cvt_f64_f32_e32 v[106:107], v58
	v_cvt_f64_f32_e32 v[58:59], v59
	v_cvt_f64_f32_e32 v[108:109], v62
	s_wait_kmcnt 0x0
	v_add_nc_u64_e32 v[96:97], s[4:5], v[68:69]
	v_cvt_f64_f32_e32 v[62:63], v63
	s_clause 0x1
	global_load_b128 v[68:71], v[96:97], off
	global_load_b128 v[72:75], v[96:97], off offset:16
	s_clause 0x2
	global_load_b128 v[76:79], v[38:39], off offset:16
	global_load_b128 v[80:83], v[38:39], off offset:80
	;; [unrolled: 1-line block ×3, first 2 shown]
	s_clause 0x1
	global_load_b128 v[88:91], v[96:97], off offset:32
	global_load_b128 v[92:95], v[96:97], off offset:48
	s_wait_xcnt 0x0
	v_cvt_f64_f32_e32 v[96:97], v48
	v_cvt_f64_f32_e32 v[48:49], v49
	v_add_nc_u64_e32 v[38:39], 0x200, v[38:39]
	s_wait_loadcnt 0x6
	s_delay_alu instid0(VALU_DEP_3) | instskip(NEXT) | instid1(VALU_DEP_3)
	v_fmac_f64_e32 v[30:31], v[96:97], v[68:69]
	v_fmac_f64_e32 v[12:13], v[48:49], v[68:69]
	;; [unrolled: 1-line block ×8, first 2 shown]
	v_cvt_f64_f32_e32 v[68:69], v50
	v_cvt_f64_f32_e32 v[50:51], v51
	v_fma_f64 v[30:31], -v[48:49], v[70:71], v[30:31]
	v_fmac_f64_e32 v[12:13], v[96:97], v[70:71]
	v_fma_f64 v[32:33], -v[52:53], v[70:71], v[32:33]
	v_fmac_f64_e32 v[20:21], v[98:99], v[70:71]
	;; [unrolled: 2-line block ×4, first 2 shown]
	s_wait_loadcnt 0x4
	v_cvt_f64_f32_e32 v[48:49], v76
	v_cvt_f64_f32_e32 v[52:53], v77
	v_cvt_f64_f32_e32 v[56:57], v64
	v_cvt_f64_f32_e32 v[60:61], v65
	s_wait_loadcnt 0x3
	v_cvt_f64_f32_e32 v[64:65], v80
	v_cvt_f64_f32_e32 v[70:71], v81
	s_wait_loadcnt 0x2
	v_cvt_f64_f32_e32 v[76:77], v85
	v_fmac_f64_e32 v[30:31], v[68:69], v[72:73]
	v_fmac_f64_e32 v[12:13], v[50:51], v[72:73]
	;; [unrolled: 1-line block ×8, first 2 shown]
	v_cvt_f64_f32_e32 v[72:73], v84
	v_fma_f64 v[30:31], -v[50:51], v[74:75], v[30:31]
	v_fmac_f64_e32 v[12:13], v[68:69], v[74:75]
	v_fma_f64 v[32:33], -v[54:55], v[74:75], v[32:33]
	v_fmac_f64_e32 v[20:21], v[104:105], v[74:75]
	;; [unrolled: 2-line block ×4, first 2 shown]
	v_cvt_f64_f32_e32 v[50:51], v78
	v_cvt_f64_f32_e32 v[54:55], v79
	v_cvt_f64_f32_e32 v[58:59], v66
	v_cvt_f64_f32_e32 v[62:63], v67
	v_cvt_f64_f32_e32 v[66:67], v82
	v_cvt_f64_f32_e32 v[68:69], v83
	v_cvt_f64_f32_e32 v[74:75], v86
	v_cvt_f64_f32_e32 v[78:79], v87
	s_wait_loadcnt 0x1
	v_fmac_f64_e32 v[30:31], v[48:49], v[88:89]
	v_fmac_f64_e32 v[12:13], v[52:53], v[88:89]
	;; [unrolled: 1-line block ×8, first 2 shown]
	v_fma_f64 v[30:31], -v[52:53], v[90:91], v[30:31]
	v_fmac_f64_e32 v[12:13], v[48:49], v[90:91]
	v_fma_f64 v[32:33], -v[60:61], v[90:91], v[32:33]
	v_fmac_f64_e32 v[20:21], v[56:57], v[90:91]
	;; [unrolled: 2-line block ×4, first 2 shown]
	s_wait_loadcnt 0x0
	v_fmac_f64_e32 v[30:31], v[50:51], v[92:93]
	v_fmac_f64_e32 v[12:13], v[54:55], v[92:93]
	;; [unrolled: 1-line block ×8, first 2 shown]
	v_fma_f64 v[30:31], -v[54:55], v[94:95], v[30:31]
	v_fmac_f64_e32 v[12:13], v[50:51], v[94:95]
	v_fma_f64 v[32:33], -v[62:63], v[94:95], v[32:33]
	v_fmac_f64_e32 v[20:21], v[58:59], v[94:95]
	;; [unrolled: 2-line block ×4, first 2 shown]
	s_and_not1_b32 exec_lo, exec_lo, s7
	s_cbranch_execnz .LBB175_17
; %bb.18:
	s_or_b32 exec_lo, exec_lo, s7
.LBB175_19:
	s_delay_alu instid0(SALU_CYCLE_1) | instskip(NEXT) | instid1(SALU_CYCLE_1)
	s_or_b32 exec_lo, exec_lo, s6
	s_mov_b32 s6, exec_lo
	v_cmpx_lt_u64_e32 11, v[42:43]
	s_cbranch_execz .LBB175_23
; %bb.20:
	v_lshl_add_u64 v[42:43], v[40:41], 3, s[8:9]
	s_mov_b32 s7, 0
	s_delay_alu instid0(VALU_DEP_1)
	v_add_nc_u64_e32 v[42:43], 64, v[42:43]
.LBB175_21:                             ; =>This Inner Loop Header: Depth=1
	s_clause 0x1
	global_load_b64 v[60:61], v[42:43], off offset:-64
	global_load_b64 v[108:109], v[42:43], off offset:-32
	s_clause 0x3
	global_load_b128 v[44:47], v[38:39], off
	global_load_b128 v[48:51], v[38:39], off offset:32
	global_load_b128 v[52:55], v[38:39], off offset:64
	global_load_b128 v[56:59], v[38:39], off offset:96
	s_clause 0x1
	global_load_b64 v[132:133], v[42:43], off
	global_load_b64 v[134:135], v[42:43], off offset:32
	v_add_nc_u64_e32 v[40:41], 16, v[40:41]
	s_wait_xcnt 0x0
	v_add_nc_u64_e32 v[42:43], 0x80, v[42:43]
	s_delay_alu instid0(VALU_DEP_2)
	v_cmp_ge_i64_e32 vcc_lo, v[40:41], v[16:17]
	s_or_b32 s7, vcc_lo, s7
	s_wait_loadcnt 0x7
	v_sub_nc_u64_e32 v[60:61], v[60:61], v[10:11]
	s_wait_loadcnt 0x6
	v_sub_nc_u64_e32 v[108:109], v[108:109], v[10:11]
	s_wait_loadcnt 0x5
	v_cvt_f64_f32_e32 v[138:139], v44
	v_cvt_f64_f32_e32 v[44:45], v45
	s_wait_loadcnt 0x4
	v_cvt_f64_f32_e32 v[140:141], v48
	v_cvt_f64_f32_e32 v[48:49], v49
	s_wait_loadcnt 0x3
	v_cvt_f64_f32_e32 v[142:143], v52
	v_lshlrev_b64_e32 v[60:61], 6, v[60:61]
	v_lshlrev_b64_e32 v[108:109], 6, v[108:109]
	v_cvt_f64_f32_e32 v[52:53], v53
	s_wait_loadcnt 0x2
	v_cvt_f64_f32_e32 v[144:145], v56
	v_cvt_f64_f32_e32 v[56:57], v57
	;; [unrolled: 1-line block ×4, first 2 shown]
	s_wait_kmcnt 0x0
	v_add_nc_u64_e32 v[110:111], s[4:5], v[60:61]
	v_add_nc_u64_e32 v[136:137], s[4:5], v[108:109]
	v_cvt_f64_f32_e32 v[148:149], v54
	v_cvt_f64_f32_e32 v[54:55], v55
	;; [unrolled: 1-line block ×4, first 2 shown]
	s_clause 0x1
	global_load_b128 v[60:63], v[110:111], off
	global_load_b128 v[64:67], v[110:111], off offset:16
	s_clause 0x3
	global_load_b128 v[68:71], v[38:39], off offset:16
	global_load_b128 v[72:75], v[38:39], off offset:48
	;; [unrolled: 1-line block ×4, first 2 shown]
	s_clause 0x1
	global_load_b128 v[84:87], v[110:111], off offset:32
	global_load_b128 v[88:91], v[110:111], off offset:48
	s_clause 0x3
	global_load_b128 v[92:95], v[38:39], off offset:512
	global_load_b128 v[96:99], v[38:39], off offset:544
	;; [unrolled: 1-line block ×4, first 2 shown]
	s_clause 0x1
	global_load_b128 v[108:111], v[136:137], off
	global_load_b128 v[112:115], v[136:137], off offset:16
	s_clause 0x3
	global_load_b128 v[116:119], v[38:39], off offset:560
	global_load_b128 v[120:123], v[38:39], off offset:528
	;; [unrolled: 1-line block ×4, first 2 shown]
	s_wait_loadcnt 0x11
	v_fmac_f64_e32 v[30:31], v[138:139], v[60:61]
	v_fmac_f64_e32 v[12:13], v[44:45], v[60:61]
	;; [unrolled: 1-line block ×8, first 2 shown]
	v_cvt_f64_f32_e32 v[60:61], v46
	v_cvt_f64_f32_e32 v[46:47], v47
	v_fma_f64 v[44:45], -v[44:45], v[62:63], v[30:31]
	v_fmac_f64_e32 v[12:13], v[138:139], v[62:63]
	v_fma_f64 v[32:33], -v[48:49], v[62:63], v[32:33]
	v_fmac_f64_e32 v[20:21], v[140:141], v[62:63]
	;; [unrolled: 2-line block ×4, first 2 shown]
	global_load_b128 v[28:31], v[136:137], off offset:32
	s_wait_loadcnt 0x10
	v_cvt_f64_f32_e32 v[62:63], v68
	s_wait_loadcnt 0xe
	v_cvt_f64_f32_e32 v[138:139], v76
	v_cvt_f64_f32_e32 v[76:77], v77
	s_wait_loadcnt 0xd
	v_cvt_f64_f32_e32 v[140:141], v80
	v_cvt_f64_f32_e32 v[80:81], v81
	v_fmac_f64_e32 v[44:45], v[60:61], v[64:65]
	v_fmac_f64_e32 v[12:13], v[46:47], v[64:65]
	;; [unrolled: 1-line block ×8, first 2 shown]
	v_cvt_f64_f32_e32 v[64:65], v69
	v_cvt_f64_f32_e32 v[68:69], v72
	;; [unrolled: 1-line block ×3, first 2 shown]
	v_fma_f64 v[142:143], -v[46:47], v[66:67], v[44:45]
	v_fmac_f64_e32 v[12:13], v[60:61], v[66:67]
	v_fma_f64 v[60:61], -v[50:51], v[66:67], v[32:33]
	v_fmac_f64_e32 v[20:21], v[146:147], v[66:67]
	;; [unrolled: 2-line block ×4, first 2 shown]
	global_load_b128 v[32:35], v[136:137], off offset:48
	s_clause 0x3
	global_load_b128 v[44:47], v[38:39], off offset:1056
	global_load_b128 v[48:51], v[38:39], off offset:1024
	;; [unrolled: 1-line block ×4, first 2 shown]
	v_cvt_f64_f32_e32 v[66:67], v70
	v_cvt_f64_f32_e32 v[70:71], v71
	s_wait_xcnt 0x4
	v_cvt_f64_f32_e32 v[136:137], v78
	v_cvt_f64_f32_e32 v[78:79], v79
	;; [unrolled: 1-line block ×4, first 2 shown]
	s_wait_loadcnt 0x11
	v_fmac_f64_e32 v[142:143], v[62:63], v[84:85]
	v_fmac_f64_e32 v[12:13], v[64:65], v[84:85]
	;; [unrolled: 1-line block ×8, first 2 shown]
	v_cvt_f64_f32_e32 v[84:85], v74
	v_cvt_f64_f32_e32 v[74:75], v75
	v_fma_f64 v[64:65], -v[64:65], v[86:87], v[142:143]
	v_fmac_f64_e32 v[12:13], v[62:63], v[86:87]
	v_fma_f64 v[72:73], -v[72:73], v[86:87], v[60:61]
	v_fmac_f64_e32 v[20:21], v[68:69], v[86:87]
	v_fma_f64 v[68:69], -v[76:77], v[86:87], v[144:145]
	v_fmac_f64_e32 v[22:23], v[138:139], v[86:87]
	v_fma_f64 v[76:77], -v[80:81], v[86:87], v[146:147]
	v_fmac_f64_e32 v[24:25], v[140:141], v[86:87]
	v_sub_nc_u64_e32 v[60:61], v[132:133], v[10:11]
	s_wait_loadcnt 0xf
	v_cvt_f64_f32_e32 v[86:87], v92
	s_wait_loadcnt 0xd
	v_cvt_f64_f32_e32 v[138:139], v100
	v_cvt_f64_f32_e32 v[100:101], v101
	s_wait_loadcnt 0xc
	v_cvt_f64_f32_e32 v[140:141], v104
	v_cvt_f64_f32_e32 v[104:105], v105
	;; [unrolled: 1-line block ×3, first 2 shown]
	v_lshlrev_b64_e32 v[60:61], 6, v[60:61]
	v_cvt_f64_f32_e32 v[102:103], v103
	s_delay_alu instid0(VALU_DEP_2)
	v_add_nc_u64_e32 v[132:133], s[4:5], v[60:61]
	global_load_b128 v[60:63], v[132:133], off
	v_fmac_f64_e32 v[64:65], v[66:67], v[88:89]
	v_fmac_f64_e32 v[12:13], v[70:71], v[88:89]
	;; [unrolled: 1-line block ×8, first 2 shown]
	v_cvt_f64_f32_e32 v[88:89], v93
	v_cvt_f64_f32_e32 v[92:93], v96
	;; [unrolled: 1-line block ×3, first 2 shown]
	v_fma_f64 v[142:143], -v[70:71], v[90:91], v[64:65]
	v_fmac_f64_e32 v[12:13], v[66:67], v[90:91]
	v_fma_f64 v[144:145], -v[74:75], v[90:91], v[72:73]
	v_fmac_f64_e32 v[20:21], v[84:85], v[90:91]
	;; [unrolled: 2-line block ×4, first 2 shown]
	global_load_b128 v[64:67], v[132:133], off offset:16
	s_clause 0x3
	global_load_b128 v[68:71], v[38:39], off offset:1072
	global_load_b128 v[72:75], v[38:39], off offset:1040
	;; [unrolled: 1-line block ×4, first 2 shown]
	v_cvt_f64_f32_e32 v[90:91], v94
	v_cvt_f64_f32_e32 v[94:95], v95
	v_cvt_f64_f32_e32 v[148:149], v106
	v_cvt_f64_f32_e32 v[106:107], v107
	s_wait_loadcnt 0x11
	v_fmac_f64_e32 v[142:143], v[86:87], v[108:109]
	v_fmac_f64_e32 v[12:13], v[88:89], v[108:109]
	;; [unrolled: 1-line block ×8, first 2 shown]
	v_cvt_f64_f32_e32 v[108:109], v98
	v_cvt_f64_f32_e32 v[98:99], v99
	v_fma_f64 v[88:89], -v[88:89], v[110:111], v[142:143]
	v_fmac_f64_e32 v[12:13], v[86:87], v[110:111]
	v_fma_f64 v[96:97], -v[96:97], v[110:111], v[144:145]
	v_fmac_f64_e32 v[20:21], v[92:93], v[110:111]
	;; [unrolled: 2-line block ×4, first 2 shown]
	global_load_b128 v[84:87], v[132:133], off offset:32
	s_wait_loadcnt 0xf
	v_cvt_f64_f32_e32 v[110:111], v120
	s_wait_loadcnt 0xe
	v_cvt_f64_f32_e32 v[136:137], v124
	v_cvt_f64_f32_e32 v[124:125], v125
	s_wait_loadcnt 0xd
	v_cvt_f64_f32_e32 v[138:139], v128
	v_cvt_f64_f32_e32 v[128:129], v129
	v_fmac_f64_e32 v[88:89], v[90:91], v[112:113]
	v_fmac_f64_e32 v[12:13], v[94:95], v[112:113]
	;; [unrolled: 1-line block ×8, first 2 shown]
	v_cvt_f64_f32_e32 v[112:113], v121
	v_cvt_f64_f32_e32 v[120:121], v116
	;; [unrolled: 1-line block ×3, first 2 shown]
	v_fma_f64 v[140:141], -v[94:95], v[114:115], v[88:89]
	v_fmac_f64_e32 v[12:13], v[90:91], v[114:115]
	v_fma_f64 v[142:143], -v[98:99], v[114:115], v[96:97]
	v_fmac_f64_e32 v[20:21], v[108:109], v[114:115]
	;; [unrolled: 2-line block ×4, first 2 shown]
	global_load_b128 v[88:91], v[132:133], off offset:48
	s_clause 0x3
	global_load_b128 v[92:95], v[38:39], off offset:1568
	global_load_b128 v[96:99], v[38:39], off offset:1536
	;; [unrolled: 1-line block ×4, first 2 shown]
	v_cvt_f64_f32_e32 v[114:115], v122
	v_cvt_f64_f32_e32 v[122:123], v123
	s_wait_xcnt 0x4
	v_cvt_f64_f32_e32 v[132:133], v118
	v_cvt_f64_f32_e32 v[118:119], v119
	;; [unrolled: 1-line block ×6, first 2 shown]
	s_wait_loadcnt 0x11
	v_fmac_f64_e32 v[140:141], v[110:111], v[28:29]
	v_fmac_f64_e32 v[12:13], v[112:113], v[28:29]
	;; [unrolled: 1-line block ×8, first 2 shown]
	v_sub_nc_u64_e32 v[28:29], v[134:135], v[10:11]
	s_delay_alu instid0(VALU_DEP_1)
	v_lshlrev_b64_e32 v[28:29], 6, v[28:29]
	v_fma_f64 v[112:113], -v[112:113], v[30:31], v[140:141]
	v_fmac_f64_e32 v[12:13], v[110:111], v[30:31]
	v_fma_f64 v[110:111], -v[116:117], v[30:31], v[142:143]
	v_fmac_f64_e32 v[20:21], v[120:121], v[30:31]
	;; [unrolled: 2-line block ×4, first 2 shown]
	v_add_nc_u64_e32 v[124:125], s[4:5], v[28:29]
	s_wait_loadcnt 0xe
	v_cvt_f64_f32_e32 v[128:129], v48
	v_cvt_f64_f32_e32 v[48:49], v49
	;; [unrolled: 1-line block ×4, first 2 shown]
	s_wait_loadcnt 0xd
	v_cvt_f64_f32_e32 v[136:137], v52
	v_cvt_f64_f32_e32 v[52:53], v53
	global_load_b128 v[28:31], v[124:125], off
	s_wait_loadcnt 0xd
	v_cvt_f64_f32_e32 v[138:139], v56
	v_cvt_f64_f32_e32 v[56:57], v57
	v_cvt_f64_f32_e32 v[144:145], v47
	v_fmac_f64_e32 v[112:113], v[114:115], v[32:33]
	v_fmac_f64_e32 v[12:13], v[122:123], v[32:33]
	;; [unrolled: 1-line block ×8, first 2 shown]
	v_fma_f64 v[140:141], -v[122:123], v[34:35], v[112:113]
	v_fmac_f64_e32 v[12:13], v[114:115], v[34:35]
	v_fma_f64 v[142:143], -v[118:119], v[34:35], v[110:111]
	v_fmac_f64_e32 v[20:21], v[132:133], v[34:35]
	;; [unrolled: 2-line block ×4, first 2 shown]
	global_load_b128 v[32:35], v[124:125], off offset:16
	s_clause 0x3
	global_load_b128 v[108:111], v[38:39], off offset:1584
	global_load_b128 v[112:115], v[38:39], off offset:1552
	;; [unrolled: 1-line block ×4, first 2 shown]
	v_cvt_f64_f32_e32 v[132:133], v46
	v_cvt_f64_f32_e32 v[146:147], v54
	;; [unrolled: 1-line block ×5, first 2 shown]
	s_wait_xcnt 0x0
	v_add_nc_u64_e32 v[38:39], 0x800, v[38:39]
	s_wait_loadcnt 0x11
	v_fmac_f64_e32 v[140:141], v[128:129], v[60:61]
	v_fmac_f64_e32 v[12:13], v[48:49], v[60:61]
	;; [unrolled: 1-line block ×8, first 2 shown]
	v_cvt_f64_f32_e32 v[60:61], v50
	v_cvt_f64_f32_e32 v[50:51], v51
	v_fma_f64 v[48:49], -v[48:49], v[62:63], v[140:141]
	v_fmac_f64_e32 v[12:13], v[128:129], v[62:63]
	v_fma_f64 v[128:129], -v[44:45], v[62:63], v[142:143]
	v_fmac_f64_e32 v[20:21], v[134:135], v[62:63]
	v_fma_f64 v[52:53], -v[52:53], v[62:63], v[126:127]
	v_fmac_f64_e32 v[22:23], v[136:137], v[62:63]
	v_fma_f64 v[56:57], -v[56:57], v[62:63], v[130:131]
	v_fmac_f64_e32 v[24:25], v[138:139], v[62:63]
	global_load_b128 v[44:47], v[124:125], off offset:32
	s_wait_loadcnt 0xf
	v_cvt_f64_f32_e32 v[62:63], v72
	s_wait_loadcnt 0xe
	v_cvt_f64_f32_e32 v[126:127], v76
	v_cvt_f64_f32_e32 v[76:77], v77
	s_wait_loadcnt 0xd
	v_cvt_f64_f32_e32 v[130:131], v80
	v_cvt_f64_f32_e32 v[80:81], v81
	v_fmac_f64_e32 v[48:49], v[60:61], v[64:65]
	v_fmac_f64_e32 v[12:13], v[50:51], v[64:65]
	;; [unrolled: 1-line block ×8, first 2 shown]
	v_cvt_f64_f32_e32 v[64:65], v73
	v_cvt_f64_f32_e32 v[72:73], v68
	;; [unrolled: 1-line block ×3, first 2 shown]
	v_fma_f64 v[134:135], -v[50:51], v[66:67], v[48:49]
	v_fmac_f64_e32 v[12:13], v[60:61], v[66:67]
	v_fma_f64 v[60:61], -v[144:145], v[66:67], v[128:129]
	v_fmac_f64_e32 v[20:21], v[132:133], v[66:67]
	;; [unrolled: 2-line block ×4, first 2 shown]
	global_load_b128 v[48:51], v[124:125], off offset:48
	v_cvt_f64_f32_e32 v[56:57], v74
	v_cvt_f64_f32_e32 v[58:59], v75
	;; [unrolled: 1-line block ×6, first 2 shown]
	s_wait_loadcnt 0xd
	v_fmac_f64_e32 v[134:135], v[62:63], v[84:85]
	v_fmac_f64_e32 v[12:13], v[64:65], v[84:85]
	;; [unrolled: 1-line block ×8, first 2 shown]
	v_cvt_f64_f32_e32 v[84:85], v82
	v_cvt_f64_f32_e32 v[82:83], v83
	v_fma_f64 v[64:65], -v[64:65], v[86:87], v[134:135]
	v_fmac_f64_e32 v[12:13], v[62:63], v[86:87]
	v_fma_f64 v[60:61], -v[68:69], v[86:87], v[60:61]
	v_fmac_f64_e32 v[20:21], v[72:73], v[86:87]
	;; [unrolled: 2-line block ×4, first 2 shown]
	s_wait_loadcnt 0xa
	v_cvt_f64_f32_e32 v[62:63], v96
	v_cvt_f64_f32_e32 v[68:69], v97
	;; [unrolled: 1-line block ×4, first 2 shown]
	s_wait_loadcnt 0x9
	v_cvt_f64_f32_e32 v[80:81], v100
	v_cvt_f64_f32_e32 v[86:87], v101
	s_wait_loadcnt 0x8
	v_cvt_f64_f32_e32 v[92:93], v105
	v_fmac_f64_e32 v[64:65], v[56:57], v[88:89]
	v_fmac_f64_e32 v[12:13], v[58:59], v[88:89]
	v_fmac_f64_e32 v[60:61], v[66:67], v[88:89]
	v_fmac_f64_e32 v[20:21], v[70:71], v[88:89]
	v_fmac_f64_e32 v[52:53], v[74:75], v[88:89]
	v_fmac_f64_e32 v[22:23], v[78:79], v[88:89]
	v_fmac_f64_e32 v[54:55], v[84:85], v[88:89]
	v_fmac_f64_e32 v[24:25], v[82:83], v[88:89]
	v_cvt_f64_f32_e32 v[88:89], v104
	v_fma_f64 v[58:59], -v[58:59], v[90:91], v[64:65]
	v_fmac_f64_e32 v[12:13], v[56:57], v[90:91]
	v_fma_f64 v[56:57], -v[70:71], v[90:91], v[60:61]
	v_fmac_f64_e32 v[20:21], v[66:67], v[90:91]
	;; [unrolled: 2-line block ×4, first 2 shown]
	v_cvt_f64_f32_e32 v[60:61], v99
	v_cvt_f64_f32_e32 v[64:65], v94
	;; [unrolled: 1-line block ×7, first 2 shown]
	s_wait_loadcnt 0x7
	v_fmac_f64_e32 v[58:59], v[62:63], v[28:29]
	v_fmac_f64_e32 v[12:13], v[68:69], v[28:29]
	v_fmac_f64_e32 v[56:57], v[72:73], v[28:29]
	v_fmac_f64_e32 v[20:21], v[76:77], v[28:29]
	v_fmac_f64_e32 v[52:53], v[80:81], v[28:29]
	v_fmac_f64_e32 v[22:23], v[86:87], v[28:29]
	v_fmac_f64_e32 v[54:55], v[88:89], v[28:29]
	v_fmac_f64_e32 v[24:25], v[92:93], v[28:29]
	v_cvt_f64_f32_e32 v[28:29], v98
	v_fma_f64 v[58:59], -v[68:69], v[30:31], v[58:59]
	v_fmac_f64_e32 v[12:13], v[62:63], v[30:31]
	v_fma_f64 v[56:57], -v[76:77], v[30:31], v[56:57]
	v_fmac_f64_e32 v[20:21], v[72:73], v[30:31]
	;; [unrolled: 2-line block ×4, first 2 shown]
	s_wait_loadcnt 0x4
	v_cvt_f64_f32_e32 v[30:31], v112
	v_cvt_f64_f32_e32 v[62:63], v108
	;; [unrolled: 1-line block ×3, first 2 shown]
	s_wait_loadcnt 0x3
	v_cvt_f64_f32_e32 v[72:73], v116
	v_cvt_f64_f32_e32 v[76:77], v117
	s_wait_loadcnt 0x2
	v_cvt_f64_f32_e32 v[80:81], v120
	v_cvt_f64_f32_e32 v[84:85], v121
	v_fmac_f64_e32 v[58:59], v[28:29], v[32:33]
	v_fmac_f64_e32 v[12:13], v[60:61], v[32:33]
	;; [unrolled: 1-line block ×8, first 2 shown]
	v_cvt_f64_f32_e32 v[32:33], v113
	v_fma_f64 v[58:59], -v[60:61], v[34:35], v[58:59]
	v_fmac_f64_e32 v[12:13], v[28:29], v[34:35]
	v_fma_f64 v[28:29], -v[66:67], v[34:35], v[56:57]
	v_fmac_f64_e32 v[20:21], v[64:65], v[34:35]
	;; [unrolled: 2-line block ×4, first 2 shown]
	v_cvt_f64_f32_e32 v[34:35], v114
	v_cvt_f64_f32_e32 v[56:57], v110
	;; [unrolled: 1-line block ×7, first 2 shown]
	s_wait_loadcnt 0x1
	v_fmac_f64_e32 v[58:59], v[30:31], v[44:45]
	v_fmac_f64_e32 v[12:13], v[32:33], v[44:45]
	;; [unrolled: 1-line block ×8, first 2 shown]
	v_cvt_f64_f32_e32 v[44:45], v115
	v_fma_f64 v[32:33], -v[32:33], v[46:47], v[58:59]
	v_fmac_f64_e32 v[12:13], v[30:31], v[46:47]
	v_fma_f64 v[28:29], -v[68:69], v[46:47], v[28:29]
	v_fmac_f64_e32 v[20:21], v[62:63], v[46:47]
	;; [unrolled: 2-line block ×4, first 2 shown]
	s_wait_loadcnt 0x0
	v_fmac_f64_e32 v[32:33], v[34:35], v[48:49]
	v_fmac_f64_e32 v[12:13], v[44:45], v[48:49]
	v_fmac_f64_e32 v[28:29], v[56:57], v[48:49]
	v_fmac_f64_e32 v[20:21], v[60:61], v[48:49]
	v_fmac_f64_e32 v[52:53], v[64:65], v[48:49]
	v_fmac_f64_e32 v[22:23], v[66:67], v[48:49]
	v_fmac_f64_e32 v[54:55], v[70:71], v[48:49]
	v_fmac_f64_e32 v[24:25], v[74:75], v[48:49]
	v_fma_f64 v[30:31], -v[44:45], v[50:51], v[32:33]
	v_fmac_f64_e32 v[12:13], v[34:35], v[50:51]
	v_fma_f64 v[32:33], -v[60:61], v[50:51], v[28:29]
	v_fmac_f64_e32 v[20:21], v[56:57], v[50:51]
	;; [unrolled: 2-line block ×4, first 2 shown]
	s_and_not1_b32 exec_lo, exec_lo, s7
	s_cbranch_execnz .LBB175_21
; %bb.22:
	s_or_b32 exec_lo, exec_lo, s7
.LBB175_23:
	s_delay_alu instid0(SALU_CYCLE_1)
	s_or_b32 exec_lo, exec_lo, s6
.LBB175_24:
	s_delay_alu instid0(SALU_CYCLE_1)
	s_or_b32 exec_lo, exec_lo, s3
	s_cbranch_execz .LBB175_26
	s_branch .LBB175_37
.LBB175_25:
                                        ; implicit-def: $vgpr12_vgpr13
                                        ; implicit-def: $vgpr30_vgpr31
                                        ; implicit-def: $vgpr20_vgpr21
                                        ; implicit-def: $vgpr32_vgpr33
                                        ; implicit-def: $vgpr22_vgpr23
                                        ; implicit-def: $vgpr34_vgpr35
                                        ; implicit-def: $vgpr24_vgpr25
                                        ; implicit-def: $vgpr28_vgpr29
.LBB175_26:
	v_mov_b64_e32 v[12:13], 0
	v_mov_b64_e32 v[30:31], 0
	;; [unrolled: 1-line block ×8, first 2 shown]
	s_and_saveexec_b32 s3, s2
	s_cbranch_execz .LBB175_36
; %bb.27:
	v_dual_mov_b32 v13, v1 :: v_dual_bitop2_b32 v12, 4, v0 bitop3:0x54
	v_sub_nc_u64_e32 v[20:21], v[10:11], v[0:1]
	v_not_b32_e32 v23, v37
	v_not_b32_e32 v22, v36
	v_mov_b64_e32 v[28:29], 0
	v_sub_nc_u64_e32 v[12:13], v[12:13], v[10:11]
	v_mov_b64_e32 v[24:25], 0
	v_mov_b64_e32 v[34:35], 0
	v_add_nc_u64_e32 v[20:21], v[20:21], v[22:23]
	v_mov_b64_e32 v[22:23], 0
	v_mov_b64_e32 v[32:33], 0
	;; [unrolled: 1-line block ×3, first 2 shown]
	v_add_nc_u64_e32 v[12:13], v[12:13], v[36:37]
	s_mov_b32 s2, exec_lo
	s_delay_alu instid0(VALU_DEP_1) | instskip(NEXT) | instid1(VALU_DEP_1)
	v_max_i64 v[12:13], v[12:13], v[16:17]
	v_add_nc_u64_e32 v[36:37], v[20:21], v[12:13]
	v_mov_b64_e32 v[20:21], 0
	v_mov_b64_e32 v[12:13], 0
	s_delay_alu instid0(VALU_DEP_3) | instskip(NEXT) | instid1(VALU_DEP_1)
	v_dual_mov_b32 v39, 0 :: v_dual_bitop2_b32 v38, 12, v36 bitop3:0x40
	v_cmpx_ne_u64_e32 12, v[38:39]
	s_cbranch_execz .LBB175_31
; %bb.28:
	v_lshrrev_b32_e32 v1, 2, v36
	v_mov_b64_e32 v[12:13], 0
	v_mov_b64_e32 v[30:31], 0
	;; [unrolled: 1-line block ×4, first 2 shown]
	v_add_nc_u32_e32 v1, 1, v1
	v_mov_b64_e32 v[22:23], 0
	v_mov_b64_e32 v[34:35], 0
	;; [unrolled: 1-line block ×4, first 2 shown]
	v_and_b32_e32 v38, 3, v1
	v_lshl_add_u64 v[40:41], v[14:15], 3, s[8:9]
	s_mov_b32 s6, 0
	s_delay_alu instid0(VALU_DEP_2)
	v_sub_nc_u64_e32 v[38:39], 0, v[38:39]
.LBB175_29:                             ; =>This Inner Loop Header: Depth=1
	global_load_b64 v[50:51], v[40:41], off
	s_clause 0x1
	global_load_b128 v[42:45], v[18:19], off
	global_load_b128 v[46:49], v[18:19], off offset:16
	v_add_nc_u64_e32 v[38:39], 1, v[38:39]
	v_add_nc_u64_e32 v[14:15], 4, v[14:15]
	s_wait_xcnt 0x2
	v_add_nc_u64_e32 v[40:41], 32, v[40:41]
	s_delay_alu instid0(VALU_DEP_3)
	v_cmp_eq_u64_e32 vcc_lo, 0, v[38:39]
	s_or_b32 s6, vcc_lo, s6
	s_wait_loadcnt 0x2
	v_sub_nc_u64_e32 v[50:51], v[50:51], v[10:11]
	s_wait_loadcnt 0x1
	v_cvt_f64_f32_e32 v[92:93], v44
	v_cvt_f64_f32_e32 v[44:45], v45
	s_wait_loadcnt 0x0
	v_cvt_f64_f32_e32 v[94:95], v46
	v_cvt_f64_f32_e32 v[46:47], v47
	;; [unrolled: 1-line block ×4, first 2 shown]
	v_lshlrev_b64_e32 v[50:51], 6, v[50:51]
	s_wait_kmcnt 0x0
	s_delay_alu instid0(VALU_DEP_1)
	v_add_nc_u64_e32 v[90:91], s[4:5], v[50:51]
	global_load_b128 v[50:53], v[90:91], off
	s_clause 0x1
	global_load_b128 v[54:57], v[18:19], off offset:32
	global_load_b128 v[58:61], v[18:19], off offset:48
	global_load_b128 v[62:65], v[90:91], off offset:16
	s_clause 0x1
	global_load_b128 v[66:69], v[18:19], off offset:64
	global_load_b128 v[70:73], v[18:19], off offset:80
	global_load_b128 v[74:77], v[90:91], off offset:32
	s_clause 0x1
	global_load_b128 v[78:81], v[18:19], off offset:96
	global_load_b128 v[82:85], v[18:19], off offset:112
	global_load_b128 v[86:89], v[90:91], off offset:48
	s_wait_xcnt 0x0
	v_cvt_f64_f32_e32 v[90:91], v42
	v_cvt_f64_f32_e32 v[42:43], v43
	v_add_nc_u64_e32 v[18:19], 0x200, v[18:19]
	s_wait_loadcnt 0x9
	s_delay_alu instid0(VALU_DEP_3) | instskip(NEXT) | instid1(VALU_DEP_3)
	v_fmac_f64_e32 v[30:31], v[90:91], v[50:51]
	v_fmac_f64_e32 v[12:13], v[42:43], v[50:51]
	;; [unrolled: 1-line block ×8, first 2 shown]
	s_wait_loadcnt 0x8
	v_cvt_f64_f32_e32 v[50:51], v54
	v_cvt_f64_f32_e32 v[54:55], v55
	;; [unrolled: 1-line block ×4, first 2 shown]
	s_wait_loadcnt 0x7
	v_cvt_f64_f32_e32 v[100:101], v58
	v_cvt_f64_f32_e32 v[58:59], v59
	;; [unrolled: 1-line block ×4, first 2 shown]
	v_fma_f64 v[30:31], -v[42:43], v[52:53], v[30:31]
	v_fmac_f64_e32 v[12:13], v[90:91], v[52:53]
	v_fma_f64 v[32:33], -v[44:45], v[52:53], v[32:33]
	v_fmac_f64_e32 v[20:21], v[92:93], v[52:53]
	;; [unrolled: 2-line block ×4, first 2 shown]
	s_wait_loadcnt 0x5
	v_cvt_f64_f32_e32 v[42:43], v66
	v_cvt_f64_f32_e32 v[44:45], v67
	;; [unrolled: 1-line block ×4, first 2 shown]
	s_wait_loadcnt 0x4
	v_cvt_f64_f32_e32 v[52:53], v70
	v_cvt_f64_f32_e32 v[66:67], v72
	;; [unrolled: 1-line block ×3, first 2 shown]
	s_wait_loadcnt 0x1
	v_cvt_f64_f32_e32 v[72:73], v85
	v_fmac_f64_e32 v[30:31], v[50:51], v[62:63]
	v_fmac_f64_e32 v[12:13], v[54:55], v[62:63]
	;; [unrolled: 1-line block ×8, first 2 shown]
	v_cvt_f64_f32_e32 v[62:63], v71
	v_cvt_f64_f32_e32 v[70:71], v84
	v_fma_f64 v[30:31], -v[54:55], v[64:65], v[30:31]
	v_fmac_f64_e32 v[12:13], v[50:51], v[64:65]
	v_fma_f64 v[32:33], -v[56:57], v[64:65], v[32:33]
	v_fmac_f64_e32 v[20:21], v[98:99], v[64:65]
	;; [unrolled: 2-line block ×4, first 2 shown]
	v_cvt_f64_f32_e32 v[50:51], v78
	v_cvt_f64_f32_e32 v[54:55], v79
	;; [unrolled: 1-line block ×6, first 2 shown]
	v_fmac_f64_e32 v[30:31], v[42:43], v[74:75]
	v_fmac_f64_e32 v[12:13], v[44:45], v[74:75]
	;; [unrolled: 1-line block ×8, first 2 shown]
	v_fma_f64 v[30:31], -v[44:45], v[76:77], v[30:31]
	v_fmac_f64_e32 v[12:13], v[42:43], v[76:77]
	v_fma_f64 v[32:33], -v[48:49], v[76:77], v[32:33]
	v_fmac_f64_e32 v[20:21], v[46:47], v[76:77]
	v_fma_f64 v[34:35], -v[62:63], v[76:77], v[34:35]
	v_fmac_f64_e32 v[22:23], v[52:53], v[76:77]
	v_fma_f64 v[28:29], -v[68:69], v[76:77], v[28:29]
	v_fmac_f64_e32 v[24:25], v[66:67], v[76:77]
	s_wait_loadcnt 0x0
	v_fmac_f64_e32 v[30:31], v[50:51], v[86:87]
	v_fmac_f64_e32 v[12:13], v[54:55], v[86:87]
	v_fmac_f64_e32 v[32:33], v[56:57], v[86:87]
	v_fmac_f64_e32 v[20:21], v[58:59], v[86:87]
	v_fmac_f64_e32 v[34:35], v[60:61], v[86:87]
	v_fmac_f64_e32 v[22:23], v[64:65], v[86:87]
	v_fmac_f64_e32 v[28:29], v[70:71], v[86:87]
	v_fmac_f64_e32 v[24:25], v[72:73], v[86:87]
	v_fma_f64 v[30:31], -v[54:55], v[88:89], v[30:31]
	v_fmac_f64_e32 v[12:13], v[50:51], v[88:89]
	v_fma_f64 v[32:33], -v[58:59], v[88:89], v[32:33]
	v_fmac_f64_e32 v[20:21], v[56:57], v[88:89]
	;; [unrolled: 2-line block ×4, first 2 shown]
	s_and_not1_b32 exec_lo, exec_lo, s6
	s_cbranch_execnz .LBB175_29
; %bb.30:
	s_or_b32 exec_lo, exec_lo, s6
.LBB175_31:
	s_delay_alu instid0(SALU_CYCLE_1) | instskip(NEXT) | instid1(SALU_CYCLE_1)
	s_or_b32 exec_lo, exec_lo, s2
	s_mov_b32 s2, exec_lo
	v_cmpx_lt_u64_e32 11, v[36:37]
	s_cbranch_execz .LBB175_35
; %bb.32:
	v_lshl_add_u64 v[36:37], v[14:15], 3, s[8:9]
	s_mov_b32 s6, 0
	s_delay_alu instid0(VALU_DEP_1)
	v_add_nc_u64_e32 v[36:37], 64, v[36:37]
.LBB175_33:                             ; =>This Inner Loop Header: Depth=1
	s_clause 0x1
	global_load_b64 v[46:47], v[36:37], off offset:-64
	global_load_b64 v[94:95], v[36:37], off offset:-32
	s_clause 0x1
	global_load_b128 v[38:41], v[18:19], off
	global_load_b128 v[42:45], v[18:19], off offset:16
	s_clause 0x1
	global_load_b64 v[110:111], v[36:37], off
	global_load_b64 v[112:113], v[36:37], off offset:32
	v_add_nc_u64_e32 v[14:15], 16, v[14:15]
	s_wait_xcnt 0x0
	v_add_nc_u64_e32 v[36:37], 0x80, v[36:37]
	s_delay_alu instid0(VALU_DEP_2)
	v_cmp_ge_i64_e32 vcc_lo, v[14:15], v[16:17]
	s_or_b32 s6, vcc_lo, s6
	s_wait_loadcnt 0x5
	v_sub_nc_u64_e32 v[46:47], v[46:47], v[10:11]
	s_wait_loadcnt 0x4
	v_sub_nc_u64_e32 v[94:95], v[94:95], v[10:11]
	s_wait_loadcnt 0x3
	v_cvt_f64_f32_e32 v[116:117], v38
	v_cvt_f64_f32_e32 v[118:119], v39
	;; [unrolled: 1-line block ×4, first 2 shown]
	s_wait_loadcnt 0x2
	v_cvt_f64_f32_e32 v[124:125], v42
	v_lshlrev_b64_e32 v[46:47], 6, v[46:47]
	v_lshlrev_b64_e32 v[94:95], 6, v[94:95]
	v_cvt_f64_f32_e32 v[126:127], v43
	v_cvt_f64_f32_e32 v[128:129], v44
	;; [unrolled: 1-line block ×3, first 2 shown]
	s_wait_kmcnt 0x0
	v_add_nc_u64_e32 v[96:97], s[4:5], v[46:47]
	v_add_nc_u64_e32 v[114:115], s[4:5], v[94:95]
	global_load_b128 v[46:49], v[96:97], off
	s_clause 0x1
	global_load_b128 v[50:53], v[18:19], off offset:32
	global_load_b128 v[54:57], v[18:19], off offset:48
	global_load_b128 v[58:61], v[96:97], off offset:16
	s_clause 0x1
	global_load_b128 v[62:65], v[18:19], off offset:64
	global_load_b128 v[66:69], v[18:19], off offset:80
	global_load_b128 v[70:73], v[96:97], off offset:32
	;; [unrolled: 4-line block ×3, first 2 shown]
	s_clause 0x1
	global_load_b128 v[86:89], v[18:19], off offset:512
	global_load_b128 v[90:93], v[18:19], off offset:528
	global_load_b128 v[94:97], v[114:115], off
	s_clause 0x1
	global_load_b128 v[98:101], v[18:19], off offset:544
	global_load_b128 v[102:105], v[18:19], off offset:560
	;; [unrolled: 1-line block ×3, first 2 shown]
	s_clause 0x1
	global_load_b128 v[42:45], v[18:19], off offset:576
	global_load_b128 v[106:109], v[18:19], off offset:592
	s_wait_loadcnt 0x11
	v_fmac_f64_e32 v[30:31], v[116:117], v[46:47]
	v_fmac_f64_e32 v[12:13], v[118:119], v[46:47]
	v_fmac_f64_e32 v[32:33], v[120:121], v[46:47]
	v_fmac_f64_e32 v[20:21], v[122:123], v[46:47]
	v_fmac_f64_e32 v[34:35], v[124:125], v[46:47]
	v_fmac_f64_e32 v[22:23], v[126:127], v[46:47]
	v_fmac_f64_e32 v[28:29], v[128:129], v[46:47]
	v_fmac_f64_e32 v[24:25], v[130:131], v[46:47]
	s_wait_loadcnt 0x10
	v_cvt_f64_f32_e32 v[132:133], v50
	v_cvt_f64_f32_e32 v[50:51], v51
	;; [unrolled: 1-line block ×4, first 2 shown]
	s_wait_loadcnt 0xf
	v_cvt_f64_f32_e32 v[136:137], v54
	v_cvt_f64_f32_e32 v[54:55], v55
	;; [unrolled: 1-line block ×4, first 2 shown]
	s_wait_loadcnt 0x0
	v_cvt_f64_f32_e32 v[140:141], v108
	v_cvt_f64_f32_e32 v[108:109], v109
	v_fma_f64 v[118:119], -v[118:119], v[48:49], v[30:31]
	v_fmac_f64_e32 v[12:13], v[116:117], v[48:49]
	v_fma_f64 v[116:117], -v[122:123], v[48:49], v[32:33]
	v_fmac_f64_e32 v[20:21], v[120:121], v[48:49]
	;; [unrolled: 2-line block ×4, first 2 shown]
	global_load_b128 v[28:31], v[114:115], off offset:32
	s_clause 0x1
	global_load_b128 v[32:35], v[18:19], off offset:608
	global_load_b128 v[46:49], v[18:19], off offset:624
	v_cvt_f64_f32_e32 v[124:125], v62
	v_cvt_f64_f32_e32 v[62:63], v63
	;; [unrolled: 1-line block ×8, first 2 shown]
	v_fmac_f64_e32 v[118:119], v[132:133], v[58:59]
	v_fmac_f64_e32 v[12:13], v[50:51], v[58:59]
	;; [unrolled: 1-line block ×8, first 2 shown]
	v_fma_f64 v[118:119], -v[50:51], v[60:61], v[118:119]
	v_fmac_f64_e32 v[12:13], v[132:133], v[60:61]
	v_fma_f64 v[116:117], -v[52:53], v[60:61], v[116:117]
	v_fmac_f64_e32 v[20:21], v[134:135], v[60:61]
	;; [unrolled: 2-line block ×4, first 2 shown]
	global_load_b128 v[50:53], v[114:115], off offset:48
	s_clause 0x1
	global_load_b128 v[54:57], v[18:19], off offset:1024
	global_load_b128 v[58:61], v[18:19], off offset:1040
	s_wait_xcnt 0x2
	v_cvt_f64_f32_e32 v[114:115], v74
	v_cvt_f64_f32_e32 v[74:75], v75
	;; [unrolled: 1-line block ×10, first 2 shown]
	v_fmac_f64_e32 v[118:119], v[124:125], v[70:71]
	v_fmac_f64_e32 v[12:13], v[62:63], v[70:71]
	;; [unrolled: 1-line block ×8, first 2 shown]
	v_fma_f64 v[118:119], -v[62:63], v[72:73], v[118:119]
	v_fmac_f64_e32 v[12:13], v[124:125], v[72:73]
	v_fma_f64 v[116:117], -v[64:65], v[72:73], v[116:117]
	v_fmac_f64_e32 v[20:21], v[126:127], v[72:73]
	;; [unrolled: 2-line block ×4, first 2 shown]
	v_sub_nc_u64_e32 v[62:63], v[110:111], v[10:11]
	v_cvt_f64_f32_e32 v[124:125], v86
	v_cvt_f64_f32_e32 v[86:87], v87
	;; [unrolled: 1-line block ×6, first 2 shown]
	v_lshlrev_b64_e32 v[62:63], 6, v[62:63]
	v_cvt_f64_f32_e32 v[130:131], v92
	v_cvt_f64_f32_e32 v[92:93], v93
	s_delay_alu instid0(VALU_DEP_3)
	v_add_nc_u64_e32 v[110:111], s[4:5], v[62:63]
	global_load_b128 v[62:65], v[110:111], off
	s_clause 0x1
	global_load_b128 v[66:69], v[18:19], off offset:1056
	global_load_b128 v[70:73], v[18:19], off offset:1072
	v_fmac_f64_e32 v[118:119], v[114:115], v[82:83]
	v_fmac_f64_e32 v[12:13], v[74:75], v[82:83]
	;; [unrolled: 1-line block ×8, first 2 shown]
	v_fma_f64 v[118:119], -v[74:75], v[84:85], v[118:119]
	v_fmac_f64_e32 v[12:13], v[114:115], v[84:85]
	v_fma_f64 v[114:115], -v[76:77], v[84:85], v[116:117]
	v_fmac_f64_e32 v[20:21], v[132:133], v[84:85]
	;; [unrolled: 2-line block ×4, first 2 shown]
	global_load_b128 v[74:77], v[110:111], off offset:16
	s_clause 0x1
	global_load_b128 v[78:81], v[18:19], off offset:1088
	global_load_b128 v[82:85], v[18:19], off offset:1104
	v_cvt_f64_f32_e32 v[122:123], v98
	v_cvt_f64_f32_e32 v[98:99], v99
	;; [unrolled: 1-line block ×8, first 2 shown]
	v_fmac_f64_e32 v[118:119], v[124:125], v[94:95]
	v_fmac_f64_e32 v[12:13], v[86:87], v[94:95]
	;; [unrolled: 1-line block ×8, first 2 shown]
	v_fma_f64 v[118:119], -v[86:87], v[96:97], v[118:119]
	v_fmac_f64_e32 v[12:13], v[124:125], v[96:97]
	v_fma_f64 v[114:115], -v[88:89], v[96:97], v[114:115]
	v_fmac_f64_e32 v[20:21], v[126:127], v[96:97]
	;; [unrolled: 2-line block ×4, first 2 shown]
	global_load_b128 v[86:89], v[110:111], off offset:32
	s_clause 0x1
	global_load_b128 v[90:93], v[18:19], off offset:1136
	global_load_b128 v[94:97], v[18:19], off offset:1120
	v_cvt_f64_f32_e32 v[124:125], v42
	v_cvt_f64_f32_e32 v[126:127], v43
	;; [unrolled: 1-line block ×4, first 2 shown]
	v_fmac_f64_e32 v[118:119], v[122:123], v[38:39]
	v_fmac_f64_e32 v[12:13], v[98:99], v[38:39]
	;; [unrolled: 1-line block ×8, first 2 shown]
	v_fma_f64 v[118:119], -v[98:99], v[40:41], v[118:119]
	v_fmac_f64_e32 v[12:13], v[122:123], v[40:41]
	v_fma_f64 v[114:115], -v[100:101], v[40:41], v[114:115]
	v_fmac_f64_e32 v[20:21], v[132:133], v[40:41]
	;; [unrolled: 2-line block ×4, first 2 shown]
	global_load_b128 v[38:41], v[110:111], off offset:48
	s_clause 0x1
	global_load_b128 v[42:45], v[18:19], off offset:1552
	global_load_b128 v[98:101], v[18:19], off offset:1536
	s_wait_loadcnt 0x10
	s_wait_xcnt 0x2
	v_cvt_f64_f32_e32 v[110:111], v32
	v_cvt_f64_f32_e32 v[116:117], v33
	;; [unrolled: 1-line block ×4, first 2 shown]
	s_wait_loadcnt 0xf
	v_cvt_f64_f32_e32 v[132:133], v46
	v_cvt_f64_f32_e32 v[134:135], v47
	;; [unrolled: 1-line block ×4, first 2 shown]
	v_fmac_f64_e32 v[118:119], v[124:125], v[28:29]
	v_fmac_f64_e32 v[12:13], v[126:127], v[28:29]
	;; [unrolled: 1-line block ×8, first 2 shown]
	v_sub_nc_u64_e32 v[28:29], v[112:113], v[10:11]
	s_delay_alu instid0(VALU_DEP_1) | instskip(NEXT) | instid1(VALU_DEP_1)
	v_lshlrev_b64_e32 v[28:29], 6, v[28:29]
	v_add_nc_u64_e32 v[112:113], s[4:5], v[28:29]
	v_fma_f64 v[118:119], -v[126:127], v[30:31], v[118:119]
	v_fmac_f64_e32 v[12:13], v[124:125], v[30:31]
	v_fma_f64 v[114:115], -v[130:131], v[30:31], v[114:115]
	v_fmac_f64_e32 v[20:21], v[128:129], v[30:31]
	;; [unrolled: 2-line block ×4, first 2 shown]
	s_clause 0x1
	global_load_b128 v[28:31], v[112:113], off offset:16
	global_load_b128 v[32:35], v[112:113], off
	s_clause 0x1
	global_load_b128 v[46:49], v[18:19], off offset:1584
	global_load_b128 v[102:105], v[18:19], off offset:1568
	s_wait_loadcnt 0x11
	v_cvt_f64_f32_e32 v[124:125], v54
	v_cvt_f64_f32_e32 v[126:127], v55
	;; [unrolled: 1-line block ×4, first 2 shown]
	s_wait_loadcnt 0x10
	v_cvt_f64_f32_e32 v[138:139], v58
	v_cvt_f64_f32_e32 v[58:59], v59
	;; [unrolled: 1-line block ×4, first 2 shown]
	v_fmac_f64_e32 v[118:119], v[110:111], v[50:51]
	v_fmac_f64_e32 v[12:13], v[116:117], v[50:51]
	;; [unrolled: 1-line block ×8, first 2 shown]
	v_fma_f64 v[116:117], -v[116:117], v[52:53], v[118:119]
	v_fmac_f64_e32 v[12:13], v[110:111], v[52:53]
	v_fma_f64 v[110:111], -v[122:123], v[52:53], v[114:115]
	v_fmac_f64_e32 v[20:21], v[120:121], v[52:53]
	;; [unrolled: 2-line block ×4, first 2 shown]
	s_clause 0x1
	global_load_b128 v[50:53], v[18:19], off offset:1616
	global_load_b128 v[54:57], v[18:19], off offset:1600
	s_wait_loadcnt 0x10
	v_cvt_f64_f32_e32 v[114:115], v66
	v_cvt_f64_f32_e32 v[118:119], v67
	;; [unrolled: 1-line block ×3, first 2 shown]
	v_fmac_f64_e32 v[116:117], v[124:125], v[62:63]
	v_fmac_f64_e32 v[12:13], v[126:127], v[62:63]
	;; [unrolled: 1-line block ×8, first 2 shown]
	v_cvt_f64_f32_e32 v[122:123], v69
	s_wait_loadcnt 0xf
	v_cvt_f64_f32_e32 v[132:133], v70
	v_cvt_f64_f32_e32 v[134:135], v71
	;; [unrolled: 1-line block ×4, first 2 shown]
	v_fma_f64 v[116:117], -v[126:127], v[64:65], v[116:117]
	v_fmac_f64_e32 v[12:13], v[124:125], v[64:65]
	v_fma_f64 v[110:111], -v[130:131], v[64:65], v[110:111]
	v_fmac_f64_e32 v[20:21], v[128:129], v[64:65]
	v_fma_f64 v[106:107], -v[58:59], v[64:65], v[106:107]
	v_fmac_f64_e32 v[22:23], v[138:139], v[64:65]
	v_fma_f64 v[108:109], -v[60:61], v[64:65], v[108:109]
	v_fmac_f64_e32 v[24:25], v[140:141], v[64:65]
	s_clause 0x1
	global_load_b128 v[58:61], v[112:113], off offset:48
	global_load_b128 v[62:65], v[112:113], off offset:32
	s_clause 0x1
	global_load_b128 v[66:69], v[18:19], off offset:1632
	global_load_b128 v[70:73], v[18:19], off offset:1648
	s_wait_loadcnt 0x11
	s_wait_xcnt 0x2
	v_cvt_f64_f32_e32 v[112:113], v80
	v_cvt_f64_f32_e32 v[80:81], v81
	s_wait_loadcnt 0x10
	v_cvt_f64_f32_e32 v[124:125], v82
	v_cvt_f64_f32_e32 v[82:83], v83
	;; [unrolled: 1-line block ×4, first 2 shown]
	s_wait_xcnt 0x0
	v_add_nc_u64_e32 v[18:19], 0x800, v[18:19]
	v_fmac_f64_e32 v[116:117], v[114:115], v[74:75]
	v_fmac_f64_e32 v[12:13], v[118:119], v[74:75]
	;; [unrolled: 1-line block ×8, first 2 shown]
	v_cvt_f64_f32_e32 v[74:75], v78
	v_cvt_f64_f32_e32 v[78:79], v79
	v_fma_f64 v[116:117], -v[118:119], v[76:77], v[116:117]
	v_fmac_f64_e32 v[12:13], v[114:115], v[76:77]
	v_fma_f64 v[110:111], -v[122:123], v[76:77], v[110:111]
	v_fmac_f64_e32 v[20:21], v[120:121], v[76:77]
	;; [unrolled: 2-line block ×4, first 2 shown]
	s_wait_loadcnt 0xe
	v_cvt_f64_f32_e32 v[114:115], v90
	s_wait_loadcnt 0xd
	v_cvt_f64_f32_e32 v[76:77], v94
	v_cvt_f64_f32_e32 v[90:91], v91
	;; [unrolled: 1-line block ×4, first 2 shown]
	v_fmac_f64_e32 v[116:117], v[74:75], v[86:87]
	v_fmac_f64_e32 v[12:13], v[78:79], v[86:87]
	;; [unrolled: 1-line block ×8, first 2 shown]
	v_cvt_f64_f32_e32 v[86:87], v95
	v_cvt_f64_f32_e32 v[94:95], v96
	;; [unrolled: 1-line block ×3, first 2 shown]
	v_fma_f64 v[78:79], -v[78:79], v[88:89], v[116:117]
	v_fmac_f64_e32 v[12:13], v[74:75], v[88:89]
	v_fma_f64 v[74:75], -v[80:81], v[88:89], v[110:111]
	v_fmac_f64_e32 v[20:21], v[112:113], v[88:89]
	;; [unrolled: 2-line block ×4, first 2 shown]
	s_wait_loadcnt 0xb
	v_cvt_f64_f32_e32 v[106:107], v44
	s_wait_loadcnt 0xa
	v_cvt_f64_f32_e32 v[84:85], v99
	v_cvt_f64_f32_e32 v[88:89], v100
	;; [unrolled: 1-line block ×3, first 2 shown]
	v_fmac_f64_e32 v[78:79], v[76:77], v[38:39]
	v_fmac_f64_e32 v[12:13], v[86:87], v[38:39]
	;; [unrolled: 1-line block ×8, first 2 shown]
	v_cvt_f64_f32_e32 v[38:39], v98
	v_cvt_f64_f32_e32 v[98:99], v101
	;; [unrolled: 1-line block ×4, first 2 shown]
	v_fma_f64 v[78:79], -v[86:87], v[40:41], v[78:79]
	v_fmac_f64_e32 v[12:13], v[76:77], v[40:41]
	v_fma_f64 v[74:75], -v[96:97], v[40:41], v[74:75]
	v_fmac_f64_e32 v[20:21], v[94:95], v[40:41]
	;; [unrolled: 2-line block ×4, first 2 shown]
	s_wait_loadcnt 0x7
	v_cvt_f64_f32_e32 v[90:91], v46
	s_wait_loadcnt 0x6
	v_cvt_f64_f32_e32 v[40:41], v103
	v_cvt_f64_f32_e32 v[82:83], v104
	;; [unrolled: 1-line block ×6, first 2 shown]
	v_fmac_f64_e32 v[78:79], v[38:39], v[32:33]
	v_fmac_f64_e32 v[12:13], v[84:85], v[32:33]
	;; [unrolled: 1-line block ×8, first 2 shown]
	v_cvt_f64_f32_e32 v[32:33], v102
	v_fma_f64 v[78:79], -v[84:85], v[34:35], v[78:79]
	v_fmac_f64_e32 v[12:13], v[38:39], v[34:35]
	v_fma_f64 v[38:39], -v[98:99], v[34:35], v[74:75]
	v_fmac_f64_e32 v[20:21], v[88:89], v[34:35]
	;; [unrolled: 2-line block ×4, first 2 shown]
	s_wait_loadcnt 0x4
	v_cvt_f64_f32_e32 v[34:35], v55
	v_cvt_f64_f32_e32 v[74:75], v50
	;; [unrolled: 1-line block ×5, first 2 shown]
	v_fmac_f64_e32 v[78:79], v[32:33], v[28:29]
	v_fmac_f64_e32 v[12:13], v[40:41], v[28:29]
	;; [unrolled: 1-line block ×8, first 2 shown]
	v_cvt_f64_f32_e32 v[28:29], v54
	v_cvt_f64_f32_e32 v[54:55], v56
	v_cvt_f64_f32_e32 v[56:57], v57
	v_fma_f64 v[40:41], -v[40:41], v[30:31], v[78:79]
	v_fmac_f64_e32 v[12:13], v[32:33], v[30:31]
	v_fma_f64 v[32:33], -v[86:87], v[30:31], v[38:39]
	v_fmac_f64_e32 v[20:21], v[82:83], v[30:31]
	;; [unrolled: 2-line block ×4, first 2 shown]
	s_wait_loadcnt 0x1
	v_cvt_f64_f32_e32 v[44:45], v66
	v_cvt_f64_f32_e32 v[30:31], v67
	;; [unrolled: 1-line block ×4, first 2 shown]
	s_wait_loadcnt 0x0
	v_cvt_f64_f32_e32 v[66:67], v71
	v_cvt_f64_f32_e32 v[68:69], v72
	v_fmac_f64_e32 v[40:41], v[28:29], v[62:63]
	v_fmac_f64_e32 v[12:13], v[34:35], v[62:63]
	;; [unrolled: 1-line block ×8, first 2 shown]
	v_cvt_f64_f32_e32 v[62:63], v70
	v_cvt_f64_f32_e32 v[70:71], v73
	v_fma_f64 v[34:35], -v[34:35], v[64:65], v[40:41]
	v_fmac_f64_e32 v[12:13], v[28:29], v[64:65]
	v_fma_f64 v[28:29], -v[56:57], v[64:65], v[32:33]
	v_fmac_f64_e32 v[20:21], v[54:55], v[64:65]
	;; [unrolled: 2-line block ×4, first 2 shown]
	v_fmac_f64_e32 v[34:35], v[44:45], v[58:59]
	v_fmac_f64_e32 v[12:13], v[30:31], v[58:59]
	;; [unrolled: 1-line block ×8, first 2 shown]
	v_fma_f64 v[30:31], -v[30:31], v[60:61], v[34:35]
	v_fmac_f64_e32 v[12:13], v[44:45], v[60:61]
	v_fma_f64 v[32:33], -v[48:49], v[60:61], v[28:29]
	v_fmac_f64_e32 v[20:21], v[46:47], v[60:61]
	;; [unrolled: 2-line block ×4, first 2 shown]
	s_and_not1_b32 exec_lo, exec_lo, s6
	s_cbranch_execnz .LBB175_33
; %bb.34:
	s_or_b32 exec_lo, exec_lo, s6
.LBB175_35:
	s_delay_alu instid0(SALU_CYCLE_1)
	s_or_b32 exec_lo, exec_lo, s2
.LBB175_36:
	s_delay_alu instid0(SALU_CYCLE_1)
	s_or_b32 exec_lo, exec_lo, s3
.LBB175_37:
	v_mbcnt_lo_u32_b32 v1, -1, 0
	s_delay_alu instid0(VALU_DEP_1) | instskip(NEXT) | instid1(VALU_DEP_1)
	v_xor_b32_e32 v10, 2, v1
	v_cmp_gt_i32_e32 vcc_lo, 32, v10
	v_cndmask_b32_e32 v10, v1, v10, vcc_lo
	s_delay_alu instid0(VALU_DEP_1)
	v_lshlrev_b32_e32 v36, 2, v10
	ds_bpermute_b32 v10, v36, v30
	ds_bpermute_b32 v11, v36, v31
	;; [unrolled: 1-line block ×16, first 2 shown]
	s_wait_dscnt 0xe
	v_add_f64_e32 v[10:11], v[30:31], v[10:11]
	s_wait_dscnt 0xc
	v_add_f64_e32 v[36:37], v[12:13], v[14:15]
	;; [unrolled: 2-line block ×6, first 2 shown]
	s_wait_dscnt 0x2
	v_dual_add_f64 v[16:17], v[28:29], v[42:43] :: v_dual_bitop2_b32 v22, 1, v1 bitop3:0x14
	s_wait_dscnt 0x0
	v_add_f64_e32 v[18:19], v[24:25], v[44:45]
	s_delay_alu instid0(VALU_DEP_2) | instskip(SKIP_2) | instid1(VALU_DEP_2)
	v_cmp_gt_i32_e32 vcc_lo, 32, v22
	v_cndmask_b32_e32 v1, v1, v22, vcc_lo
	v_cmp_eq_u32_e32 vcc_lo, 3, v0
	v_lshlrev_b32_e32 v1, 2, v1
	ds_bpermute_b32 v22, v1, v10
	ds_bpermute_b32 v23, v1, v11
	;; [unrolled: 1-line block ×16, first 2 shown]
	s_and_b32 exec_lo, exec_lo, vcc_lo
	s_cbranch_execz .LBB175_8
; %bb.38:
	s_wait_dscnt 0xc
	v_add_f64_e32 v[0:1], v[36:37], v[42:43]
	s_wait_dscnt 0x8
	v_add_f64_e32 v[30:31], v[30:31], v[40:41]
	;; [unrolled: 2-line block ×4, first 2 shown]
	v_add_f64_e32 v[38:39], v[10:11], v[22:23]
	v_add_f64_e32 v[40:41], v[12:13], v[24:25]
	;; [unrolled: 1-line block ×4, first 2 shown]
	v_cmp_eq_f64_e32 vcc_lo, 0, v[2:3]
	v_cmp_eq_f64_e64 s2, 0, v[4:5]
	s_load_b64 s[0:1], s[0:1], 0x68
	v_mul_f64_e64 v[22:23], v[0:1], -v[8:9]
	v_mul_f64_e32 v[24:25], v[6:7], v[0:1]
	v_mul_f64_e64 v[18:19], v[30:31], -v[8:9]
	v_mul_f64_e32 v[20:21], v[6:7], v[30:31]
	;; [unrolled: 2-line block ×4, first 2 shown]
	v_lshlrev_b64_e32 v[0:1], 6, v[26:27]
	s_and_b32 s2, vcc_lo, s2
	v_fmac_f64_e32 v[22:23], v[6:7], v[38:39]
	v_fmac_f64_e32 v[24:25], v[8:9], v[38:39]
	;; [unrolled: 1-line block ×8, first 2 shown]
	s_and_saveexec_b32 s3, s2
	s_delay_alu instid0(SALU_CYCLE_1)
	s_xor_b32 s2, exec_lo, s3
	s_cbranch_execz .LBB175_40
; %bb.39:
	s_wait_kmcnt 0x0
	v_add_nc_u64_e32 v[0:1], s[0:1], v[0:1]
                                        ; implicit-def: $vgpr4_vgpr5
	s_clause 0x3
	global_store_b128 v[0:1], v[22:25], off
	global_store_b128 v[0:1], v[18:21], off offset:16
	global_store_b128 v[0:1], v[14:17], off offset:32
	;; [unrolled: 1-line block ×3, first 2 shown]
                                        ; implicit-def: $vgpr22_vgpr23
                                        ; implicit-def: $vgpr0_vgpr1
                                        ; implicit-def: $vgpr18_vgpr19
                                        ; implicit-def: $vgpr14_vgpr15
                                        ; implicit-def: $vgpr10_vgpr11
.LBB175_40:
	s_wait_xcnt 0x0
	s_and_not1_saveexec_b32 s2, s2
	s_cbranch_execz .LBB175_8
; %bb.41:
	s_wait_kmcnt 0x0
	v_add_nc_u64_e32 v[0:1], s[0:1], v[0:1]
	s_clause 0x3
	global_load_b128 v[6:9], v[0:1], off
	global_load_b128 v[26:29], v[0:1], off offset:16
	global_load_b128 v[30:33], v[0:1], off offset:32
	;; [unrolled: 1-line block ×3, first 2 shown]
	s_wait_loadcnt 0x3
	v_fmac_f64_e32 v[22:23], v[2:3], v[6:7]
	v_fmac_f64_e32 v[24:25], v[4:5], v[6:7]
	s_wait_loadcnt 0x2
	v_fmac_f64_e32 v[18:19], v[2:3], v[26:27]
	v_fmac_f64_e32 v[20:21], v[4:5], v[26:27]
	;; [unrolled: 3-line block ×4, first 2 shown]
	v_fma_f64 v[22:23], -v[4:5], v[8:9], v[22:23]
	v_fmac_f64_e32 v[24:25], v[2:3], v[8:9]
	v_fma_f64 v[18:19], -v[4:5], v[28:29], v[18:19]
	v_fmac_f64_e32 v[20:21], v[2:3], v[28:29]
	;; [unrolled: 2-line block ×4, first 2 shown]
	s_clause 0x3
	global_store_b128 v[0:1], v[22:25], off
	global_store_b128 v[0:1], v[18:21], off offset:16
	global_store_b128 v[0:1], v[14:17], off offset:32
	;; [unrolled: 1-line block ×3, first 2 shown]
	s_sendmsg sendmsg(MSG_DEALLOC_VGPRS)
	s_endpgm
	.section	.rodata,"a",@progbits
	.p2align	6, 0x0
	.amdhsa_kernel _ZN9rocsparseL18bsrxmvn_4x4_kernelILj128ELj4E21rocsparse_complex_numIdEllS1_IfES2_S2_EEvT3_20rocsparse_direction_NS_24const_host_device_scalarIT1_EES4_PKS4_PKT2_SD_SA_PKT4_PKT5_S8_PT6_21rocsparse_index_base_b
		.amdhsa_group_segment_fixed_size 0
		.amdhsa_private_segment_fixed_size 0
		.amdhsa_kernarg_size 120
		.amdhsa_user_sgpr_count 2
		.amdhsa_user_sgpr_dispatch_ptr 0
		.amdhsa_user_sgpr_queue_ptr 0
		.amdhsa_user_sgpr_kernarg_segment_ptr 1
		.amdhsa_user_sgpr_dispatch_id 0
		.amdhsa_user_sgpr_kernarg_preload_length 0
		.amdhsa_user_sgpr_kernarg_preload_offset 0
		.amdhsa_user_sgpr_private_segment_size 0
		.amdhsa_wavefront_size32 1
		.amdhsa_uses_dynamic_stack 0
		.amdhsa_enable_private_segment 0
		.amdhsa_system_sgpr_workgroup_id_x 1
		.amdhsa_system_sgpr_workgroup_id_y 0
		.amdhsa_system_sgpr_workgroup_id_z 0
		.amdhsa_system_sgpr_workgroup_info 0
		.amdhsa_system_vgpr_workitem_id 0
		.amdhsa_next_free_vgpr 152
		.amdhsa_next_free_sgpr 12
		.amdhsa_named_barrier_count 0
		.amdhsa_reserve_vcc 1
		.amdhsa_float_round_mode_32 0
		.amdhsa_float_round_mode_16_64 0
		.amdhsa_float_denorm_mode_32 3
		.amdhsa_float_denorm_mode_16_64 3
		.amdhsa_fp16_overflow 0
		.amdhsa_memory_ordered 1
		.amdhsa_forward_progress 1
		.amdhsa_inst_pref_size 70
		.amdhsa_round_robin_scheduling 0
		.amdhsa_exception_fp_ieee_invalid_op 0
		.amdhsa_exception_fp_denorm_src 0
		.amdhsa_exception_fp_ieee_div_zero 0
		.amdhsa_exception_fp_ieee_overflow 0
		.amdhsa_exception_fp_ieee_underflow 0
		.amdhsa_exception_fp_ieee_inexact 0
		.amdhsa_exception_int_div_zero 0
	.end_amdhsa_kernel
	.section	.text._ZN9rocsparseL18bsrxmvn_4x4_kernelILj128ELj4E21rocsparse_complex_numIdEllS1_IfES2_S2_EEvT3_20rocsparse_direction_NS_24const_host_device_scalarIT1_EES4_PKS4_PKT2_SD_SA_PKT4_PKT5_S8_PT6_21rocsparse_index_base_b,"axG",@progbits,_ZN9rocsparseL18bsrxmvn_4x4_kernelILj128ELj4E21rocsparse_complex_numIdEllS1_IfES2_S2_EEvT3_20rocsparse_direction_NS_24const_host_device_scalarIT1_EES4_PKS4_PKT2_SD_SA_PKT4_PKT5_S8_PT6_21rocsparse_index_base_b,comdat
.Lfunc_end175:
	.size	_ZN9rocsparseL18bsrxmvn_4x4_kernelILj128ELj4E21rocsparse_complex_numIdEllS1_IfES2_S2_EEvT3_20rocsparse_direction_NS_24const_host_device_scalarIT1_EES4_PKS4_PKT2_SD_SA_PKT4_PKT5_S8_PT6_21rocsparse_index_base_b, .Lfunc_end175-_ZN9rocsparseL18bsrxmvn_4x4_kernelILj128ELj4E21rocsparse_complex_numIdEllS1_IfES2_S2_EEvT3_20rocsparse_direction_NS_24const_host_device_scalarIT1_EES4_PKS4_PKT2_SD_SA_PKT4_PKT5_S8_PT6_21rocsparse_index_base_b
                                        ; -- End function
	.set _ZN9rocsparseL18bsrxmvn_4x4_kernelILj128ELj4E21rocsparse_complex_numIdEllS1_IfES2_S2_EEvT3_20rocsparse_direction_NS_24const_host_device_scalarIT1_EES4_PKS4_PKT2_SD_SA_PKT4_PKT5_S8_PT6_21rocsparse_index_base_b.num_vgpr, 152
	.set _ZN9rocsparseL18bsrxmvn_4x4_kernelILj128ELj4E21rocsparse_complex_numIdEllS1_IfES2_S2_EEvT3_20rocsparse_direction_NS_24const_host_device_scalarIT1_EES4_PKS4_PKT2_SD_SA_PKT4_PKT5_S8_PT6_21rocsparse_index_base_b.num_agpr, 0
	.set _ZN9rocsparseL18bsrxmvn_4x4_kernelILj128ELj4E21rocsparse_complex_numIdEllS1_IfES2_S2_EEvT3_20rocsparse_direction_NS_24const_host_device_scalarIT1_EES4_PKS4_PKT2_SD_SA_PKT4_PKT5_S8_PT6_21rocsparse_index_base_b.numbered_sgpr, 12
	.set _ZN9rocsparseL18bsrxmvn_4x4_kernelILj128ELj4E21rocsparse_complex_numIdEllS1_IfES2_S2_EEvT3_20rocsparse_direction_NS_24const_host_device_scalarIT1_EES4_PKS4_PKT2_SD_SA_PKT4_PKT5_S8_PT6_21rocsparse_index_base_b.num_named_barrier, 0
	.set _ZN9rocsparseL18bsrxmvn_4x4_kernelILj128ELj4E21rocsparse_complex_numIdEllS1_IfES2_S2_EEvT3_20rocsparse_direction_NS_24const_host_device_scalarIT1_EES4_PKS4_PKT2_SD_SA_PKT4_PKT5_S8_PT6_21rocsparse_index_base_b.private_seg_size, 0
	.set _ZN9rocsparseL18bsrxmvn_4x4_kernelILj128ELj4E21rocsparse_complex_numIdEllS1_IfES2_S2_EEvT3_20rocsparse_direction_NS_24const_host_device_scalarIT1_EES4_PKS4_PKT2_SD_SA_PKT4_PKT5_S8_PT6_21rocsparse_index_base_b.uses_vcc, 1
	.set _ZN9rocsparseL18bsrxmvn_4x4_kernelILj128ELj4E21rocsparse_complex_numIdEllS1_IfES2_S2_EEvT3_20rocsparse_direction_NS_24const_host_device_scalarIT1_EES4_PKS4_PKT2_SD_SA_PKT4_PKT5_S8_PT6_21rocsparse_index_base_b.uses_flat_scratch, 0
	.set _ZN9rocsparseL18bsrxmvn_4x4_kernelILj128ELj4E21rocsparse_complex_numIdEllS1_IfES2_S2_EEvT3_20rocsparse_direction_NS_24const_host_device_scalarIT1_EES4_PKS4_PKT2_SD_SA_PKT4_PKT5_S8_PT6_21rocsparse_index_base_b.has_dyn_sized_stack, 0
	.set _ZN9rocsparseL18bsrxmvn_4x4_kernelILj128ELj4E21rocsparse_complex_numIdEllS1_IfES2_S2_EEvT3_20rocsparse_direction_NS_24const_host_device_scalarIT1_EES4_PKS4_PKT2_SD_SA_PKT4_PKT5_S8_PT6_21rocsparse_index_base_b.has_recursion, 0
	.set _ZN9rocsparseL18bsrxmvn_4x4_kernelILj128ELj4E21rocsparse_complex_numIdEllS1_IfES2_S2_EEvT3_20rocsparse_direction_NS_24const_host_device_scalarIT1_EES4_PKS4_PKT2_SD_SA_PKT4_PKT5_S8_PT6_21rocsparse_index_base_b.has_indirect_call, 0
	.section	.AMDGPU.csdata,"",@progbits
; Kernel info:
; codeLenInByte = 8916
; TotalNumSgprs: 14
; NumVgprs: 152
; ScratchSize: 0
; MemoryBound: 0
; FloatMode: 240
; IeeeMode: 1
; LDSByteSize: 0 bytes/workgroup (compile time only)
; SGPRBlocks: 0
; VGPRBlocks: 9
; NumSGPRsForWavesPerEU: 14
; NumVGPRsForWavesPerEU: 152
; NamedBarCnt: 0
; Occupancy: 6
; WaveLimiterHint : 1
; COMPUTE_PGM_RSRC2:SCRATCH_EN: 0
; COMPUTE_PGM_RSRC2:USER_SGPR: 2
; COMPUTE_PGM_RSRC2:TRAP_HANDLER: 0
; COMPUTE_PGM_RSRC2:TGID_X_EN: 1
; COMPUTE_PGM_RSRC2:TGID_Y_EN: 0
; COMPUTE_PGM_RSRC2:TGID_Z_EN: 0
; COMPUTE_PGM_RSRC2:TIDIG_COMP_CNT: 0
	.section	.text._ZN9rocsparseL18bsrxmvn_4x4_kernelILj128ELj8E21rocsparse_complex_numIdEllS1_IfES2_S2_EEvT3_20rocsparse_direction_NS_24const_host_device_scalarIT1_EES4_PKS4_PKT2_SD_SA_PKT4_PKT5_S8_PT6_21rocsparse_index_base_b,"axG",@progbits,_ZN9rocsparseL18bsrxmvn_4x4_kernelILj128ELj8E21rocsparse_complex_numIdEllS1_IfES2_S2_EEvT3_20rocsparse_direction_NS_24const_host_device_scalarIT1_EES4_PKS4_PKT2_SD_SA_PKT4_PKT5_S8_PT6_21rocsparse_index_base_b,comdat
	.globl	_ZN9rocsparseL18bsrxmvn_4x4_kernelILj128ELj8E21rocsparse_complex_numIdEllS1_IfES2_S2_EEvT3_20rocsparse_direction_NS_24const_host_device_scalarIT1_EES4_PKS4_PKT2_SD_SA_PKT4_PKT5_S8_PT6_21rocsparse_index_base_b ; -- Begin function _ZN9rocsparseL18bsrxmvn_4x4_kernelILj128ELj8E21rocsparse_complex_numIdEllS1_IfES2_S2_EEvT3_20rocsparse_direction_NS_24const_host_device_scalarIT1_EES4_PKS4_PKT2_SD_SA_PKT4_PKT5_S8_PT6_21rocsparse_index_base_b
	.p2align	8
	.type	_ZN9rocsparseL18bsrxmvn_4x4_kernelILj128ELj8E21rocsparse_complex_numIdEllS1_IfES2_S2_EEvT3_20rocsparse_direction_NS_24const_host_device_scalarIT1_EES4_PKS4_PKT2_SD_SA_PKT4_PKT5_S8_PT6_21rocsparse_index_base_b,@function
_ZN9rocsparseL18bsrxmvn_4x4_kernelILj128ELj8E21rocsparse_complex_numIdEllS1_IfES2_S2_EEvT3_20rocsparse_direction_NS_24const_host_device_scalarIT1_EES4_PKS4_PKT2_SD_SA_PKT4_PKT5_S8_PT6_21rocsparse_index_base_b: ; @_ZN9rocsparseL18bsrxmvn_4x4_kernelILj128ELj8E21rocsparse_complex_numIdEllS1_IfES2_S2_EEvT3_20rocsparse_direction_NS_24const_host_device_scalarIT1_EES4_PKS4_PKT2_SD_SA_PKT4_PKT5_S8_PT6_21rocsparse_index_base_b
; %bb.0:
	s_clause 0x1
	s_load_b64 s[4:5], s[0:1], 0x70
	s_load_b64 s[2:3], s[0:1], 0x10
	v_mov_b32_e32 v1, 0
	s_add_nc_u64 s[6:7], s[0:1], 16
	s_load_b64 s[8:9], s[0:1], 0x58
	s_wait_kmcnt 0x0
	s_bitcmp1_b32 s5, 0
	s_cselect_b32 s3, s7, s3
	s_cselect_b32 s2, s6, s2
	flat_load_b128 v[6:9], v1, s[2:3]
	s_wait_xcnt 0x0
	s_add_nc_u64 s[2:3], s[0:1], 0x58
	s_delay_alu instid0(SALU_CYCLE_1)
	s_cselect_b32 s3, s3, s9
	s_cselect_b32 s2, s2, s8
	flat_load_b128 v[2:5], v1, s[2:3]
	s_wait_loadcnt_dscnt 0x101
	v_cmp_eq_f64_e32 vcc_lo, 0, v[6:7]
	s_wait_xcnt 0x0
	v_cmp_eq_f64_e64 s2, 0, v[8:9]
	s_and_b32 s5, vcc_lo, s2
	s_mov_b32 s2, -1
	s_and_saveexec_b32 s3, s5
	s_cbranch_execz .LBB176_2
; %bb.1:
	s_wait_loadcnt_dscnt 0x0
	v_cmp_neq_f64_e32 vcc_lo, 1.0, v[2:3]
	v_cmp_neq_f64_e64 s2, 0, v[4:5]
	s_or_b32 s2, vcc_lo, s2
	s_delay_alu instid0(SALU_CYCLE_1)
	s_or_not1_b32 s2, s2, exec_lo
.LBB176_2:
	s_or_b32 exec_lo, exec_lo, s3
	s_and_saveexec_b32 s3, s2
	s_cbranch_execz .LBB176_8
; %bb.3:
	s_load_b64 s[2:3], s[0:1], 0x28
	s_bfe_u32 s5, ttmp6, 0x4000c
	s_and_b32 s6, ttmp6, 15
	s_add_co_i32 s5, s5, 1
	s_getreg_b32 s7, hwreg(HW_REG_IB_STS2, 6, 4)
	s_mul_i32 s5, ttmp9, s5
	v_dual_lshrrev_b32 v1, 3, v0 :: v_dual_mov_b32 v13, 0
	s_add_co_i32 s6, s6, s5
	s_cmp_eq_u32 s7, 0
	s_cselect_b32 s5, ttmp9, s6
	s_mov_b32 s6, 0
	v_lshl_or_b32 v12, s5, 4, v1
	s_wait_kmcnt 0x0
	s_cmp_lg_u64 s[2:3], 0
	s_cbranch_scc0 .LBB176_9
; %bb.4:
	s_load_b64 s[6:7], s[0:1], 0x20
                                        ; implicit-def: $vgpr26_vgpr27
                                        ; implicit-def: $vgpr10_vgpr11
	s_wait_kmcnt 0x0
	v_cmp_gt_i64_e32 vcc_lo, s[6:7], v[12:13]
	s_mov_b32 s7, 0
	s_mov_b32 s6, 0
	s_and_saveexec_b32 s5, vcc_lo
	s_delay_alu instid0(SALU_CYCLE_1)
	s_xor_b32 s8, exec_lo, s5
	s_cbranch_execz .LBB176_6
; %bb.5:
	v_lshl_add_u64 v[10:11], v[12:13], 3, s[2:3]
	s_mov_b32 s5, 0
	s_mov_b32 s6, exec_lo
	global_load_b64 v[10:11], v[10:11], off
	s_wait_loadcnt 0x0
	v_sub_nc_u64_e64 v[26:27], v[10:11], s[4:5]
	v_mov_b64_e32 v[10:11], s[4:5]
.LBB176_6:
	s_or_b32 exec_lo, exec_lo, s8
	s_delay_alu instid0(SALU_CYCLE_1)
	s_and_b32 vcc_lo, exec_lo, s7
	s_cbranch_vccnz .LBB176_10
.LBB176_7:
	s_and_b32 exec_lo, exec_lo, s6
	s_cbranch_execnz .LBB176_13
.LBB176_8:
	s_sendmsg sendmsg(MSG_DEALLOC_VGPRS)
	s_endpgm
.LBB176_9:
                                        ; implicit-def: $vgpr26_vgpr27
                                        ; implicit-def: $vgpr10_vgpr11
	s_cbranch_execz .LBB176_7
.LBB176_10:
	s_load_b64 s[2:3], s[0:1], 0x0
	s_wait_kmcnt 0x0
	v_cmp_gt_i64_e32 vcc_lo, s[2:3], v[12:13]
	s_and_saveexec_b32 s2, vcc_lo
; %bb.11:
	s_mov_b32 s5, 0
	s_or_b32 s6, s6, exec_lo
; %bb.12:
	s_or_b32 exec_lo, exec_lo, s2
	v_mov_b64_e32 v[10:11], s[4:5]
	v_mov_b64_e32 v[26:27], v[12:13]
	s_and_b32 exec_lo, exec_lo, s6
	s_cbranch_execz .LBB176_8
.LBB176_13:
	s_load_b256 s[4:11], s[0:1], 0x30
	s_delay_alu instid0(VALU_DEP_1) | instskip(SKIP_3) | instid1(VALU_DEP_2)
	v_lshlrev_b64_e32 v[12:13], 3, v[26:27]
	v_dual_mov_b32 v1, 0 :: v_dual_bitop2_b32 v0, 7, v0 bitop3:0x40
	s_load_b32 s3, s[0:1], 0x8
	s_wait_kmcnt 0x0
	v_add_nc_u64_e32 v[14:15], s[4:5], v[12:13]
	v_add_nc_u64_e32 v[12:13], s[6:7], v[12:13]
	s_cmp_eq_u64 s[6:7], 0
	s_load_b64 s[4:5], s[0:1], 0x50
	s_cselect_b32 vcc_lo, -1, 0
	s_cmp_eq_u32 s3, 1
	global_load_b64 v[36:37], v[14:15], off
	s_wait_xcnt 0x0
	v_add_nc_u64_e32 v[14:15], 8, v[14:15]
	s_delay_alu instid0(VALU_DEP_1) | instskip(SKIP_3) | instid1(VALU_DEP_1)
	v_dual_cndmask_b32 v13, v13, v15 :: v_dual_cndmask_b32 v12, v12, v14
	global_load_b64 v[12:13], v[12:13], off
	s_wait_loadcnt 0x1
	v_sub_nc_u64_e32 v[14:15], v[36:37], v[10:11]
	v_add_nc_u64_e32 v[20:21], v[14:15], v[0:1]
	s_wait_loadcnt 0x0
	v_sub_nc_u64_e32 v[22:23], v[12:13], v[10:11]
	s_delay_alu instid0(VALU_DEP_2) | instskip(NEXT) | instid1(VALU_DEP_2)
	v_lshlrev_b64_e32 v[14:15], 7, v[20:21]
	v_cmp_lt_i64_e64 s2, v[20:21], v[22:23]
	s_delay_alu instid0(VALU_DEP_2)
	v_add_nc_u64_e32 v[24:25], s[10:11], v[14:15]
	s_cbranch_scc1 .LBB176_25
; %bb.14:
	v_mov_b64_e32 v[12:13], 0
	v_mov_b64_e32 v[30:31], 0
	;; [unrolled: 1-line block ×8, first 2 shown]
	s_and_saveexec_b32 s3, s2
	s_cbranch_execz .LBB176_24
; %bb.15:
	v_dual_mov_b32 v13, v1 :: v_dual_bitop2_b32 v12, 8, v0 bitop3:0x54
	v_sub_nc_u64_e32 v[14:15], v[10:11], v[0:1]
	v_not_b32_e32 v17, v37
	v_not_b32_e32 v16, v36
	v_mov_b64_e32 v[28:29], 0
	v_sub_nc_u64_e32 v[12:13], v[12:13], v[10:11]
	v_mov_b64_e32 v[18:19], 0
	v_mov_b64_e32 v[34:35], 0
	v_add_nc_u64_e32 v[14:15], v[14:15], v[16:17]
	v_mov_b64_e32 v[16:17], 0
	v_mov_b64_e32 v[32:33], 0
	;; [unrolled: 1-line block ×3, first 2 shown]
	v_add_nc_u64_e32 v[12:13], v[12:13], v[36:37]
	v_mov_b64_e32 v[38:39], v[24:25]
	v_mov_b64_e32 v[40:41], v[20:21]
	s_mov_b32 s6, exec_lo
	s_delay_alu instid0(VALU_DEP_3) | instskip(NEXT) | instid1(VALU_DEP_1)
	v_max_i64 v[12:13], v[12:13], v[22:23]
	v_add_nc_u64_e32 v[42:43], v[14:15], v[12:13]
	v_mov_b64_e32 v[14:15], 0
	v_mov_b64_e32 v[12:13], 0
	s_delay_alu instid0(VALU_DEP_3) | instskip(NEXT) | instid1(VALU_DEP_1)
	v_dual_mov_b32 v47, 0 :: v_dual_bitop2_b32 v46, 24, v42 bitop3:0x40
	v_cmpx_ne_u64_e32 24, v[46:47]
	s_cbranch_execz .LBB176_19
; %bb.16:
	v_lshrrev_b32_e32 v12, 3, v42
	v_mov_b64_e32 v[30:31], 0
	v_mov_b64_e32 v[14:15], 0
	;; [unrolled: 1-line block ×4, first 2 shown]
	v_add_nc_u32_e32 v16, 1, v12
	v_mov_b64_e32 v[12:13], 0
	v_mov_b64_e32 v[18:19], 0
	;; [unrolled: 1-line block ×4, first 2 shown]
	v_and_b32_e32 v46, 3, v16
	v_mov_b64_e32 v[16:17], 0
	v_mov_b64_e32 v[38:39], v[24:25]
	v_lshl_add_u64 v[44:45], v[20:21], 3, s[8:9]
	s_mov_b32 s7, 0
	v_sub_nc_u64_e32 v[46:47], 0, v[46:47]
.LBB176_17:                             ; =>This Inner Loop Header: Depth=1
	global_load_b64 v[68:69], v[44:45], off
	s_clause 0x4
	global_load_b128 v[48:51], v[38:39], off
	global_load_b128 v[52:55], v[38:39], off offset:32
	global_load_b128 v[56:59], v[38:39], off offset:64
	;; [unrolled: 1-line block ×4, first 2 shown]
	v_add_nc_u64_e32 v[46:47], 1, v[46:47]
	v_add_nc_u64_e32 v[40:41], 8, v[40:41]
	s_wait_xcnt 0x5
	v_add_nc_u64_e32 v[44:45], 64, v[44:45]
	s_delay_alu instid0(VALU_DEP_3)
	v_cmp_eq_u64_e32 vcc_lo, 0, v[46:47]
	s_or_b32 s7, vcc_lo, s7
	s_wait_loadcnt 0x5
	v_sub_nc_u64_e32 v[68:69], v[68:69], v[10:11]
	s_wait_loadcnt 0x3
	v_cvt_f64_f32_e32 v[98:99], v52
	v_cvt_f64_f32_e32 v[52:53], v53
	s_wait_loadcnt 0x2
	v_cvt_f64_f32_e32 v[100:101], v56
	v_cvt_f64_f32_e32 v[56:57], v57
	s_wait_loadcnt 0x1
	v_cvt_f64_f32_e32 v[102:103], v60
	v_lshlrev_b64_e32 v[68:69], 6, v[68:69]
	v_cvt_f64_f32_e32 v[60:61], v61
	v_cvt_f64_f32_e32 v[104:105], v54
	;; [unrolled: 1-line block ×6, first 2 shown]
	s_wait_kmcnt 0x0
	v_add_nc_u64_e32 v[96:97], s[4:5], v[68:69]
	v_cvt_f64_f32_e32 v[62:63], v63
	s_clause 0x1
	global_load_b128 v[68:71], v[96:97], off
	global_load_b128 v[72:75], v[96:97], off offset:16
	s_clause 0x2
	global_load_b128 v[76:79], v[38:39], off offset:16
	global_load_b128 v[80:83], v[38:39], off offset:80
	;; [unrolled: 1-line block ×3, first 2 shown]
	s_clause 0x1
	global_load_b128 v[88:91], v[96:97], off offset:32
	global_load_b128 v[92:95], v[96:97], off offset:48
	s_wait_xcnt 0x0
	v_cvt_f64_f32_e32 v[96:97], v48
	v_cvt_f64_f32_e32 v[48:49], v49
	v_add_nc_u64_e32 v[38:39], 0x400, v[38:39]
	s_wait_loadcnt 0x6
	s_delay_alu instid0(VALU_DEP_3) | instskip(NEXT) | instid1(VALU_DEP_3)
	v_fmac_f64_e32 v[30:31], v[96:97], v[68:69]
	v_fmac_f64_e32 v[12:13], v[48:49], v[68:69]
	;; [unrolled: 1-line block ×8, first 2 shown]
	v_cvt_f64_f32_e32 v[68:69], v50
	v_cvt_f64_f32_e32 v[50:51], v51
	v_fma_f64 v[30:31], -v[48:49], v[70:71], v[30:31]
	v_fmac_f64_e32 v[12:13], v[96:97], v[70:71]
	v_fma_f64 v[32:33], -v[52:53], v[70:71], v[32:33]
	v_fmac_f64_e32 v[14:15], v[98:99], v[70:71]
	;; [unrolled: 2-line block ×4, first 2 shown]
	s_wait_loadcnt 0x4
	v_cvt_f64_f32_e32 v[48:49], v76
	v_cvt_f64_f32_e32 v[52:53], v77
	v_cvt_f64_f32_e32 v[56:57], v64
	v_cvt_f64_f32_e32 v[60:61], v65
	s_wait_loadcnt 0x3
	v_cvt_f64_f32_e32 v[64:65], v80
	v_cvt_f64_f32_e32 v[70:71], v81
	s_wait_loadcnt 0x2
	v_cvt_f64_f32_e32 v[76:77], v85
	v_fmac_f64_e32 v[30:31], v[68:69], v[72:73]
	v_fmac_f64_e32 v[12:13], v[50:51], v[72:73]
	;; [unrolled: 1-line block ×8, first 2 shown]
	v_cvt_f64_f32_e32 v[72:73], v84
	v_fma_f64 v[30:31], -v[50:51], v[74:75], v[30:31]
	v_fmac_f64_e32 v[12:13], v[68:69], v[74:75]
	v_fma_f64 v[32:33], -v[54:55], v[74:75], v[32:33]
	v_fmac_f64_e32 v[14:15], v[104:105], v[74:75]
	;; [unrolled: 2-line block ×4, first 2 shown]
	v_cvt_f64_f32_e32 v[50:51], v78
	v_cvt_f64_f32_e32 v[54:55], v79
	;; [unrolled: 1-line block ×8, first 2 shown]
	s_wait_loadcnt 0x1
	v_fmac_f64_e32 v[30:31], v[48:49], v[88:89]
	v_fmac_f64_e32 v[12:13], v[52:53], v[88:89]
	;; [unrolled: 1-line block ×8, first 2 shown]
	v_fma_f64 v[30:31], -v[52:53], v[90:91], v[30:31]
	v_fmac_f64_e32 v[12:13], v[48:49], v[90:91]
	v_fma_f64 v[32:33], -v[60:61], v[90:91], v[32:33]
	v_fmac_f64_e32 v[14:15], v[56:57], v[90:91]
	;; [unrolled: 2-line block ×4, first 2 shown]
	s_wait_loadcnt 0x0
	v_fmac_f64_e32 v[30:31], v[50:51], v[92:93]
	v_fmac_f64_e32 v[12:13], v[54:55], v[92:93]
	;; [unrolled: 1-line block ×8, first 2 shown]
	v_fma_f64 v[30:31], -v[54:55], v[94:95], v[30:31]
	v_fmac_f64_e32 v[12:13], v[50:51], v[94:95]
	v_fma_f64 v[32:33], -v[62:63], v[94:95], v[32:33]
	v_fmac_f64_e32 v[14:15], v[58:59], v[94:95]
	;; [unrolled: 2-line block ×4, first 2 shown]
	s_and_not1_b32 exec_lo, exec_lo, s7
	s_cbranch_execnz .LBB176_17
; %bb.18:
	s_or_b32 exec_lo, exec_lo, s7
.LBB176_19:
	s_delay_alu instid0(SALU_CYCLE_1) | instskip(NEXT) | instid1(SALU_CYCLE_1)
	s_or_b32 exec_lo, exec_lo, s6
	s_mov_b32 s6, exec_lo
	v_cmpx_lt_u64_e32 23, v[42:43]
	s_cbranch_execz .LBB176_23
; %bb.20:
	v_lshl_add_u64 v[42:43], v[40:41], 3, s[8:9]
	s_mov_b32 s7, 0
	s_delay_alu instid0(VALU_DEP_1)
	v_add_nc_u64_e32 v[42:43], 0x80, v[42:43]
.LBB176_21:                             ; =>This Inner Loop Header: Depth=1
	s_clause 0x1
	global_load_b64 v[60:61], v[42:43], off offset:-128
	global_load_b64 v[108:109], v[42:43], off offset:-64
	s_clause 0x3
	global_load_b128 v[44:47], v[38:39], off
	global_load_b128 v[48:51], v[38:39], off offset:32
	global_load_b128 v[52:55], v[38:39], off offset:64
	;; [unrolled: 1-line block ×3, first 2 shown]
	s_clause 0x1
	global_load_b64 v[132:133], v[42:43], off
	global_load_b64 v[134:135], v[42:43], off offset:64
	v_add_nc_u64_e32 v[40:41], 32, v[40:41]
	s_wait_xcnt 0x0
	v_add_nc_u64_e32 v[42:43], 0x100, v[42:43]
	s_delay_alu instid0(VALU_DEP_2)
	v_cmp_ge_i64_e32 vcc_lo, v[40:41], v[22:23]
	s_or_b32 s7, vcc_lo, s7
	s_wait_loadcnt 0x7
	v_sub_nc_u64_e32 v[60:61], v[60:61], v[10:11]
	s_wait_loadcnt 0x6
	v_sub_nc_u64_e32 v[108:109], v[108:109], v[10:11]
	s_wait_loadcnt 0x5
	v_cvt_f64_f32_e32 v[138:139], v44
	v_cvt_f64_f32_e32 v[44:45], v45
	s_wait_loadcnt 0x4
	v_cvt_f64_f32_e32 v[140:141], v48
	v_cvt_f64_f32_e32 v[48:49], v49
	s_wait_loadcnt 0x3
	v_cvt_f64_f32_e32 v[142:143], v52
	v_lshlrev_b64_e32 v[60:61], 6, v[60:61]
	v_lshlrev_b64_e32 v[108:109], 6, v[108:109]
	v_cvt_f64_f32_e32 v[52:53], v53
	s_wait_loadcnt 0x2
	v_cvt_f64_f32_e32 v[144:145], v56
	v_cvt_f64_f32_e32 v[56:57], v57
	;; [unrolled: 1-line block ×4, first 2 shown]
	s_wait_kmcnt 0x0
	v_add_nc_u64_e32 v[110:111], s[4:5], v[60:61]
	v_add_nc_u64_e32 v[136:137], s[4:5], v[108:109]
	v_cvt_f64_f32_e32 v[148:149], v54
	v_cvt_f64_f32_e32 v[54:55], v55
	;; [unrolled: 1-line block ×4, first 2 shown]
	s_clause 0x1
	global_load_b128 v[60:63], v[110:111], off
	global_load_b128 v[64:67], v[110:111], off offset:16
	s_clause 0x3
	global_load_b128 v[68:71], v[38:39], off offset:16
	global_load_b128 v[72:75], v[38:39], off offset:48
	;; [unrolled: 1-line block ×4, first 2 shown]
	s_clause 0x1
	global_load_b128 v[84:87], v[110:111], off offset:32
	global_load_b128 v[88:91], v[110:111], off offset:48
	s_clause 0x3
	global_load_b128 v[92:95], v[38:39], off offset:1024
	global_load_b128 v[96:99], v[38:39], off offset:1056
	;; [unrolled: 1-line block ×4, first 2 shown]
	s_clause 0x1
	global_load_b128 v[108:111], v[136:137], off
	global_load_b128 v[112:115], v[136:137], off offset:16
	s_clause 0x3
	global_load_b128 v[116:119], v[38:39], off offset:1072
	global_load_b128 v[120:123], v[38:39], off offset:1040
	;; [unrolled: 1-line block ×4, first 2 shown]
	s_wait_loadcnt 0x11
	v_fmac_f64_e32 v[30:31], v[138:139], v[60:61]
	v_fmac_f64_e32 v[12:13], v[44:45], v[60:61]
	;; [unrolled: 1-line block ×8, first 2 shown]
	v_cvt_f64_f32_e32 v[60:61], v46
	v_cvt_f64_f32_e32 v[46:47], v47
	v_fma_f64 v[44:45], -v[44:45], v[62:63], v[30:31]
	v_fmac_f64_e32 v[12:13], v[138:139], v[62:63]
	v_fma_f64 v[32:33], -v[48:49], v[62:63], v[32:33]
	v_fmac_f64_e32 v[14:15], v[140:141], v[62:63]
	;; [unrolled: 2-line block ×4, first 2 shown]
	global_load_b128 v[28:31], v[136:137], off offset:32
	s_wait_loadcnt 0x10
	v_cvt_f64_f32_e32 v[62:63], v68
	s_wait_loadcnt 0xe
	v_cvt_f64_f32_e32 v[138:139], v76
	v_cvt_f64_f32_e32 v[76:77], v77
	s_wait_loadcnt 0xd
	v_cvt_f64_f32_e32 v[140:141], v80
	v_cvt_f64_f32_e32 v[80:81], v81
	v_fmac_f64_e32 v[44:45], v[60:61], v[64:65]
	v_fmac_f64_e32 v[12:13], v[46:47], v[64:65]
	;; [unrolled: 1-line block ×8, first 2 shown]
	v_cvt_f64_f32_e32 v[64:65], v69
	v_cvt_f64_f32_e32 v[68:69], v72
	;; [unrolled: 1-line block ×3, first 2 shown]
	v_fma_f64 v[142:143], -v[46:47], v[66:67], v[44:45]
	v_fmac_f64_e32 v[12:13], v[60:61], v[66:67]
	v_fma_f64 v[60:61], -v[50:51], v[66:67], v[32:33]
	v_fmac_f64_e32 v[14:15], v[146:147], v[66:67]
	;; [unrolled: 2-line block ×4, first 2 shown]
	global_load_b128 v[32:35], v[136:137], off offset:48
	s_clause 0x3
	global_load_b128 v[44:47], v[38:39], off offset:2080
	global_load_b128 v[48:51], v[38:39], off offset:2048
	;; [unrolled: 1-line block ×4, first 2 shown]
	v_cvt_f64_f32_e32 v[66:67], v70
	v_cvt_f64_f32_e32 v[70:71], v71
	s_wait_xcnt 0x4
	v_cvt_f64_f32_e32 v[136:137], v78
	v_cvt_f64_f32_e32 v[78:79], v79
	;; [unrolled: 1-line block ×4, first 2 shown]
	s_wait_loadcnt 0x11
	v_fmac_f64_e32 v[142:143], v[62:63], v[84:85]
	v_fmac_f64_e32 v[12:13], v[64:65], v[84:85]
	;; [unrolled: 1-line block ×8, first 2 shown]
	v_cvt_f64_f32_e32 v[84:85], v74
	v_cvt_f64_f32_e32 v[74:75], v75
	v_fma_f64 v[64:65], -v[64:65], v[86:87], v[142:143]
	v_fmac_f64_e32 v[12:13], v[62:63], v[86:87]
	v_fma_f64 v[72:73], -v[72:73], v[86:87], v[60:61]
	v_fmac_f64_e32 v[14:15], v[68:69], v[86:87]
	;; [unrolled: 2-line block ×4, first 2 shown]
	v_sub_nc_u64_e32 v[60:61], v[132:133], v[10:11]
	s_wait_loadcnt 0xf
	v_cvt_f64_f32_e32 v[86:87], v92
	s_wait_loadcnt 0xd
	v_cvt_f64_f32_e32 v[138:139], v100
	v_cvt_f64_f32_e32 v[100:101], v101
	s_wait_loadcnt 0xc
	v_cvt_f64_f32_e32 v[140:141], v104
	v_cvt_f64_f32_e32 v[104:105], v105
	;; [unrolled: 1-line block ×3, first 2 shown]
	v_lshlrev_b64_e32 v[60:61], 6, v[60:61]
	v_cvt_f64_f32_e32 v[102:103], v103
	s_delay_alu instid0(VALU_DEP_2)
	v_add_nc_u64_e32 v[132:133], s[4:5], v[60:61]
	global_load_b128 v[60:63], v[132:133], off
	v_fmac_f64_e32 v[64:65], v[66:67], v[88:89]
	v_fmac_f64_e32 v[12:13], v[70:71], v[88:89]
	;; [unrolled: 1-line block ×8, first 2 shown]
	v_cvt_f64_f32_e32 v[88:89], v93
	v_cvt_f64_f32_e32 v[92:93], v96
	;; [unrolled: 1-line block ×3, first 2 shown]
	v_fma_f64 v[142:143], -v[70:71], v[90:91], v[64:65]
	v_fmac_f64_e32 v[12:13], v[66:67], v[90:91]
	v_fma_f64 v[144:145], -v[74:75], v[90:91], v[72:73]
	v_fmac_f64_e32 v[14:15], v[84:85], v[90:91]
	;; [unrolled: 2-line block ×4, first 2 shown]
	global_load_b128 v[64:67], v[132:133], off offset:16
	s_clause 0x3
	global_load_b128 v[68:71], v[38:39], off offset:2096
	global_load_b128 v[72:75], v[38:39], off offset:2064
	;; [unrolled: 1-line block ×4, first 2 shown]
	v_cvt_f64_f32_e32 v[90:91], v94
	v_cvt_f64_f32_e32 v[94:95], v95
	;; [unrolled: 1-line block ×4, first 2 shown]
	s_wait_loadcnt 0x11
	v_fmac_f64_e32 v[142:143], v[86:87], v[108:109]
	v_fmac_f64_e32 v[12:13], v[88:89], v[108:109]
	;; [unrolled: 1-line block ×8, first 2 shown]
	v_cvt_f64_f32_e32 v[108:109], v98
	v_cvt_f64_f32_e32 v[98:99], v99
	v_fma_f64 v[88:89], -v[88:89], v[110:111], v[142:143]
	v_fmac_f64_e32 v[12:13], v[86:87], v[110:111]
	v_fma_f64 v[96:97], -v[96:97], v[110:111], v[144:145]
	v_fmac_f64_e32 v[14:15], v[92:93], v[110:111]
	;; [unrolled: 2-line block ×4, first 2 shown]
	global_load_b128 v[84:87], v[132:133], off offset:32
	s_wait_loadcnt 0xf
	v_cvt_f64_f32_e32 v[110:111], v120
	s_wait_loadcnt 0xe
	v_cvt_f64_f32_e32 v[136:137], v124
	v_cvt_f64_f32_e32 v[124:125], v125
	s_wait_loadcnt 0xd
	v_cvt_f64_f32_e32 v[138:139], v128
	v_cvt_f64_f32_e32 v[128:129], v129
	v_fmac_f64_e32 v[88:89], v[90:91], v[112:113]
	v_fmac_f64_e32 v[12:13], v[94:95], v[112:113]
	;; [unrolled: 1-line block ×8, first 2 shown]
	v_cvt_f64_f32_e32 v[112:113], v121
	v_cvt_f64_f32_e32 v[120:121], v116
	v_cvt_f64_f32_e32 v[116:117], v117
	v_fma_f64 v[140:141], -v[94:95], v[114:115], v[88:89]
	v_fmac_f64_e32 v[12:13], v[90:91], v[114:115]
	v_fma_f64 v[142:143], -v[98:99], v[114:115], v[96:97]
	v_fmac_f64_e32 v[14:15], v[108:109], v[114:115]
	;; [unrolled: 2-line block ×4, first 2 shown]
	global_load_b128 v[88:91], v[132:133], off offset:48
	s_clause 0x3
	global_load_b128 v[92:95], v[38:39], off offset:3104
	global_load_b128 v[96:99], v[38:39], off offset:3072
	global_load_b128 v[100:103], v[38:39], off offset:3136
	global_load_b128 v[104:107], v[38:39], off offset:3168
	v_cvt_f64_f32_e32 v[114:115], v122
	v_cvt_f64_f32_e32 v[122:123], v123
	s_wait_xcnt 0x4
	v_cvt_f64_f32_e32 v[132:133], v118
	v_cvt_f64_f32_e32 v[118:119], v119
	v_cvt_f64_f32_e32 v[146:147], v126
	v_cvt_f64_f32_e32 v[126:127], v127
	v_cvt_f64_f32_e32 v[148:149], v130
	v_cvt_f64_f32_e32 v[130:131], v131
	s_wait_loadcnt 0x11
	v_fmac_f64_e32 v[140:141], v[110:111], v[28:29]
	v_fmac_f64_e32 v[12:13], v[112:113], v[28:29]
	;; [unrolled: 1-line block ×8, first 2 shown]
	v_sub_nc_u64_e32 v[28:29], v[134:135], v[10:11]
	s_delay_alu instid0(VALU_DEP_1)
	v_lshlrev_b64_e32 v[28:29], 6, v[28:29]
	v_fma_f64 v[112:113], -v[112:113], v[30:31], v[140:141]
	v_fmac_f64_e32 v[12:13], v[110:111], v[30:31]
	v_fma_f64 v[110:111], -v[116:117], v[30:31], v[142:143]
	v_fmac_f64_e32 v[14:15], v[120:121], v[30:31]
	;; [unrolled: 2-line block ×4, first 2 shown]
	v_add_nc_u64_e32 v[124:125], s[4:5], v[28:29]
	s_wait_loadcnt 0xe
	v_cvt_f64_f32_e32 v[128:129], v48
	v_cvt_f64_f32_e32 v[48:49], v49
	;; [unrolled: 1-line block ×4, first 2 shown]
	s_wait_loadcnt 0xd
	v_cvt_f64_f32_e32 v[136:137], v52
	v_cvt_f64_f32_e32 v[52:53], v53
	global_load_b128 v[28:31], v[124:125], off
	s_wait_loadcnt 0xd
	v_cvt_f64_f32_e32 v[138:139], v56
	v_cvt_f64_f32_e32 v[56:57], v57
	v_cvt_f64_f32_e32 v[144:145], v47
	v_fmac_f64_e32 v[112:113], v[114:115], v[32:33]
	v_fmac_f64_e32 v[12:13], v[122:123], v[32:33]
	v_fmac_f64_e32 v[110:111], v[132:133], v[32:33]
	v_fmac_f64_e32 v[14:15], v[118:119], v[32:33]
	v_fmac_f64_e32 v[108:109], v[146:147], v[32:33]
	v_fmac_f64_e32 v[16:17], v[126:127], v[32:33]
	v_fmac_f64_e32 v[116:117], v[148:149], v[32:33]
	v_fmac_f64_e32 v[18:19], v[130:131], v[32:33]
	v_fma_f64 v[140:141], -v[122:123], v[34:35], v[112:113]
	v_fmac_f64_e32 v[12:13], v[114:115], v[34:35]
	v_fma_f64 v[142:143], -v[118:119], v[34:35], v[110:111]
	v_fmac_f64_e32 v[14:15], v[132:133], v[34:35]
	;; [unrolled: 2-line block ×4, first 2 shown]
	global_load_b128 v[32:35], v[124:125], off offset:16
	s_clause 0x3
	global_load_b128 v[108:111], v[38:39], off offset:3120
	global_load_b128 v[112:115], v[38:39], off offset:3088
	;; [unrolled: 1-line block ×4, first 2 shown]
	v_cvt_f64_f32_e32 v[132:133], v46
	v_cvt_f64_f32_e32 v[146:147], v54
	;; [unrolled: 1-line block ×5, first 2 shown]
	s_wait_xcnt 0x0
	v_add_nc_u64_e32 v[38:39], 0x1000, v[38:39]
	s_wait_loadcnt 0x11
	v_fmac_f64_e32 v[140:141], v[128:129], v[60:61]
	v_fmac_f64_e32 v[12:13], v[48:49], v[60:61]
	;; [unrolled: 1-line block ×8, first 2 shown]
	v_cvt_f64_f32_e32 v[60:61], v50
	v_cvt_f64_f32_e32 v[50:51], v51
	v_fma_f64 v[48:49], -v[48:49], v[62:63], v[140:141]
	v_fmac_f64_e32 v[12:13], v[128:129], v[62:63]
	v_fma_f64 v[128:129], -v[44:45], v[62:63], v[142:143]
	v_fmac_f64_e32 v[14:15], v[134:135], v[62:63]
	v_fma_f64 v[52:53], -v[52:53], v[62:63], v[126:127]
	v_fmac_f64_e32 v[16:17], v[136:137], v[62:63]
	v_fma_f64 v[56:57], -v[56:57], v[62:63], v[130:131]
	v_fmac_f64_e32 v[18:19], v[138:139], v[62:63]
	global_load_b128 v[44:47], v[124:125], off offset:32
	s_wait_loadcnt 0xf
	v_cvt_f64_f32_e32 v[62:63], v72
	s_wait_loadcnt 0xe
	v_cvt_f64_f32_e32 v[126:127], v76
	v_cvt_f64_f32_e32 v[76:77], v77
	s_wait_loadcnt 0xd
	v_cvt_f64_f32_e32 v[130:131], v80
	v_cvt_f64_f32_e32 v[80:81], v81
	v_fmac_f64_e32 v[48:49], v[60:61], v[64:65]
	v_fmac_f64_e32 v[12:13], v[50:51], v[64:65]
	;; [unrolled: 1-line block ×8, first 2 shown]
	v_cvt_f64_f32_e32 v[64:65], v73
	v_cvt_f64_f32_e32 v[72:73], v68
	;; [unrolled: 1-line block ×3, first 2 shown]
	v_fma_f64 v[134:135], -v[50:51], v[66:67], v[48:49]
	v_fmac_f64_e32 v[12:13], v[60:61], v[66:67]
	v_fma_f64 v[60:61], -v[144:145], v[66:67], v[128:129]
	v_fmac_f64_e32 v[14:15], v[132:133], v[66:67]
	;; [unrolled: 2-line block ×4, first 2 shown]
	global_load_b128 v[48:51], v[124:125], off offset:48
	v_cvt_f64_f32_e32 v[56:57], v74
	v_cvt_f64_f32_e32 v[58:59], v75
	;; [unrolled: 1-line block ×6, first 2 shown]
	s_wait_loadcnt 0xd
	v_fmac_f64_e32 v[134:135], v[62:63], v[84:85]
	v_fmac_f64_e32 v[12:13], v[64:65], v[84:85]
	;; [unrolled: 1-line block ×8, first 2 shown]
	v_cvt_f64_f32_e32 v[84:85], v82
	v_cvt_f64_f32_e32 v[82:83], v83
	v_fma_f64 v[64:65], -v[64:65], v[86:87], v[134:135]
	v_fmac_f64_e32 v[12:13], v[62:63], v[86:87]
	v_fma_f64 v[60:61], -v[68:69], v[86:87], v[60:61]
	v_fmac_f64_e32 v[14:15], v[72:73], v[86:87]
	;; [unrolled: 2-line block ×4, first 2 shown]
	s_wait_loadcnt 0xa
	v_cvt_f64_f32_e32 v[62:63], v96
	v_cvt_f64_f32_e32 v[68:69], v97
	;; [unrolled: 1-line block ×4, first 2 shown]
	s_wait_loadcnt 0x9
	v_cvt_f64_f32_e32 v[80:81], v100
	v_cvt_f64_f32_e32 v[86:87], v101
	s_wait_loadcnt 0x8
	v_cvt_f64_f32_e32 v[92:93], v105
	v_fmac_f64_e32 v[64:65], v[56:57], v[88:89]
	v_fmac_f64_e32 v[12:13], v[58:59], v[88:89]
	;; [unrolled: 1-line block ×8, first 2 shown]
	v_cvt_f64_f32_e32 v[88:89], v104
	v_fma_f64 v[58:59], -v[58:59], v[90:91], v[64:65]
	v_fmac_f64_e32 v[12:13], v[56:57], v[90:91]
	v_fma_f64 v[56:57], -v[70:71], v[90:91], v[60:61]
	v_fmac_f64_e32 v[14:15], v[66:67], v[90:91]
	;; [unrolled: 2-line block ×4, first 2 shown]
	v_cvt_f64_f32_e32 v[60:61], v99
	v_cvt_f64_f32_e32 v[64:65], v94
	;; [unrolled: 1-line block ×7, first 2 shown]
	s_wait_loadcnt 0x7
	v_fmac_f64_e32 v[58:59], v[62:63], v[28:29]
	v_fmac_f64_e32 v[12:13], v[68:69], v[28:29]
	;; [unrolled: 1-line block ×8, first 2 shown]
	v_cvt_f64_f32_e32 v[28:29], v98
	v_fma_f64 v[58:59], -v[68:69], v[30:31], v[58:59]
	v_fmac_f64_e32 v[12:13], v[62:63], v[30:31]
	v_fma_f64 v[56:57], -v[76:77], v[30:31], v[56:57]
	v_fmac_f64_e32 v[14:15], v[72:73], v[30:31]
	;; [unrolled: 2-line block ×4, first 2 shown]
	s_wait_loadcnt 0x4
	v_cvt_f64_f32_e32 v[30:31], v112
	v_cvt_f64_f32_e32 v[62:63], v108
	v_cvt_f64_f32_e32 v[68:69], v109
	s_wait_loadcnt 0x3
	v_cvt_f64_f32_e32 v[72:73], v116
	v_cvt_f64_f32_e32 v[76:77], v117
	s_wait_loadcnt 0x2
	v_cvt_f64_f32_e32 v[80:81], v120
	v_cvt_f64_f32_e32 v[84:85], v121
	v_fmac_f64_e32 v[58:59], v[28:29], v[32:33]
	v_fmac_f64_e32 v[12:13], v[60:61], v[32:33]
	;; [unrolled: 1-line block ×8, first 2 shown]
	v_cvt_f64_f32_e32 v[32:33], v113
	v_fma_f64 v[58:59], -v[60:61], v[34:35], v[58:59]
	v_fmac_f64_e32 v[12:13], v[28:29], v[34:35]
	v_fma_f64 v[28:29], -v[66:67], v[34:35], v[56:57]
	v_fmac_f64_e32 v[14:15], v[64:65], v[34:35]
	;; [unrolled: 2-line block ×4, first 2 shown]
	v_cvt_f64_f32_e32 v[34:35], v114
	v_cvt_f64_f32_e32 v[56:57], v110
	;; [unrolled: 1-line block ×7, first 2 shown]
	s_wait_loadcnt 0x1
	v_fmac_f64_e32 v[58:59], v[30:31], v[44:45]
	v_fmac_f64_e32 v[12:13], v[32:33], v[44:45]
	;; [unrolled: 1-line block ×8, first 2 shown]
	v_cvt_f64_f32_e32 v[44:45], v115
	v_fma_f64 v[32:33], -v[32:33], v[46:47], v[58:59]
	v_fmac_f64_e32 v[12:13], v[30:31], v[46:47]
	v_fma_f64 v[28:29], -v[68:69], v[46:47], v[28:29]
	v_fmac_f64_e32 v[14:15], v[62:63], v[46:47]
	v_fma_f64 v[52:53], -v[76:77], v[46:47], v[52:53]
	v_fmac_f64_e32 v[16:17], v[72:73], v[46:47]
	v_fma_f64 v[54:55], -v[84:85], v[46:47], v[54:55]
	v_fmac_f64_e32 v[18:19], v[80:81], v[46:47]
	s_wait_loadcnt 0x0
	v_fmac_f64_e32 v[32:33], v[34:35], v[48:49]
	v_fmac_f64_e32 v[12:13], v[44:45], v[48:49]
	;; [unrolled: 1-line block ×8, first 2 shown]
	v_fma_f64 v[30:31], -v[44:45], v[50:51], v[32:33]
	v_fmac_f64_e32 v[12:13], v[34:35], v[50:51]
	v_fma_f64 v[32:33], -v[60:61], v[50:51], v[28:29]
	v_fmac_f64_e32 v[14:15], v[56:57], v[50:51]
	;; [unrolled: 2-line block ×4, first 2 shown]
	s_and_not1_b32 exec_lo, exec_lo, s7
	s_cbranch_execnz .LBB176_21
; %bb.22:
	s_or_b32 exec_lo, exec_lo, s7
.LBB176_23:
	s_delay_alu instid0(SALU_CYCLE_1)
	s_or_b32 exec_lo, exec_lo, s6
.LBB176_24:
	s_delay_alu instid0(SALU_CYCLE_1)
	s_or_b32 exec_lo, exec_lo, s3
	s_cbranch_execz .LBB176_26
	s_branch .LBB176_37
.LBB176_25:
                                        ; implicit-def: $vgpr12_vgpr13
                                        ; implicit-def: $vgpr30_vgpr31
                                        ; implicit-def: $vgpr14_vgpr15
                                        ; implicit-def: $vgpr32_vgpr33
                                        ; implicit-def: $vgpr16_vgpr17
                                        ; implicit-def: $vgpr34_vgpr35
                                        ; implicit-def: $vgpr18_vgpr19
                                        ; implicit-def: $vgpr28_vgpr29
.LBB176_26:
	v_mov_b64_e32 v[12:13], 0
	v_mov_b64_e32 v[30:31], 0
	;; [unrolled: 1-line block ×8, first 2 shown]
	s_and_saveexec_b32 s3, s2
	s_cbranch_execz .LBB176_36
; %bb.27:
	v_dual_mov_b32 v13, v1 :: v_dual_bitop2_b32 v12, 8, v0 bitop3:0x54
	v_sub_nc_u64_e32 v[14:15], v[10:11], v[0:1]
	v_not_b32_e32 v17, v37
	v_not_b32_e32 v16, v36
	v_mov_b64_e32 v[28:29], 0
	v_sub_nc_u64_e32 v[12:13], v[12:13], v[10:11]
	v_mov_b64_e32 v[18:19], 0
	v_mov_b64_e32 v[34:35], 0
	v_add_nc_u64_e32 v[14:15], v[14:15], v[16:17]
	v_mov_b64_e32 v[16:17], 0
	v_mov_b64_e32 v[32:33], 0
	;; [unrolled: 1-line block ×3, first 2 shown]
	v_add_nc_u64_e32 v[12:13], v[12:13], v[36:37]
	s_mov_b32 s2, exec_lo
	s_delay_alu instid0(VALU_DEP_1) | instskip(NEXT) | instid1(VALU_DEP_1)
	v_max_i64 v[12:13], v[12:13], v[22:23]
	v_add_nc_u64_e32 v[36:37], v[14:15], v[12:13]
	v_mov_b64_e32 v[14:15], 0
	v_mov_b64_e32 v[12:13], 0
	s_delay_alu instid0(VALU_DEP_3) | instskip(NEXT) | instid1(VALU_DEP_1)
	v_dual_mov_b32 v39, 0 :: v_dual_bitop2_b32 v38, 24, v36 bitop3:0x40
	v_cmpx_ne_u64_e32 24, v[38:39]
	s_cbranch_execz .LBB176_31
; %bb.28:
	v_lshrrev_b32_e32 v1, 3, v36
	v_mov_b64_e32 v[12:13], 0
	v_mov_b64_e32 v[30:31], 0
	;; [unrolled: 1-line block ×4, first 2 shown]
	v_add_nc_u32_e32 v1, 1, v1
	v_mov_b64_e32 v[16:17], 0
	v_mov_b64_e32 v[34:35], 0
	;; [unrolled: 1-line block ×4, first 2 shown]
	v_and_b32_e32 v38, 3, v1
	v_lshl_add_u64 v[40:41], v[20:21], 3, s[8:9]
	s_mov_b32 s6, 0
	s_delay_alu instid0(VALU_DEP_2)
	v_sub_nc_u64_e32 v[38:39], 0, v[38:39]
.LBB176_29:                             ; =>This Inner Loop Header: Depth=1
	global_load_b64 v[50:51], v[40:41], off
	s_clause 0x1
	global_load_b128 v[42:45], v[24:25], off
	global_load_b128 v[46:49], v[24:25], off offset:16
	v_add_nc_u64_e32 v[38:39], 1, v[38:39]
	v_add_nc_u64_e32 v[20:21], 8, v[20:21]
	s_wait_xcnt 0x2
	v_add_nc_u64_e32 v[40:41], 64, v[40:41]
	s_delay_alu instid0(VALU_DEP_3)
	v_cmp_eq_u64_e32 vcc_lo, 0, v[38:39]
	s_or_b32 s6, vcc_lo, s6
	s_wait_loadcnt 0x2
	v_sub_nc_u64_e32 v[50:51], v[50:51], v[10:11]
	s_wait_loadcnt 0x1
	v_cvt_f64_f32_e32 v[92:93], v44
	v_cvt_f64_f32_e32 v[44:45], v45
	s_wait_loadcnt 0x0
	v_cvt_f64_f32_e32 v[94:95], v46
	v_cvt_f64_f32_e32 v[46:47], v47
	;; [unrolled: 1-line block ×4, first 2 shown]
	v_lshlrev_b64_e32 v[50:51], 6, v[50:51]
	s_wait_kmcnt 0x0
	s_delay_alu instid0(VALU_DEP_1)
	v_add_nc_u64_e32 v[90:91], s[4:5], v[50:51]
	global_load_b128 v[50:53], v[90:91], off
	s_clause 0x1
	global_load_b128 v[54:57], v[24:25], off offset:32
	global_load_b128 v[58:61], v[24:25], off offset:48
	global_load_b128 v[62:65], v[90:91], off offset:16
	s_clause 0x1
	global_load_b128 v[66:69], v[24:25], off offset:64
	global_load_b128 v[70:73], v[24:25], off offset:80
	global_load_b128 v[74:77], v[90:91], off offset:32
	;; [unrolled: 4-line block ×3, first 2 shown]
	s_wait_xcnt 0x0
	v_cvt_f64_f32_e32 v[90:91], v42
	v_cvt_f64_f32_e32 v[42:43], v43
	v_add_nc_u64_e32 v[24:25], 0x400, v[24:25]
	s_wait_loadcnt 0x9
	s_delay_alu instid0(VALU_DEP_3) | instskip(NEXT) | instid1(VALU_DEP_3)
	v_fmac_f64_e32 v[30:31], v[90:91], v[50:51]
	v_fmac_f64_e32 v[12:13], v[42:43], v[50:51]
	;; [unrolled: 1-line block ×8, first 2 shown]
	s_wait_loadcnt 0x8
	v_cvt_f64_f32_e32 v[50:51], v54
	v_cvt_f64_f32_e32 v[54:55], v55
	;; [unrolled: 1-line block ×4, first 2 shown]
	s_wait_loadcnt 0x7
	v_cvt_f64_f32_e32 v[100:101], v58
	v_cvt_f64_f32_e32 v[58:59], v59
	;; [unrolled: 1-line block ×4, first 2 shown]
	v_fma_f64 v[30:31], -v[42:43], v[52:53], v[30:31]
	v_fmac_f64_e32 v[12:13], v[90:91], v[52:53]
	v_fma_f64 v[32:33], -v[44:45], v[52:53], v[32:33]
	v_fmac_f64_e32 v[14:15], v[92:93], v[52:53]
	v_fma_f64 v[34:35], -v[46:47], v[52:53], v[34:35]
	v_fmac_f64_e32 v[16:17], v[94:95], v[52:53]
	v_fma_f64 v[28:29], -v[48:49], v[52:53], v[28:29]
	v_fmac_f64_e32 v[18:19], v[96:97], v[52:53]
	s_wait_loadcnt 0x5
	v_cvt_f64_f32_e32 v[42:43], v66
	v_cvt_f64_f32_e32 v[44:45], v67
	;; [unrolled: 1-line block ×4, first 2 shown]
	s_wait_loadcnt 0x4
	v_cvt_f64_f32_e32 v[52:53], v70
	v_cvt_f64_f32_e32 v[66:67], v72
	v_cvt_f64_f32_e32 v[68:69], v73
	s_wait_loadcnt 0x1
	v_cvt_f64_f32_e32 v[72:73], v85
	v_fmac_f64_e32 v[30:31], v[50:51], v[62:63]
	v_fmac_f64_e32 v[12:13], v[54:55], v[62:63]
	;; [unrolled: 1-line block ×8, first 2 shown]
	v_cvt_f64_f32_e32 v[62:63], v71
	v_cvt_f64_f32_e32 v[70:71], v84
	v_fma_f64 v[30:31], -v[54:55], v[64:65], v[30:31]
	v_fmac_f64_e32 v[12:13], v[50:51], v[64:65]
	v_fma_f64 v[32:33], -v[56:57], v[64:65], v[32:33]
	v_fmac_f64_e32 v[14:15], v[98:99], v[64:65]
	;; [unrolled: 2-line block ×4, first 2 shown]
	v_cvt_f64_f32_e32 v[50:51], v78
	v_cvt_f64_f32_e32 v[54:55], v79
	;; [unrolled: 1-line block ×6, first 2 shown]
	v_fmac_f64_e32 v[30:31], v[42:43], v[74:75]
	v_fmac_f64_e32 v[12:13], v[44:45], v[74:75]
	;; [unrolled: 1-line block ×8, first 2 shown]
	v_fma_f64 v[30:31], -v[44:45], v[76:77], v[30:31]
	v_fmac_f64_e32 v[12:13], v[42:43], v[76:77]
	v_fma_f64 v[32:33], -v[48:49], v[76:77], v[32:33]
	v_fmac_f64_e32 v[14:15], v[46:47], v[76:77]
	;; [unrolled: 2-line block ×4, first 2 shown]
	s_wait_loadcnt 0x0
	v_fmac_f64_e32 v[30:31], v[50:51], v[86:87]
	v_fmac_f64_e32 v[12:13], v[54:55], v[86:87]
	;; [unrolled: 1-line block ×8, first 2 shown]
	v_fma_f64 v[30:31], -v[54:55], v[88:89], v[30:31]
	v_fmac_f64_e32 v[12:13], v[50:51], v[88:89]
	v_fma_f64 v[32:33], -v[58:59], v[88:89], v[32:33]
	v_fmac_f64_e32 v[14:15], v[56:57], v[88:89]
	;; [unrolled: 2-line block ×4, first 2 shown]
	s_and_not1_b32 exec_lo, exec_lo, s6
	s_cbranch_execnz .LBB176_29
; %bb.30:
	s_or_b32 exec_lo, exec_lo, s6
.LBB176_31:
	s_delay_alu instid0(SALU_CYCLE_1) | instskip(NEXT) | instid1(SALU_CYCLE_1)
	s_or_b32 exec_lo, exec_lo, s2
	s_mov_b32 s2, exec_lo
	v_cmpx_lt_u64_e32 23, v[36:37]
	s_cbranch_execz .LBB176_35
; %bb.32:
	v_lshl_add_u64 v[36:37], v[20:21], 3, s[8:9]
	s_mov_b32 s6, 0
	s_delay_alu instid0(VALU_DEP_1)
	v_add_nc_u64_e32 v[36:37], 0x80, v[36:37]
.LBB176_33:                             ; =>This Inner Loop Header: Depth=1
	s_clause 0x1
	global_load_b64 v[46:47], v[36:37], off offset:-128
	global_load_b64 v[94:95], v[36:37], off offset:-64
	s_clause 0x1
	global_load_b128 v[38:41], v[24:25], off
	global_load_b128 v[42:45], v[24:25], off offset:16
	s_clause 0x1
	global_load_b64 v[110:111], v[36:37], off
	global_load_b64 v[112:113], v[36:37], off offset:64
	v_add_nc_u64_e32 v[20:21], 32, v[20:21]
	s_wait_xcnt 0x0
	v_add_nc_u64_e32 v[36:37], 0x100, v[36:37]
	s_delay_alu instid0(VALU_DEP_2)
	v_cmp_ge_i64_e32 vcc_lo, v[20:21], v[22:23]
	s_or_b32 s6, vcc_lo, s6
	s_wait_loadcnt 0x5
	v_sub_nc_u64_e32 v[46:47], v[46:47], v[10:11]
	s_wait_loadcnt 0x4
	v_sub_nc_u64_e32 v[94:95], v[94:95], v[10:11]
	s_wait_loadcnt 0x3
	v_cvt_f64_f32_e32 v[116:117], v38
	v_cvt_f64_f32_e32 v[118:119], v39
	;; [unrolled: 1-line block ×4, first 2 shown]
	s_wait_loadcnt 0x2
	v_cvt_f64_f32_e32 v[124:125], v42
	v_lshlrev_b64_e32 v[46:47], 6, v[46:47]
	v_lshlrev_b64_e32 v[94:95], 6, v[94:95]
	v_cvt_f64_f32_e32 v[126:127], v43
	v_cvt_f64_f32_e32 v[128:129], v44
	;; [unrolled: 1-line block ×3, first 2 shown]
	s_wait_kmcnt 0x0
	v_add_nc_u64_e32 v[96:97], s[4:5], v[46:47]
	v_add_nc_u64_e32 v[114:115], s[4:5], v[94:95]
	global_load_b128 v[46:49], v[96:97], off
	s_clause 0x1
	global_load_b128 v[50:53], v[24:25], off offset:32
	global_load_b128 v[54:57], v[24:25], off offset:48
	global_load_b128 v[58:61], v[96:97], off offset:16
	s_clause 0x1
	global_load_b128 v[62:65], v[24:25], off offset:64
	global_load_b128 v[66:69], v[24:25], off offset:80
	global_load_b128 v[70:73], v[96:97], off offset:32
	;; [unrolled: 4-line block ×3, first 2 shown]
	s_clause 0x1
	global_load_b128 v[86:89], v[24:25], off offset:1024
	global_load_b128 v[90:93], v[24:25], off offset:1040
	global_load_b128 v[94:97], v[114:115], off
	s_clause 0x1
	global_load_b128 v[98:101], v[24:25], off offset:1056
	global_load_b128 v[102:105], v[24:25], off offset:1072
	;; [unrolled: 1-line block ×3, first 2 shown]
	s_clause 0x1
	global_load_b128 v[42:45], v[24:25], off offset:1088
	global_load_b128 v[106:109], v[24:25], off offset:1104
	s_wait_loadcnt 0x11
	v_fmac_f64_e32 v[30:31], v[116:117], v[46:47]
	v_fmac_f64_e32 v[12:13], v[118:119], v[46:47]
	;; [unrolled: 1-line block ×8, first 2 shown]
	s_wait_loadcnt 0x10
	v_cvt_f64_f32_e32 v[132:133], v50
	v_cvt_f64_f32_e32 v[50:51], v51
	;; [unrolled: 1-line block ×4, first 2 shown]
	s_wait_loadcnt 0xf
	v_cvt_f64_f32_e32 v[136:137], v54
	v_cvt_f64_f32_e32 v[54:55], v55
	;; [unrolled: 1-line block ×4, first 2 shown]
	s_wait_loadcnt 0x0
	v_cvt_f64_f32_e32 v[140:141], v108
	v_cvt_f64_f32_e32 v[108:109], v109
	v_fma_f64 v[118:119], -v[118:119], v[48:49], v[30:31]
	v_fmac_f64_e32 v[12:13], v[116:117], v[48:49]
	v_fma_f64 v[116:117], -v[122:123], v[48:49], v[32:33]
	v_fmac_f64_e32 v[14:15], v[120:121], v[48:49]
	;; [unrolled: 2-line block ×4, first 2 shown]
	global_load_b128 v[28:31], v[114:115], off offset:32
	s_clause 0x1
	global_load_b128 v[32:35], v[24:25], off offset:1120
	global_load_b128 v[46:49], v[24:25], off offset:1136
	v_cvt_f64_f32_e32 v[124:125], v62
	v_cvt_f64_f32_e32 v[62:63], v63
	;; [unrolled: 1-line block ×8, first 2 shown]
	v_fmac_f64_e32 v[118:119], v[132:133], v[58:59]
	v_fmac_f64_e32 v[12:13], v[50:51], v[58:59]
	;; [unrolled: 1-line block ×8, first 2 shown]
	v_fma_f64 v[118:119], -v[50:51], v[60:61], v[118:119]
	v_fmac_f64_e32 v[12:13], v[132:133], v[60:61]
	v_fma_f64 v[116:117], -v[52:53], v[60:61], v[116:117]
	v_fmac_f64_e32 v[14:15], v[134:135], v[60:61]
	;; [unrolled: 2-line block ×4, first 2 shown]
	global_load_b128 v[50:53], v[114:115], off offset:48
	s_clause 0x1
	global_load_b128 v[54:57], v[24:25], off offset:2048
	global_load_b128 v[58:61], v[24:25], off offset:2064
	s_wait_xcnt 0x2
	v_cvt_f64_f32_e32 v[114:115], v74
	v_cvt_f64_f32_e32 v[74:75], v75
	;; [unrolled: 1-line block ×10, first 2 shown]
	v_fmac_f64_e32 v[118:119], v[124:125], v[70:71]
	v_fmac_f64_e32 v[12:13], v[62:63], v[70:71]
	;; [unrolled: 1-line block ×8, first 2 shown]
	v_fma_f64 v[118:119], -v[62:63], v[72:73], v[118:119]
	v_fmac_f64_e32 v[12:13], v[124:125], v[72:73]
	v_fma_f64 v[116:117], -v[64:65], v[72:73], v[116:117]
	v_fmac_f64_e32 v[14:15], v[126:127], v[72:73]
	;; [unrolled: 2-line block ×4, first 2 shown]
	v_sub_nc_u64_e32 v[62:63], v[110:111], v[10:11]
	v_cvt_f64_f32_e32 v[124:125], v86
	v_cvt_f64_f32_e32 v[86:87], v87
	;; [unrolled: 1-line block ×6, first 2 shown]
	v_lshlrev_b64_e32 v[62:63], 6, v[62:63]
	v_cvt_f64_f32_e32 v[130:131], v92
	v_cvt_f64_f32_e32 v[92:93], v93
	s_delay_alu instid0(VALU_DEP_3)
	v_add_nc_u64_e32 v[110:111], s[4:5], v[62:63]
	global_load_b128 v[62:65], v[110:111], off
	s_clause 0x1
	global_load_b128 v[66:69], v[24:25], off offset:2080
	global_load_b128 v[70:73], v[24:25], off offset:2096
	v_fmac_f64_e32 v[118:119], v[114:115], v[82:83]
	v_fmac_f64_e32 v[12:13], v[74:75], v[82:83]
	;; [unrolled: 1-line block ×8, first 2 shown]
	v_fma_f64 v[118:119], -v[74:75], v[84:85], v[118:119]
	v_fmac_f64_e32 v[12:13], v[114:115], v[84:85]
	v_fma_f64 v[114:115], -v[76:77], v[84:85], v[116:117]
	v_fmac_f64_e32 v[14:15], v[132:133], v[84:85]
	;; [unrolled: 2-line block ×4, first 2 shown]
	global_load_b128 v[74:77], v[110:111], off offset:16
	s_clause 0x1
	global_load_b128 v[78:81], v[24:25], off offset:2112
	global_load_b128 v[82:85], v[24:25], off offset:2128
	v_cvt_f64_f32_e32 v[122:123], v98
	v_cvt_f64_f32_e32 v[98:99], v99
	v_cvt_f64_f32_e32 v[132:133], v100
	v_cvt_f64_f32_e32 v[100:101], v101
	v_cvt_f64_f32_e32 v[134:135], v102
	v_cvt_f64_f32_e32 v[102:103], v103
	v_cvt_f64_f32_e32 v[136:137], v104
	v_cvt_f64_f32_e32 v[104:105], v105
	v_fmac_f64_e32 v[118:119], v[124:125], v[94:95]
	v_fmac_f64_e32 v[12:13], v[86:87], v[94:95]
	;; [unrolled: 1-line block ×8, first 2 shown]
	v_fma_f64 v[118:119], -v[86:87], v[96:97], v[118:119]
	v_fmac_f64_e32 v[12:13], v[124:125], v[96:97]
	v_fma_f64 v[114:115], -v[88:89], v[96:97], v[114:115]
	v_fmac_f64_e32 v[14:15], v[126:127], v[96:97]
	;; [unrolled: 2-line block ×4, first 2 shown]
	global_load_b128 v[86:89], v[110:111], off offset:32
	s_clause 0x1
	global_load_b128 v[90:93], v[24:25], off offset:2160
	global_load_b128 v[94:97], v[24:25], off offset:2144
	v_cvt_f64_f32_e32 v[124:125], v42
	v_cvt_f64_f32_e32 v[126:127], v43
	;; [unrolled: 1-line block ×4, first 2 shown]
	v_fmac_f64_e32 v[118:119], v[122:123], v[38:39]
	v_fmac_f64_e32 v[12:13], v[98:99], v[38:39]
	v_fmac_f64_e32 v[114:115], v[132:133], v[38:39]
	v_fmac_f64_e32 v[14:15], v[100:101], v[38:39]
	v_fmac_f64_e32 v[116:117], v[134:135], v[38:39]
	v_fmac_f64_e32 v[16:17], v[102:103], v[38:39]
	v_fmac_f64_e32 v[120:121], v[136:137], v[38:39]
	v_fmac_f64_e32 v[18:19], v[104:105], v[38:39]
	v_fma_f64 v[118:119], -v[98:99], v[40:41], v[118:119]
	v_fmac_f64_e32 v[12:13], v[122:123], v[40:41]
	v_fma_f64 v[114:115], -v[100:101], v[40:41], v[114:115]
	v_fmac_f64_e32 v[14:15], v[132:133], v[40:41]
	;; [unrolled: 2-line block ×4, first 2 shown]
	global_load_b128 v[38:41], v[110:111], off offset:48
	s_clause 0x1
	global_load_b128 v[42:45], v[24:25], off offset:3088
	global_load_b128 v[98:101], v[24:25], off offset:3072
	s_wait_loadcnt 0x10
	s_wait_xcnt 0x2
	v_cvt_f64_f32_e32 v[110:111], v32
	v_cvt_f64_f32_e32 v[116:117], v33
	;; [unrolled: 1-line block ×4, first 2 shown]
	s_wait_loadcnt 0xf
	v_cvt_f64_f32_e32 v[132:133], v46
	v_cvt_f64_f32_e32 v[134:135], v47
	;; [unrolled: 1-line block ×4, first 2 shown]
	v_fmac_f64_e32 v[118:119], v[124:125], v[28:29]
	v_fmac_f64_e32 v[12:13], v[126:127], v[28:29]
	;; [unrolled: 1-line block ×8, first 2 shown]
	v_sub_nc_u64_e32 v[28:29], v[112:113], v[10:11]
	s_delay_alu instid0(VALU_DEP_1) | instskip(NEXT) | instid1(VALU_DEP_1)
	v_lshlrev_b64_e32 v[28:29], 6, v[28:29]
	v_add_nc_u64_e32 v[112:113], s[4:5], v[28:29]
	v_fma_f64 v[118:119], -v[126:127], v[30:31], v[118:119]
	v_fmac_f64_e32 v[12:13], v[124:125], v[30:31]
	v_fma_f64 v[114:115], -v[130:131], v[30:31], v[114:115]
	v_fmac_f64_e32 v[14:15], v[128:129], v[30:31]
	;; [unrolled: 2-line block ×4, first 2 shown]
	s_clause 0x1
	global_load_b128 v[28:31], v[112:113], off offset:16
	global_load_b128 v[32:35], v[112:113], off
	s_clause 0x1
	global_load_b128 v[46:49], v[24:25], off offset:3120
	global_load_b128 v[102:105], v[24:25], off offset:3104
	s_wait_loadcnt 0x11
	v_cvt_f64_f32_e32 v[124:125], v54
	v_cvt_f64_f32_e32 v[126:127], v55
	;; [unrolled: 1-line block ×4, first 2 shown]
	s_wait_loadcnt 0x10
	v_cvt_f64_f32_e32 v[138:139], v58
	v_cvt_f64_f32_e32 v[58:59], v59
	;; [unrolled: 1-line block ×4, first 2 shown]
	v_fmac_f64_e32 v[118:119], v[110:111], v[50:51]
	v_fmac_f64_e32 v[12:13], v[116:117], v[50:51]
	;; [unrolled: 1-line block ×8, first 2 shown]
	v_fma_f64 v[116:117], -v[116:117], v[52:53], v[118:119]
	v_fmac_f64_e32 v[12:13], v[110:111], v[52:53]
	v_fma_f64 v[110:111], -v[122:123], v[52:53], v[114:115]
	v_fmac_f64_e32 v[14:15], v[120:121], v[52:53]
	;; [unrolled: 2-line block ×4, first 2 shown]
	s_clause 0x1
	global_load_b128 v[50:53], v[24:25], off offset:3152
	global_load_b128 v[54:57], v[24:25], off offset:3136
	s_wait_loadcnt 0x10
	v_cvt_f64_f32_e32 v[114:115], v66
	v_cvt_f64_f32_e32 v[118:119], v67
	;; [unrolled: 1-line block ×3, first 2 shown]
	v_fmac_f64_e32 v[116:117], v[124:125], v[62:63]
	v_fmac_f64_e32 v[12:13], v[126:127], v[62:63]
	;; [unrolled: 1-line block ×8, first 2 shown]
	v_cvt_f64_f32_e32 v[122:123], v69
	s_wait_loadcnt 0xf
	v_cvt_f64_f32_e32 v[132:133], v70
	v_cvt_f64_f32_e32 v[134:135], v71
	v_cvt_f64_f32_e32 v[136:137], v72
	v_cvt_f64_f32_e32 v[142:143], v73
	v_fma_f64 v[116:117], -v[126:127], v[64:65], v[116:117]
	v_fmac_f64_e32 v[12:13], v[124:125], v[64:65]
	v_fma_f64 v[110:111], -v[130:131], v[64:65], v[110:111]
	v_fmac_f64_e32 v[14:15], v[128:129], v[64:65]
	;; [unrolled: 2-line block ×4, first 2 shown]
	s_clause 0x1
	global_load_b128 v[58:61], v[112:113], off offset:48
	global_load_b128 v[62:65], v[112:113], off offset:32
	s_clause 0x1
	global_load_b128 v[66:69], v[24:25], off offset:3168
	global_load_b128 v[70:73], v[24:25], off offset:3184
	s_wait_loadcnt 0x11
	s_wait_xcnt 0x2
	v_cvt_f64_f32_e32 v[112:113], v80
	v_cvt_f64_f32_e32 v[80:81], v81
	s_wait_loadcnt 0x10
	v_cvt_f64_f32_e32 v[124:125], v82
	v_cvt_f64_f32_e32 v[82:83], v83
	;; [unrolled: 1-line block ×4, first 2 shown]
	s_wait_xcnt 0x0
	v_add_nc_u64_e32 v[24:25], 0x1000, v[24:25]
	v_fmac_f64_e32 v[116:117], v[114:115], v[74:75]
	v_fmac_f64_e32 v[12:13], v[118:119], v[74:75]
	;; [unrolled: 1-line block ×8, first 2 shown]
	v_cvt_f64_f32_e32 v[74:75], v78
	v_cvt_f64_f32_e32 v[78:79], v79
	v_fma_f64 v[116:117], -v[118:119], v[76:77], v[116:117]
	v_fmac_f64_e32 v[12:13], v[114:115], v[76:77]
	v_fma_f64 v[110:111], -v[122:123], v[76:77], v[110:111]
	v_fmac_f64_e32 v[14:15], v[120:121], v[76:77]
	;; [unrolled: 2-line block ×4, first 2 shown]
	s_wait_loadcnt 0xe
	v_cvt_f64_f32_e32 v[114:115], v90
	s_wait_loadcnt 0xd
	v_cvt_f64_f32_e32 v[76:77], v94
	v_cvt_f64_f32_e32 v[90:91], v91
	;; [unrolled: 1-line block ×4, first 2 shown]
	v_fmac_f64_e32 v[116:117], v[74:75], v[86:87]
	v_fmac_f64_e32 v[12:13], v[78:79], v[86:87]
	;; [unrolled: 1-line block ×8, first 2 shown]
	v_cvt_f64_f32_e32 v[86:87], v95
	v_cvt_f64_f32_e32 v[94:95], v96
	;; [unrolled: 1-line block ×3, first 2 shown]
	v_fma_f64 v[78:79], -v[78:79], v[88:89], v[116:117]
	v_fmac_f64_e32 v[12:13], v[74:75], v[88:89]
	v_fma_f64 v[74:75], -v[80:81], v[88:89], v[110:111]
	v_fmac_f64_e32 v[14:15], v[112:113], v[88:89]
	;; [unrolled: 2-line block ×4, first 2 shown]
	s_wait_loadcnt 0xb
	v_cvt_f64_f32_e32 v[106:107], v44
	s_wait_loadcnt 0xa
	v_cvt_f64_f32_e32 v[84:85], v99
	v_cvt_f64_f32_e32 v[88:89], v100
	;; [unrolled: 1-line block ×3, first 2 shown]
	v_fmac_f64_e32 v[78:79], v[76:77], v[38:39]
	v_fmac_f64_e32 v[12:13], v[86:87], v[38:39]
	;; [unrolled: 1-line block ×8, first 2 shown]
	v_cvt_f64_f32_e32 v[38:39], v98
	v_cvt_f64_f32_e32 v[98:99], v101
	;; [unrolled: 1-line block ×4, first 2 shown]
	v_fma_f64 v[78:79], -v[86:87], v[40:41], v[78:79]
	v_fmac_f64_e32 v[12:13], v[76:77], v[40:41]
	v_fma_f64 v[74:75], -v[96:97], v[40:41], v[74:75]
	v_fmac_f64_e32 v[14:15], v[94:95], v[40:41]
	;; [unrolled: 2-line block ×4, first 2 shown]
	s_wait_loadcnt 0x7
	v_cvt_f64_f32_e32 v[90:91], v46
	s_wait_loadcnt 0x6
	v_cvt_f64_f32_e32 v[40:41], v103
	v_cvt_f64_f32_e32 v[82:83], v104
	;; [unrolled: 1-line block ×6, first 2 shown]
	v_fmac_f64_e32 v[78:79], v[38:39], v[32:33]
	v_fmac_f64_e32 v[12:13], v[84:85], v[32:33]
	;; [unrolled: 1-line block ×8, first 2 shown]
	v_cvt_f64_f32_e32 v[32:33], v102
	v_fma_f64 v[78:79], -v[84:85], v[34:35], v[78:79]
	v_fmac_f64_e32 v[12:13], v[38:39], v[34:35]
	v_fma_f64 v[38:39], -v[98:99], v[34:35], v[74:75]
	v_fmac_f64_e32 v[14:15], v[88:89], v[34:35]
	v_fma_f64 v[42:43], -v[42:43], v[34:35], v[76:77]
	v_fmac_f64_e32 v[16:17], v[100:101], v[34:35]
	v_fma_f64 v[44:45], -v[44:45], v[34:35], v[80:81]
	v_fmac_f64_e32 v[18:19], v[106:107], v[34:35]
	s_wait_loadcnt 0x4
	v_cvt_f64_f32_e32 v[34:35], v55
	v_cvt_f64_f32_e32 v[74:75], v50
	;; [unrolled: 1-line block ×5, first 2 shown]
	v_fmac_f64_e32 v[78:79], v[32:33], v[28:29]
	v_fmac_f64_e32 v[12:13], v[40:41], v[28:29]
	;; [unrolled: 1-line block ×8, first 2 shown]
	v_cvt_f64_f32_e32 v[28:29], v54
	v_cvt_f64_f32_e32 v[54:55], v56
	;; [unrolled: 1-line block ×3, first 2 shown]
	v_fma_f64 v[40:41], -v[40:41], v[30:31], v[78:79]
	v_fmac_f64_e32 v[12:13], v[32:33], v[30:31]
	v_fma_f64 v[32:33], -v[86:87], v[30:31], v[38:39]
	v_fmac_f64_e32 v[14:15], v[82:83], v[30:31]
	v_fma_f64 v[38:39], -v[46:47], v[30:31], v[42:43]
	v_fmac_f64_e32 v[16:17], v[90:91], v[30:31]
	v_fma_f64 v[42:43], -v[48:49], v[30:31], v[44:45]
	v_fmac_f64_e32 v[18:19], v[92:93], v[30:31]
	s_wait_loadcnt 0x1
	v_cvt_f64_f32_e32 v[44:45], v66
	v_cvt_f64_f32_e32 v[30:31], v67
	;; [unrolled: 1-line block ×4, first 2 shown]
	s_wait_loadcnt 0x0
	v_cvt_f64_f32_e32 v[66:67], v71
	v_cvt_f64_f32_e32 v[68:69], v72
	v_fmac_f64_e32 v[40:41], v[28:29], v[62:63]
	v_fmac_f64_e32 v[12:13], v[34:35], v[62:63]
	;; [unrolled: 1-line block ×8, first 2 shown]
	v_cvt_f64_f32_e32 v[62:63], v70
	v_cvt_f64_f32_e32 v[70:71], v73
	v_fma_f64 v[34:35], -v[34:35], v[64:65], v[40:41]
	v_fmac_f64_e32 v[12:13], v[28:29], v[64:65]
	v_fma_f64 v[28:29], -v[56:57], v[64:65], v[32:33]
	v_fmac_f64_e32 v[14:15], v[54:55], v[64:65]
	;; [unrolled: 2-line block ×4, first 2 shown]
	v_fmac_f64_e32 v[34:35], v[44:45], v[58:59]
	v_fmac_f64_e32 v[12:13], v[30:31], v[58:59]
	;; [unrolled: 1-line block ×8, first 2 shown]
	v_fma_f64 v[30:31], -v[30:31], v[60:61], v[34:35]
	v_fmac_f64_e32 v[12:13], v[44:45], v[60:61]
	v_fma_f64 v[32:33], -v[48:49], v[60:61], v[28:29]
	v_fmac_f64_e32 v[14:15], v[46:47], v[60:61]
	;; [unrolled: 2-line block ×4, first 2 shown]
	s_and_not1_b32 exec_lo, exec_lo, s6
	s_cbranch_execnz .LBB176_33
; %bb.34:
	s_or_b32 exec_lo, exec_lo, s6
.LBB176_35:
	s_delay_alu instid0(SALU_CYCLE_1)
	s_or_b32 exec_lo, exec_lo, s2
.LBB176_36:
	s_delay_alu instid0(SALU_CYCLE_1)
	s_or_b32 exec_lo, exec_lo, s3
.LBB176_37:
	v_mbcnt_lo_u32_b32 v1, -1, 0
	s_delay_alu instid0(VALU_DEP_1) | instskip(NEXT) | instid1(VALU_DEP_1)
	v_xor_b32_e32 v10, 4, v1
	v_cmp_gt_i32_e32 vcc_lo, 32, v10
	v_cndmask_b32_e32 v10, v1, v10, vcc_lo
	s_delay_alu instid0(VALU_DEP_1)
	v_lshlrev_b32_e32 v43, 2, v10
	ds_bpermute_b32 v20, v43, v12
	ds_bpermute_b32 v21, v43, v13
	s_wait_dscnt 0x0
	v_add_f64_e32 v[12:13], v[12:13], v[20:21]
	ds_bpermute_b32 v10, v43, v30
	ds_bpermute_b32 v11, v43, v31
	;; [unrolled: 1-line block ×14, first 2 shown]
	s_wait_dscnt 0xc
	v_add_f64_e32 v[10:11], v[30:31], v[10:11]
	s_wait_dscnt 0xa
	v_add_f64_e32 v[14:15], v[14:15], v[24:25]
	s_wait_dscnt 0x8
	v_dual_add_f64 v[20:21], v[32:33], v[22:23] :: v_dual_bitop2_b32 v24, 2, v1 bitop3:0x14
	s_wait_dscnt 0x6
	v_add_f64_e32 v[22:23], v[34:35], v[36:37]
	s_delay_alu instid0(VALU_DEP_2) | instskip(SKIP_4) | instid1(VALU_DEP_1)
	v_cmp_gt_i32_e32 vcc_lo, 32, v24
	s_wait_dscnt 0x2
	v_add_f64_e32 v[28:29], v[28:29], v[40:41]
	s_wait_dscnt 0x0
	v_dual_add_f64 v[18:19], v[18:19], v[42:43] :: v_dual_cndmask_b32 v24, v1, v24, vcc_lo
	v_dual_add_f64 v[16:17], v[16:17], v[38:39] :: v_dual_lshlrev_b32 v43, 2, v24
	ds_bpermute_b32 v30, v43, v12
	ds_bpermute_b32 v31, v43, v13
	;; [unrolled: 1-line block ×13, first 2 shown]
	s_wait_dscnt 0xb
	v_add_f64_e32 v[30:31], v[12:13], v[30:31]
	ds_bpermute_b32 v38, v43, v16
	ds_bpermute_b32 v39, v43, v17
	ds_bpermute_b32 v43, v43, v19
	s_wait_dscnt 0xc
	v_add_f64_e32 v[10:11], v[10:11], v[24:25]
	s_wait_dscnt 0xa
	v_add_f64_e32 v[24:25], v[14:15], v[34:35]
	;; [unrolled: 2-line block ×4, first 2 shown]
	v_xor_b32_e32 v22, 1, v1
	s_delay_alu instid0(VALU_DEP_1)
	v_cmp_gt_i32_e32 vcc_lo, 32, v22
	s_wait_dscnt 0x1
	v_add_f64_e32 v[20:21], v[16:17], v[38:39]
	v_add_f64_e32 v[16:17], v[28:29], v[40:41]
	s_wait_dscnt 0x0
	v_add_f64_e32 v[18:19], v[18:19], v[42:43]
	v_cndmask_b32_e32 v1, v1, v22, vcc_lo
	v_cmp_eq_u32_e32 vcc_lo, 7, v0
	s_delay_alu instid0(VALU_DEP_2)
	v_lshlrev_b32_e32 v1, 2, v1
	ds_bpermute_b32 v42, v1, v30
	ds_bpermute_b32 v43, v1, v31
	ds_bpermute_b32 v22, v1, v10
	ds_bpermute_b32 v23, v1, v11
	ds_bpermute_b32 v40, v1, v24
	ds_bpermute_b32 v41, v1, v25
	ds_bpermute_b32 v28, v1, v12
	ds_bpermute_b32 v29, v1, v13
	ds_bpermute_b32 v32, v1, v14
	ds_bpermute_b32 v33, v1, v15
	ds_bpermute_b32 v38, v1, v20
	ds_bpermute_b32 v39, v1, v21
	ds_bpermute_b32 v34, v1, v16
	ds_bpermute_b32 v35, v1, v17
	ds_bpermute_b32 v36, v1, v18
	ds_bpermute_b32 v37, v1, v19
	s_and_b32 exec_lo, exec_lo, vcc_lo
	s_cbranch_execz .LBB176_8
; %bb.38:
	s_wait_dscnt 0xe
	v_add_f64_e32 v[0:1], v[30:31], v[42:43]
	s_wait_dscnt 0xa
	v_add_f64_e32 v[30:31], v[24:25], v[40:41]
	;; [unrolled: 2-line block ×4, first 2 shown]
	v_add_f64_e32 v[40:41], v[10:11], v[22:23]
	v_add_f64_e32 v[28:29], v[12:13], v[28:29]
	;; [unrolled: 1-line block ×4, first 2 shown]
	v_cmp_eq_f64_e32 vcc_lo, 0, v[2:3]
	v_cmp_eq_f64_e64 s2, 0, v[4:5]
	s_load_b64 s[0:1], s[0:1], 0x68
	v_mul_f64_e64 v[22:23], v[0:1], -v[8:9]
	v_mul_f64_e32 v[24:25], v[6:7], v[0:1]
	v_mul_f64_e64 v[18:19], v[30:31], -v[8:9]
	v_mul_f64_e32 v[20:21], v[6:7], v[30:31]
	;; [unrolled: 2-line block ×4, first 2 shown]
	v_lshlrev_b64_e32 v[0:1], 6, v[26:27]
	s_and_b32 s2, vcc_lo, s2
	v_fmac_f64_e32 v[22:23], v[6:7], v[40:41]
	v_fmac_f64_e32 v[24:25], v[8:9], v[40:41]
	;; [unrolled: 1-line block ×8, first 2 shown]
	s_and_saveexec_b32 s3, s2
	s_delay_alu instid0(SALU_CYCLE_1)
	s_xor_b32 s2, exec_lo, s3
	s_cbranch_execz .LBB176_40
; %bb.39:
	s_wait_kmcnt 0x0
	v_add_nc_u64_e32 v[0:1], s[0:1], v[0:1]
                                        ; implicit-def: $vgpr4_vgpr5
	s_clause 0x3
	global_store_b128 v[0:1], v[22:25], off
	global_store_b128 v[0:1], v[18:21], off offset:16
	global_store_b128 v[0:1], v[14:17], off offset:32
	;; [unrolled: 1-line block ×3, first 2 shown]
                                        ; implicit-def: $vgpr22_vgpr23
                                        ; implicit-def: $vgpr0_vgpr1
                                        ; implicit-def: $vgpr18_vgpr19
                                        ; implicit-def: $vgpr14_vgpr15
                                        ; implicit-def: $vgpr10_vgpr11
.LBB176_40:
	s_wait_xcnt 0x0
	s_and_not1_saveexec_b32 s2, s2
	s_cbranch_execz .LBB176_8
; %bb.41:
	s_wait_kmcnt 0x0
	v_add_nc_u64_e32 v[0:1], s[0:1], v[0:1]
	s_clause 0x3
	global_load_b128 v[6:9], v[0:1], off
	global_load_b128 v[26:29], v[0:1], off offset:16
	global_load_b128 v[30:33], v[0:1], off offset:32
	;; [unrolled: 1-line block ×3, first 2 shown]
	s_wait_loadcnt 0x3
	v_fmac_f64_e32 v[22:23], v[2:3], v[6:7]
	v_fmac_f64_e32 v[24:25], v[4:5], v[6:7]
	s_wait_loadcnt 0x2
	v_fmac_f64_e32 v[18:19], v[2:3], v[26:27]
	v_fmac_f64_e32 v[20:21], v[4:5], v[26:27]
	s_wait_loadcnt 0x1
	v_fmac_f64_e32 v[14:15], v[2:3], v[30:31]
	v_fmac_f64_e32 v[16:17], v[4:5], v[30:31]
	s_wait_loadcnt 0x0
	v_fmac_f64_e32 v[10:11], v[2:3], v[34:35]
	v_fmac_f64_e32 v[12:13], v[4:5], v[34:35]
	v_fma_f64 v[22:23], -v[4:5], v[8:9], v[22:23]
	v_fmac_f64_e32 v[24:25], v[2:3], v[8:9]
	v_fma_f64 v[18:19], -v[4:5], v[28:29], v[18:19]
	v_fmac_f64_e32 v[20:21], v[2:3], v[28:29]
	;; [unrolled: 2-line block ×4, first 2 shown]
	s_clause 0x3
	global_store_b128 v[0:1], v[22:25], off
	global_store_b128 v[0:1], v[18:21], off offset:16
	global_store_b128 v[0:1], v[14:17], off offset:32
	;; [unrolled: 1-line block ×3, first 2 shown]
	s_sendmsg sendmsg(MSG_DEALLOC_VGPRS)
	s_endpgm
	.section	.rodata,"a",@progbits
	.p2align	6, 0x0
	.amdhsa_kernel _ZN9rocsparseL18bsrxmvn_4x4_kernelILj128ELj8E21rocsparse_complex_numIdEllS1_IfES2_S2_EEvT3_20rocsparse_direction_NS_24const_host_device_scalarIT1_EES4_PKS4_PKT2_SD_SA_PKT4_PKT5_S8_PT6_21rocsparse_index_base_b
		.amdhsa_group_segment_fixed_size 0
		.amdhsa_private_segment_fixed_size 0
		.amdhsa_kernarg_size 120
		.amdhsa_user_sgpr_count 2
		.amdhsa_user_sgpr_dispatch_ptr 0
		.amdhsa_user_sgpr_queue_ptr 0
		.amdhsa_user_sgpr_kernarg_segment_ptr 1
		.amdhsa_user_sgpr_dispatch_id 0
		.amdhsa_user_sgpr_kernarg_preload_length 0
		.amdhsa_user_sgpr_kernarg_preload_offset 0
		.amdhsa_user_sgpr_private_segment_size 0
		.amdhsa_wavefront_size32 1
		.amdhsa_uses_dynamic_stack 0
		.amdhsa_enable_private_segment 0
		.amdhsa_system_sgpr_workgroup_id_x 1
		.amdhsa_system_sgpr_workgroup_id_y 0
		.amdhsa_system_sgpr_workgroup_id_z 0
		.amdhsa_system_sgpr_workgroup_info 0
		.amdhsa_system_vgpr_workitem_id 0
		.amdhsa_next_free_vgpr 152
		.amdhsa_next_free_sgpr 12
		.amdhsa_named_barrier_count 0
		.amdhsa_reserve_vcc 1
		.amdhsa_float_round_mode_32 0
		.amdhsa_float_round_mode_16_64 0
		.amdhsa_float_denorm_mode_32 3
		.amdhsa_float_denorm_mode_16_64 3
		.amdhsa_fp16_overflow 0
		.amdhsa_memory_ordered 1
		.amdhsa_forward_progress 1
		.amdhsa_inst_pref_size 72
		.amdhsa_round_robin_scheduling 0
		.amdhsa_exception_fp_ieee_invalid_op 0
		.amdhsa_exception_fp_denorm_src 0
		.amdhsa_exception_fp_ieee_div_zero 0
		.amdhsa_exception_fp_ieee_overflow 0
		.amdhsa_exception_fp_ieee_underflow 0
		.amdhsa_exception_fp_ieee_inexact 0
		.amdhsa_exception_int_div_zero 0
	.end_amdhsa_kernel
	.section	.text._ZN9rocsparseL18bsrxmvn_4x4_kernelILj128ELj8E21rocsparse_complex_numIdEllS1_IfES2_S2_EEvT3_20rocsparse_direction_NS_24const_host_device_scalarIT1_EES4_PKS4_PKT2_SD_SA_PKT4_PKT5_S8_PT6_21rocsparse_index_base_b,"axG",@progbits,_ZN9rocsparseL18bsrxmvn_4x4_kernelILj128ELj8E21rocsparse_complex_numIdEllS1_IfES2_S2_EEvT3_20rocsparse_direction_NS_24const_host_device_scalarIT1_EES4_PKS4_PKT2_SD_SA_PKT4_PKT5_S8_PT6_21rocsparse_index_base_b,comdat
.Lfunc_end176:
	.size	_ZN9rocsparseL18bsrxmvn_4x4_kernelILj128ELj8E21rocsparse_complex_numIdEllS1_IfES2_S2_EEvT3_20rocsparse_direction_NS_24const_host_device_scalarIT1_EES4_PKS4_PKT2_SD_SA_PKT4_PKT5_S8_PT6_21rocsparse_index_base_b, .Lfunc_end176-_ZN9rocsparseL18bsrxmvn_4x4_kernelILj128ELj8E21rocsparse_complex_numIdEllS1_IfES2_S2_EEvT3_20rocsparse_direction_NS_24const_host_device_scalarIT1_EES4_PKS4_PKT2_SD_SA_PKT4_PKT5_S8_PT6_21rocsparse_index_base_b
                                        ; -- End function
	.set _ZN9rocsparseL18bsrxmvn_4x4_kernelILj128ELj8E21rocsparse_complex_numIdEllS1_IfES2_S2_EEvT3_20rocsparse_direction_NS_24const_host_device_scalarIT1_EES4_PKS4_PKT2_SD_SA_PKT4_PKT5_S8_PT6_21rocsparse_index_base_b.num_vgpr, 152
	.set _ZN9rocsparseL18bsrxmvn_4x4_kernelILj128ELj8E21rocsparse_complex_numIdEllS1_IfES2_S2_EEvT3_20rocsparse_direction_NS_24const_host_device_scalarIT1_EES4_PKS4_PKT2_SD_SA_PKT4_PKT5_S8_PT6_21rocsparse_index_base_b.num_agpr, 0
	.set _ZN9rocsparseL18bsrxmvn_4x4_kernelILj128ELj8E21rocsparse_complex_numIdEllS1_IfES2_S2_EEvT3_20rocsparse_direction_NS_24const_host_device_scalarIT1_EES4_PKS4_PKT2_SD_SA_PKT4_PKT5_S8_PT6_21rocsparse_index_base_b.numbered_sgpr, 12
	.set _ZN9rocsparseL18bsrxmvn_4x4_kernelILj128ELj8E21rocsparse_complex_numIdEllS1_IfES2_S2_EEvT3_20rocsparse_direction_NS_24const_host_device_scalarIT1_EES4_PKS4_PKT2_SD_SA_PKT4_PKT5_S8_PT6_21rocsparse_index_base_b.num_named_barrier, 0
	.set _ZN9rocsparseL18bsrxmvn_4x4_kernelILj128ELj8E21rocsparse_complex_numIdEllS1_IfES2_S2_EEvT3_20rocsparse_direction_NS_24const_host_device_scalarIT1_EES4_PKS4_PKT2_SD_SA_PKT4_PKT5_S8_PT6_21rocsparse_index_base_b.private_seg_size, 0
	.set _ZN9rocsparseL18bsrxmvn_4x4_kernelILj128ELj8E21rocsparse_complex_numIdEllS1_IfES2_S2_EEvT3_20rocsparse_direction_NS_24const_host_device_scalarIT1_EES4_PKS4_PKT2_SD_SA_PKT4_PKT5_S8_PT6_21rocsparse_index_base_b.uses_vcc, 1
	.set _ZN9rocsparseL18bsrxmvn_4x4_kernelILj128ELj8E21rocsparse_complex_numIdEllS1_IfES2_S2_EEvT3_20rocsparse_direction_NS_24const_host_device_scalarIT1_EES4_PKS4_PKT2_SD_SA_PKT4_PKT5_S8_PT6_21rocsparse_index_base_b.uses_flat_scratch, 0
	.set _ZN9rocsparseL18bsrxmvn_4x4_kernelILj128ELj8E21rocsparse_complex_numIdEllS1_IfES2_S2_EEvT3_20rocsparse_direction_NS_24const_host_device_scalarIT1_EES4_PKS4_PKT2_SD_SA_PKT4_PKT5_S8_PT6_21rocsparse_index_base_b.has_dyn_sized_stack, 0
	.set _ZN9rocsparseL18bsrxmvn_4x4_kernelILj128ELj8E21rocsparse_complex_numIdEllS1_IfES2_S2_EEvT3_20rocsparse_direction_NS_24const_host_device_scalarIT1_EES4_PKS4_PKT2_SD_SA_PKT4_PKT5_S8_PT6_21rocsparse_index_base_b.has_recursion, 0
	.set _ZN9rocsparseL18bsrxmvn_4x4_kernelILj128ELj8E21rocsparse_complex_numIdEllS1_IfES2_S2_EEvT3_20rocsparse_direction_NS_24const_host_device_scalarIT1_EES4_PKS4_PKT2_SD_SA_PKT4_PKT5_S8_PT6_21rocsparse_index_base_b.has_indirect_call, 0
	.section	.AMDGPU.csdata,"",@progbits
; Kernel info:
; codeLenInByte = 9140
; TotalNumSgprs: 14
; NumVgprs: 152
; ScratchSize: 0
; MemoryBound: 0
; FloatMode: 240
; IeeeMode: 1
; LDSByteSize: 0 bytes/workgroup (compile time only)
; SGPRBlocks: 0
; VGPRBlocks: 9
; NumSGPRsForWavesPerEU: 14
; NumVGPRsForWavesPerEU: 152
; NamedBarCnt: 0
; Occupancy: 6
; WaveLimiterHint : 1
; COMPUTE_PGM_RSRC2:SCRATCH_EN: 0
; COMPUTE_PGM_RSRC2:USER_SGPR: 2
; COMPUTE_PGM_RSRC2:TRAP_HANDLER: 0
; COMPUTE_PGM_RSRC2:TGID_X_EN: 1
; COMPUTE_PGM_RSRC2:TGID_Y_EN: 0
; COMPUTE_PGM_RSRC2:TGID_Z_EN: 0
; COMPUTE_PGM_RSRC2:TIDIG_COMP_CNT: 0
	.section	.text._ZN9rocsparseL18bsrxmvn_4x4_kernelILj128ELj16E21rocsparse_complex_numIdEllS1_IfES2_S2_EEvT3_20rocsparse_direction_NS_24const_host_device_scalarIT1_EES4_PKS4_PKT2_SD_SA_PKT4_PKT5_S8_PT6_21rocsparse_index_base_b,"axG",@progbits,_ZN9rocsparseL18bsrxmvn_4x4_kernelILj128ELj16E21rocsparse_complex_numIdEllS1_IfES2_S2_EEvT3_20rocsparse_direction_NS_24const_host_device_scalarIT1_EES4_PKS4_PKT2_SD_SA_PKT4_PKT5_S8_PT6_21rocsparse_index_base_b,comdat
	.globl	_ZN9rocsparseL18bsrxmvn_4x4_kernelILj128ELj16E21rocsparse_complex_numIdEllS1_IfES2_S2_EEvT3_20rocsparse_direction_NS_24const_host_device_scalarIT1_EES4_PKS4_PKT2_SD_SA_PKT4_PKT5_S8_PT6_21rocsparse_index_base_b ; -- Begin function _ZN9rocsparseL18bsrxmvn_4x4_kernelILj128ELj16E21rocsparse_complex_numIdEllS1_IfES2_S2_EEvT3_20rocsparse_direction_NS_24const_host_device_scalarIT1_EES4_PKS4_PKT2_SD_SA_PKT4_PKT5_S8_PT6_21rocsparse_index_base_b
	.p2align	8
	.type	_ZN9rocsparseL18bsrxmvn_4x4_kernelILj128ELj16E21rocsparse_complex_numIdEllS1_IfES2_S2_EEvT3_20rocsparse_direction_NS_24const_host_device_scalarIT1_EES4_PKS4_PKT2_SD_SA_PKT4_PKT5_S8_PT6_21rocsparse_index_base_b,@function
_ZN9rocsparseL18bsrxmvn_4x4_kernelILj128ELj16E21rocsparse_complex_numIdEllS1_IfES2_S2_EEvT3_20rocsparse_direction_NS_24const_host_device_scalarIT1_EES4_PKS4_PKT2_SD_SA_PKT4_PKT5_S8_PT6_21rocsparse_index_base_b: ; @_ZN9rocsparseL18bsrxmvn_4x4_kernelILj128ELj16E21rocsparse_complex_numIdEllS1_IfES2_S2_EEvT3_20rocsparse_direction_NS_24const_host_device_scalarIT1_EES4_PKS4_PKT2_SD_SA_PKT4_PKT5_S8_PT6_21rocsparse_index_base_b
; %bb.0:
	s_clause 0x1
	s_load_b64 s[4:5], s[0:1], 0x70
	s_load_b64 s[2:3], s[0:1], 0x10
	v_mov_b32_e32 v1, 0
	s_add_nc_u64 s[6:7], s[0:1], 16
	s_load_b64 s[8:9], s[0:1], 0x58
	s_wait_kmcnt 0x0
	s_bitcmp1_b32 s5, 0
	s_cselect_b32 s3, s7, s3
	s_cselect_b32 s2, s6, s2
	flat_load_b128 v[6:9], v1, s[2:3]
	s_wait_xcnt 0x0
	s_add_nc_u64 s[2:3], s[0:1], 0x58
	s_delay_alu instid0(SALU_CYCLE_1)
	s_cselect_b32 s3, s3, s9
	s_cselect_b32 s2, s2, s8
	flat_load_b128 v[2:5], v1, s[2:3]
	s_wait_loadcnt_dscnt 0x101
	v_cmp_eq_f64_e32 vcc_lo, 0, v[6:7]
	s_wait_xcnt 0x0
	v_cmp_eq_f64_e64 s2, 0, v[8:9]
	s_and_b32 s5, vcc_lo, s2
	s_mov_b32 s2, -1
	s_and_saveexec_b32 s3, s5
	s_cbranch_execz .LBB177_2
; %bb.1:
	s_wait_loadcnt_dscnt 0x0
	v_cmp_neq_f64_e32 vcc_lo, 1.0, v[2:3]
	v_cmp_neq_f64_e64 s2, 0, v[4:5]
	s_or_b32 s2, vcc_lo, s2
	s_delay_alu instid0(SALU_CYCLE_1)
	s_or_not1_b32 s2, s2, exec_lo
.LBB177_2:
	s_or_b32 exec_lo, exec_lo, s3
	s_and_saveexec_b32 s3, s2
	s_cbranch_execz .LBB177_8
; %bb.3:
	s_load_b64 s[2:3], s[0:1], 0x28
	s_bfe_u32 s5, ttmp6, 0x4000c
	s_and_b32 s6, ttmp6, 15
	s_add_co_i32 s5, s5, 1
	s_getreg_b32 s7, hwreg(HW_REG_IB_STS2, 6, 4)
	s_mul_i32 s5, ttmp9, s5
	v_dual_lshrrev_b32 v1, 4, v0 :: v_dual_mov_b32 v11, 0
	s_add_co_i32 s6, s6, s5
	s_cmp_eq_u32 s7, 0
	s_cselect_b32 s5, ttmp9, s6
	s_mov_b32 s6, 0
	v_lshl_or_b32 v10, s5, 3, v1
	s_wait_kmcnt 0x0
	s_cmp_lg_u64 s[2:3], 0
	s_cbranch_scc0 .LBB177_9
; %bb.4:
	s_load_b64 s[6:7], s[0:1], 0x20
                                        ; implicit-def: $vgpr26_vgpr27
                                        ; implicit-def: $vgpr12_vgpr13
	s_wait_kmcnt 0x0
	v_cmp_gt_i64_e32 vcc_lo, s[6:7], v[10:11]
	s_mov_b32 s7, 0
	s_mov_b32 s6, 0
	s_and_saveexec_b32 s5, vcc_lo
	s_delay_alu instid0(SALU_CYCLE_1)
	s_xor_b32 s8, exec_lo, s5
	s_cbranch_execz .LBB177_6
; %bb.5:
	v_lshl_add_u64 v[12:13], v[10:11], 3, s[2:3]
	s_mov_b32 s5, 0
	s_mov_b32 s6, exec_lo
	global_load_b64 v[12:13], v[12:13], off
	s_wait_loadcnt 0x0
	v_sub_nc_u64_e64 v[26:27], v[12:13], s[4:5]
	v_mov_b64_e32 v[12:13], s[4:5]
.LBB177_6:
	s_or_b32 exec_lo, exec_lo, s8
	s_delay_alu instid0(SALU_CYCLE_1)
	s_and_b32 vcc_lo, exec_lo, s7
	s_cbranch_vccnz .LBB177_10
.LBB177_7:
	s_and_b32 exec_lo, exec_lo, s6
	s_cbranch_execnz .LBB177_13
.LBB177_8:
	s_sendmsg sendmsg(MSG_DEALLOC_VGPRS)
	s_endpgm
.LBB177_9:
                                        ; implicit-def: $vgpr26_vgpr27
                                        ; implicit-def: $vgpr12_vgpr13
	s_cbranch_execz .LBB177_7
.LBB177_10:
	s_load_b64 s[2:3], s[0:1], 0x0
	s_wait_kmcnt 0x0
	v_cmp_gt_i64_e32 vcc_lo, s[2:3], v[10:11]
	s_and_saveexec_b32 s2, vcc_lo
; %bb.11:
	s_mov_b32 s5, 0
	s_or_b32 s6, s6, exec_lo
; %bb.12:
	s_or_b32 exec_lo, exec_lo, s2
	v_mov_b64_e32 v[12:13], s[4:5]
	v_mov_b64_e32 v[26:27], v[10:11]
	s_and_b32 exec_lo, exec_lo, s6
	s_cbranch_execz .LBB177_8
.LBB177_13:
	s_load_b256 s[4:11], s[0:1], 0x30
	s_delay_alu instid0(VALU_DEP_1) | instskip(SKIP_3) | instid1(VALU_DEP_2)
	v_lshlrev_b64_e32 v[10:11], 3, v[26:27]
	v_dual_mov_b32 v1, 0 :: v_dual_bitop2_b32 v0, 15, v0 bitop3:0x40
	s_load_b32 s3, s[0:1], 0x8
	s_wait_kmcnt 0x0
	v_add_nc_u64_e32 v[14:15], s[4:5], v[10:11]
	v_add_nc_u64_e32 v[10:11], s[6:7], v[10:11]
	s_cmp_eq_u64 s[6:7], 0
	s_load_b64 s[4:5], s[0:1], 0x50
	s_cselect_b32 vcc_lo, -1, 0
	s_cmp_eq_u32 s3, 1
	global_load_b64 v[36:37], v[14:15], off
	s_wait_xcnt 0x0
	v_add_nc_u64_e32 v[14:15], 8, v[14:15]
	s_delay_alu instid0(VALU_DEP_1) | instskip(SKIP_3) | instid1(VALU_DEP_1)
	v_dual_cndmask_b32 v11, v11, v15 :: v_dual_cndmask_b32 v10, v10, v14
	global_load_b64 v[10:11], v[10:11], off
	s_wait_loadcnt 0x1
	v_sub_nc_u64_e32 v[14:15], v[36:37], v[12:13]
	v_add_nc_u64_e32 v[20:21], v[14:15], v[0:1]
	s_wait_loadcnt 0x0
	v_sub_nc_u64_e32 v[22:23], v[10:11], v[12:13]
	s_delay_alu instid0(VALU_DEP_2) | instskip(NEXT) | instid1(VALU_DEP_2)
	v_lshlrev_b64_e32 v[14:15], 7, v[20:21]
	v_cmp_lt_i64_e64 s2, v[20:21], v[22:23]
	s_delay_alu instid0(VALU_DEP_2)
	v_add_nc_u64_e32 v[24:25], s[10:11], v[14:15]
	s_cbranch_scc1 .LBB177_25
; %bb.14:
	v_mov_b64_e32 v[10:11], 0
	v_mov_b64_e32 v[30:31], 0
	;; [unrolled: 1-line block ×8, first 2 shown]
	s_and_saveexec_b32 s3, s2
	s_cbranch_execz .LBB177_24
; %bb.15:
	v_dual_mov_b32 v11, v1 :: v_dual_bitop2_b32 v10, 16, v0 bitop3:0x54
	v_sub_nc_u64_e32 v[14:15], v[12:13], v[0:1]
	v_not_b32_e32 v17, v37
	v_not_b32_e32 v16, v36
	v_mov_b64_e32 v[28:29], 0
	v_sub_nc_u64_e32 v[10:11], v[10:11], v[12:13]
	v_mov_b64_e32 v[18:19], 0
	v_mov_b64_e32 v[34:35], 0
	v_add_nc_u64_e32 v[14:15], v[14:15], v[16:17]
	v_mov_b64_e32 v[16:17], 0
	v_mov_b64_e32 v[32:33], 0
	;; [unrolled: 1-line block ×3, first 2 shown]
	v_add_nc_u64_e32 v[10:11], v[10:11], v[36:37]
	v_mov_b64_e32 v[38:39], v[24:25]
	v_mov_b64_e32 v[40:41], v[20:21]
	s_mov_b32 s6, exec_lo
	s_delay_alu instid0(VALU_DEP_3) | instskip(NEXT) | instid1(VALU_DEP_1)
	v_max_i64 v[10:11], v[10:11], v[22:23]
	v_add_nc_u64_e32 v[42:43], v[14:15], v[10:11]
	v_mov_b64_e32 v[14:15], 0
	v_mov_b64_e32 v[10:11], 0
	s_delay_alu instid0(VALU_DEP_3) | instskip(NEXT) | instid1(VALU_DEP_1)
	v_dual_mov_b32 v47, 0 :: v_dual_bitop2_b32 v46, 48, v42 bitop3:0x40
	v_cmpx_ne_u64_e32 48, v[46:47]
	s_cbranch_execz .LBB177_19
; %bb.16:
	v_lshrrev_b32_e32 v10, 4, v42
	v_mov_b64_e32 v[30:31], 0
	v_mov_b64_e32 v[14:15], 0
	;; [unrolled: 1-line block ×4, first 2 shown]
	v_add_nc_u32_e32 v16, 1, v10
	v_mov_b64_e32 v[10:11], 0
	v_mov_b64_e32 v[18:19], 0
	;; [unrolled: 1-line block ×4, first 2 shown]
	v_and_b32_e32 v46, 3, v16
	v_mov_b64_e32 v[16:17], 0
	v_mov_b64_e32 v[38:39], v[24:25]
	v_lshl_add_u64 v[44:45], v[20:21], 3, s[8:9]
	s_mov_b32 s7, 0
	v_sub_nc_u64_e32 v[46:47], 0, v[46:47]
.LBB177_17:                             ; =>This Inner Loop Header: Depth=1
	global_load_b64 v[68:69], v[44:45], off
	s_clause 0x4
	global_load_b128 v[48:51], v[38:39], off
	global_load_b128 v[52:55], v[38:39], off offset:32
	global_load_b128 v[56:59], v[38:39], off offset:64
	;; [unrolled: 1-line block ×4, first 2 shown]
	v_add_nc_u64_e32 v[46:47], 1, v[46:47]
	v_add_nc_u64_e32 v[40:41], 16, v[40:41]
	s_wait_xcnt 0x5
	v_add_nc_u64_e32 v[44:45], 0x80, v[44:45]
	s_delay_alu instid0(VALU_DEP_3)
	v_cmp_eq_u64_e32 vcc_lo, 0, v[46:47]
	s_or_b32 s7, vcc_lo, s7
	s_wait_loadcnt 0x5
	v_sub_nc_u64_e32 v[68:69], v[68:69], v[12:13]
	s_wait_loadcnt 0x3
	v_cvt_f64_f32_e32 v[98:99], v52
	v_cvt_f64_f32_e32 v[52:53], v53
	s_wait_loadcnt 0x2
	v_cvt_f64_f32_e32 v[100:101], v56
	v_cvt_f64_f32_e32 v[56:57], v57
	s_wait_loadcnt 0x1
	v_cvt_f64_f32_e32 v[102:103], v60
	v_lshlrev_b64_e32 v[68:69], 6, v[68:69]
	v_cvt_f64_f32_e32 v[60:61], v61
	v_cvt_f64_f32_e32 v[104:105], v54
	;; [unrolled: 1-line block ×6, first 2 shown]
	s_wait_kmcnt 0x0
	v_add_nc_u64_e32 v[96:97], s[4:5], v[68:69]
	v_cvt_f64_f32_e32 v[62:63], v63
	s_clause 0x1
	global_load_b128 v[68:71], v[96:97], off
	global_load_b128 v[72:75], v[96:97], off offset:16
	s_clause 0x2
	global_load_b128 v[76:79], v[38:39], off offset:16
	global_load_b128 v[80:83], v[38:39], off offset:80
	;; [unrolled: 1-line block ×3, first 2 shown]
	s_clause 0x1
	global_load_b128 v[88:91], v[96:97], off offset:32
	global_load_b128 v[92:95], v[96:97], off offset:48
	s_wait_xcnt 0x0
	v_cvt_f64_f32_e32 v[96:97], v48
	v_cvt_f64_f32_e32 v[48:49], v49
	v_add_nc_u64_e32 v[38:39], 0x800, v[38:39]
	s_wait_loadcnt 0x6
	s_delay_alu instid0(VALU_DEP_3) | instskip(NEXT) | instid1(VALU_DEP_3)
	v_fmac_f64_e32 v[30:31], v[96:97], v[68:69]
	v_fmac_f64_e32 v[10:11], v[48:49], v[68:69]
	;; [unrolled: 1-line block ×8, first 2 shown]
	v_cvt_f64_f32_e32 v[68:69], v50
	v_cvt_f64_f32_e32 v[50:51], v51
	v_fma_f64 v[30:31], -v[48:49], v[70:71], v[30:31]
	v_fmac_f64_e32 v[10:11], v[96:97], v[70:71]
	v_fma_f64 v[32:33], -v[52:53], v[70:71], v[32:33]
	v_fmac_f64_e32 v[14:15], v[98:99], v[70:71]
	;; [unrolled: 2-line block ×4, first 2 shown]
	s_wait_loadcnt 0x4
	v_cvt_f64_f32_e32 v[48:49], v76
	v_cvt_f64_f32_e32 v[52:53], v77
	;; [unrolled: 1-line block ×4, first 2 shown]
	s_wait_loadcnt 0x3
	v_cvt_f64_f32_e32 v[64:65], v80
	v_cvt_f64_f32_e32 v[70:71], v81
	s_wait_loadcnt 0x2
	v_cvt_f64_f32_e32 v[76:77], v85
	v_fmac_f64_e32 v[30:31], v[68:69], v[72:73]
	v_fmac_f64_e32 v[10:11], v[50:51], v[72:73]
	;; [unrolled: 1-line block ×8, first 2 shown]
	v_cvt_f64_f32_e32 v[72:73], v84
	v_fma_f64 v[30:31], -v[50:51], v[74:75], v[30:31]
	v_fmac_f64_e32 v[10:11], v[68:69], v[74:75]
	v_fma_f64 v[32:33], -v[54:55], v[74:75], v[32:33]
	v_fmac_f64_e32 v[14:15], v[104:105], v[74:75]
	;; [unrolled: 2-line block ×4, first 2 shown]
	v_cvt_f64_f32_e32 v[50:51], v78
	v_cvt_f64_f32_e32 v[54:55], v79
	;; [unrolled: 1-line block ×8, first 2 shown]
	s_wait_loadcnt 0x1
	v_fmac_f64_e32 v[30:31], v[48:49], v[88:89]
	v_fmac_f64_e32 v[10:11], v[52:53], v[88:89]
	;; [unrolled: 1-line block ×8, first 2 shown]
	v_fma_f64 v[30:31], -v[52:53], v[90:91], v[30:31]
	v_fmac_f64_e32 v[10:11], v[48:49], v[90:91]
	v_fma_f64 v[32:33], -v[60:61], v[90:91], v[32:33]
	v_fmac_f64_e32 v[14:15], v[56:57], v[90:91]
	;; [unrolled: 2-line block ×4, first 2 shown]
	s_wait_loadcnt 0x0
	v_fmac_f64_e32 v[30:31], v[50:51], v[92:93]
	v_fmac_f64_e32 v[10:11], v[54:55], v[92:93]
	;; [unrolled: 1-line block ×8, first 2 shown]
	v_fma_f64 v[30:31], -v[54:55], v[94:95], v[30:31]
	v_fmac_f64_e32 v[10:11], v[50:51], v[94:95]
	v_fma_f64 v[32:33], -v[62:63], v[94:95], v[32:33]
	v_fmac_f64_e32 v[14:15], v[58:59], v[94:95]
	;; [unrolled: 2-line block ×4, first 2 shown]
	s_and_not1_b32 exec_lo, exec_lo, s7
	s_cbranch_execnz .LBB177_17
; %bb.18:
	s_or_b32 exec_lo, exec_lo, s7
.LBB177_19:
	s_delay_alu instid0(SALU_CYCLE_1) | instskip(NEXT) | instid1(SALU_CYCLE_1)
	s_or_b32 exec_lo, exec_lo, s6
	s_mov_b32 s6, exec_lo
	v_cmpx_lt_u64_e32 47, v[42:43]
	s_cbranch_execz .LBB177_23
; %bb.20:
	v_lshl_add_u64 v[42:43], v[40:41], 3, s[8:9]
	s_mov_b32 s7, 0
	s_delay_alu instid0(VALU_DEP_1)
	v_add_nc_u64_e32 v[42:43], 0x100, v[42:43]
.LBB177_21:                             ; =>This Inner Loop Header: Depth=1
	s_clause 0x1
	global_load_b64 v[60:61], v[42:43], off offset:-256
	global_load_b64 v[108:109], v[42:43], off offset:-128
	s_clause 0x3
	global_load_b128 v[44:47], v[38:39], off
	global_load_b128 v[48:51], v[38:39], off offset:32
	global_load_b128 v[52:55], v[38:39], off offset:64
	;; [unrolled: 1-line block ×3, first 2 shown]
	s_clause 0x1
	global_load_b64 v[132:133], v[42:43], off
	global_load_b64 v[134:135], v[42:43], off offset:128
	v_add_nc_u64_e32 v[40:41], 64, v[40:41]
	s_wait_xcnt 0x0
	v_add_nc_u64_e32 v[42:43], 0x200, v[42:43]
	s_delay_alu instid0(VALU_DEP_2)
	v_cmp_ge_i64_e32 vcc_lo, v[40:41], v[22:23]
	s_or_b32 s7, vcc_lo, s7
	s_wait_loadcnt 0x7
	v_sub_nc_u64_e32 v[60:61], v[60:61], v[12:13]
	s_wait_loadcnt 0x6
	v_sub_nc_u64_e32 v[108:109], v[108:109], v[12:13]
	s_wait_loadcnt 0x5
	v_cvt_f64_f32_e32 v[138:139], v44
	v_cvt_f64_f32_e32 v[44:45], v45
	s_wait_loadcnt 0x4
	v_cvt_f64_f32_e32 v[140:141], v48
	v_cvt_f64_f32_e32 v[48:49], v49
	s_wait_loadcnt 0x3
	v_cvt_f64_f32_e32 v[142:143], v52
	v_lshlrev_b64_e32 v[60:61], 6, v[60:61]
	v_lshlrev_b64_e32 v[108:109], 6, v[108:109]
	v_cvt_f64_f32_e32 v[52:53], v53
	s_wait_loadcnt 0x2
	v_cvt_f64_f32_e32 v[144:145], v56
	v_cvt_f64_f32_e32 v[56:57], v57
	;; [unrolled: 1-line block ×4, first 2 shown]
	s_wait_kmcnt 0x0
	v_add_nc_u64_e32 v[110:111], s[4:5], v[60:61]
	v_add_nc_u64_e32 v[136:137], s[4:5], v[108:109]
	v_cvt_f64_f32_e32 v[148:149], v54
	v_cvt_f64_f32_e32 v[54:55], v55
	;; [unrolled: 1-line block ×4, first 2 shown]
	s_clause 0x1
	global_load_b128 v[60:63], v[110:111], off
	global_load_b128 v[64:67], v[110:111], off offset:16
	s_clause 0x3
	global_load_b128 v[68:71], v[38:39], off offset:16
	global_load_b128 v[72:75], v[38:39], off offset:48
	;; [unrolled: 1-line block ×4, first 2 shown]
	s_clause 0x1
	global_load_b128 v[84:87], v[110:111], off offset:32
	global_load_b128 v[88:91], v[110:111], off offset:48
	s_clause 0x3
	global_load_b128 v[92:95], v[38:39], off offset:2048
	global_load_b128 v[96:99], v[38:39], off offset:2080
	;; [unrolled: 1-line block ×4, first 2 shown]
	s_clause 0x1
	global_load_b128 v[108:111], v[136:137], off
	global_load_b128 v[112:115], v[136:137], off offset:16
	s_clause 0x3
	global_load_b128 v[116:119], v[38:39], off offset:2096
	global_load_b128 v[120:123], v[38:39], off offset:2064
	global_load_b128 v[124:127], v[38:39], off offset:2128
	global_load_b128 v[128:131], v[38:39], off offset:2160
	s_wait_loadcnt 0x11
	v_fmac_f64_e32 v[30:31], v[138:139], v[60:61]
	v_fmac_f64_e32 v[10:11], v[44:45], v[60:61]
	;; [unrolled: 1-line block ×8, first 2 shown]
	v_cvt_f64_f32_e32 v[60:61], v46
	v_cvt_f64_f32_e32 v[46:47], v47
	v_fma_f64 v[44:45], -v[44:45], v[62:63], v[30:31]
	v_fmac_f64_e32 v[10:11], v[138:139], v[62:63]
	v_fma_f64 v[32:33], -v[48:49], v[62:63], v[32:33]
	v_fmac_f64_e32 v[14:15], v[140:141], v[62:63]
	;; [unrolled: 2-line block ×4, first 2 shown]
	global_load_b128 v[28:31], v[136:137], off offset:32
	s_wait_loadcnt 0x10
	v_cvt_f64_f32_e32 v[62:63], v68
	s_wait_loadcnt 0xe
	v_cvt_f64_f32_e32 v[138:139], v76
	v_cvt_f64_f32_e32 v[76:77], v77
	s_wait_loadcnt 0xd
	v_cvt_f64_f32_e32 v[140:141], v80
	v_cvt_f64_f32_e32 v[80:81], v81
	v_fmac_f64_e32 v[44:45], v[60:61], v[64:65]
	v_fmac_f64_e32 v[10:11], v[46:47], v[64:65]
	;; [unrolled: 1-line block ×8, first 2 shown]
	v_cvt_f64_f32_e32 v[64:65], v69
	v_cvt_f64_f32_e32 v[68:69], v72
	;; [unrolled: 1-line block ×3, first 2 shown]
	v_fma_f64 v[142:143], -v[46:47], v[66:67], v[44:45]
	v_fmac_f64_e32 v[10:11], v[60:61], v[66:67]
	v_fma_f64 v[60:61], -v[50:51], v[66:67], v[32:33]
	v_fmac_f64_e32 v[14:15], v[146:147], v[66:67]
	;; [unrolled: 2-line block ×4, first 2 shown]
	global_load_b128 v[32:35], v[136:137], off offset:48
	s_clause 0x3
	global_load_b128 v[44:47], v[38:39], off offset:4128
	global_load_b128 v[48:51], v[38:39], off offset:4096
	;; [unrolled: 1-line block ×4, first 2 shown]
	v_cvt_f64_f32_e32 v[66:67], v70
	v_cvt_f64_f32_e32 v[70:71], v71
	s_wait_xcnt 0x4
	v_cvt_f64_f32_e32 v[136:137], v78
	v_cvt_f64_f32_e32 v[78:79], v79
	;; [unrolled: 1-line block ×4, first 2 shown]
	s_wait_loadcnt 0x11
	v_fmac_f64_e32 v[142:143], v[62:63], v[84:85]
	v_fmac_f64_e32 v[10:11], v[64:65], v[84:85]
	;; [unrolled: 1-line block ×8, first 2 shown]
	v_cvt_f64_f32_e32 v[84:85], v74
	v_cvt_f64_f32_e32 v[74:75], v75
	v_fma_f64 v[64:65], -v[64:65], v[86:87], v[142:143]
	v_fmac_f64_e32 v[10:11], v[62:63], v[86:87]
	v_fma_f64 v[72:73], -v[72:73], v[86:87], v[60:61]
	v_fmac_f64_e32 v[14:15], v[68:69], v[86:87]
	;; [unrolled: 2-line block ×4, first 2 shown]
	v_sub_nc_u64_e32 v[60:61], v[132:133], v[12:13]
	s_wait_loadcnt 0xf
	v_cvt_f64_f32_e32 v[86:87], v92
	s_wait_loadcnt 0xd
	v_cvt_f64_f32_e32 v[138:139], v100
	v_cvt_f64_f32_e32 v[100:101], v101
	s_wait_loadcnt 0xc
	v_cvt_f64_f32_e32 v[140:141], v104
	v_cvt_f64_f32_e32 v[104:105], v105
	;; [unrolled: 1-line block ×3, first 2 shown]
	v_lshlrev_b64_e32 v[60:61], 6, v[60:61]
	v_cvt_f64_f32_e32 v[102:103], v103
	s_delay_alu instid0(VALU_DEP_2)
	v_add_nc_u64_e32 v[132:133], s[4:5], v[60:61]
	global_load_b128 v[60:63], v[132:133], off
	v_fmac_f64_e32 v[64:65], v[66:67], v[88:89]
	v_fmac_f64_e32 v[10:11], v[70:71], v[88:89]
	v_fmac_f64_e32 v[72:73], v[84:85], v[88:89]
	v_fmac_f64_e32 v[14:15], v[74:75], v[88:89]
	v_fmac_f64_e32 v[68:69], v[136:137], v[88:89]
	v_fmac_f64_e32 v[16:17], v[78:79], v[88:89]
	v_fmac_f64_e32 v[76:77], v[148:149], v[88:89]
	v_fmac_f64_e32 v[18:19], v[82:83], v[88:89]
	v_cvt_f64_f32_e32 v[88:89], v93
	v_cvt_f64_f32_e32 v[92:93], v96
	;; [unrolled: 1-line block ×3, first 2 shown]
	v_fma_f64 v[142:143], -v[70:71], v[90:91], v[64:65]
	v_fmac_f64_e32 v[10:11], v[66:67], v[90:91]
	v_fma_f64 v[144:145], -v[74:75], v[90:91], v[72:73]
	v_fmac_f64_e32 v[14:15], v[84:85], v[90:91]
	v_fma_f64 v[84:85], -v[78:79], v[90:91], v[68:69]
	v_fmac_f64_e32 v[16:17], v[136:137], v[90:91]
	v_fma_f64 v[136:137], -v[82:83], v[90:91], v[76:77]
	v_fmac_f64_e32 v[18:19], v[148:149], v[90:91]
	global_load_b128 v[64:67], v[132:133], off offset:16
	s_clause 0x3
	global_load_b128 v[68:71], v[38:39], off offset:4144
	global_load_b128 v[72:75], v[38:39], off offset:4112
	;; [unrolled: 1-line block ×4, first 2 shown]
	v_cvt_f64_f32_e32 v[90:91], v94
	v_cvt_f64_f32_e32 v[94:95], v95
	;; [unrolled: 1-line block ×4, first 2 shown]
	s_wait_loadcnt 0x11
	v_fmac_f64_e32 v[142:143], v[86:87], v[108:109]
	v_fmac_f64_e32 v[10:11], v[88:89], v[108:109]
	;; [unrolled: 1-line block ×8, first 2 shown]
	v_cvt_f64_f32_e32 v[108:109], v98
	v_cvt_f64_f32_e32 v[98:99], v99
	v_fma_f64 v[88:89], -v[88:89], v[110:111], v[142:143]
	v_fmac_f64_e32 v[10:11], v[86:87], v[110:111]
	v_fma_f64 v[96:97], -v[96:97], v[110:111], v[144:145]
	v_fmac_f64_e32 v[14:15], v[92:93], v[110:111]
	;; [unrolled: 2-line block ×4, first 2 shown]
	global_load_b128 v[84:87], v[132:133], off offset:32
	s_wait_loadcnt 0xf
	v_cvt_f64_f32_e32 v[110:111], v120
	s_wait_loadcnt 0xe
	v_cvt_f64_f32_e32 v[136:137], v124
	v_cvt_f64_f32_e32 v[124:125], v125
	s_wait_loadcnt 0xd
	v_cvt_f64_f32_e32 v[138:139], v128
	v_cvt_f64_f32_e32 v[128:129], v129
	v_fmac_f64_e32 v[88:89], v[90:91], v[112:113]
	v_fmac_f64_e32 v[10:11], v[94:95], v[112:113]
	;; [unrolled: 1-line block ×8, first 2 shown]
	v_cvt_f64_f32_e32 v[112:113], v121
	v_cvt_f64_f32_e32 v[120:121], v116
	;; [unrolled: 1-line block ×3, first 2 shown]
	v_fma_f64 v[140:141], -v[94:95], v[114:115], v[88:89]
	v_fmac_f64_e32 v[10:11], v[90:91], v[114:115]
	v_fma_f64 v[142:143], -v[98:99], v[114:115], v[96:97]
	v_fmac_f64_e32 v[14:15], v[108:109], v[114:115]
	;; [unrolled: 2-line block ×4, first 2 shown]
	global_load_b128 v[88:91], v[132:133], off offset:48
	s_clause 0x3
	global_load_b128 v[92:95], v[38:39], off offset:6176
	global_load_b128 v[96:99], v[38:39], off offset:6144
	;; [unrolled: 1-line block ×4, first 2 shown]
	v_cvt_f64_f32_e32 v[114:115], v122
	v_cvt_f64_f32_e32 v[122:123], v123
	s_wait_xcnt 0x4
	v_cvt_f64_f32_e32 v[132:133], v118
	v_cvt_f64_f32_e32 v[118:119], v119
	;; [unrolled: 1-line block ×6, first 2 shown]
	s_wait_loadcnt 0x11
	v_fmac_f64_e32 v[140:141], v[110:111], v[28:29]
	v_fmac_f64_e32 v[10:11], v[112:113], v[28:29]
	;; [unrolled: 1-line block ×8, first 2 shown]
	v_sub_nc_u64_e32 v[28:29], v[134:135], v[12:13]
	s_delay_alu instid0(VALU_DEP_1)
	v_lshlrev_b64_e32 v[28:29], 6, v[28:29]
	v_fma_f64 v[112:113], -v[112:113], v[30:31], v[140:141]
	v_fmac_f64_e32 v[10:11], v[110:111], v[30:31]
	v_fma_f64 v[110:111], -v[116:117], v[30:31], v[142:143]
	v_fmac_f64_e32 v[14:15], v[120:121], v[30:31]
	;; [unrolled: 2-line block ×4, first 2 shown]
	v_add_nc_u64_e32 v[124:125], s[4:5], v[28:29]
	s_wait_loadcnt 0xe
	v_cvt_f64_f32_e32 v[128:129], v48
	v_cvt_f64_f32_e32 v[48:49], v49
	;; [unrolled: 1-line block ×4, first 2 shown]
	s_wait_loadcnt 0xd
	v_cvt_f64_f32_e32 v[136:137], v52
	v_cvt_f64_f32_e32 v[52:53], v53
	global_load_b128 v[28:31], v[124:125], off
	s_wait_loadcnt 0xd
	v_cvt_f64_f32_e32 v[138:139], v56
	v_cvt_f64_f32_e32 v[56:57], v57
	;; [unrolled: 1-line block ×3, first 2 shown]
	v_fmac_f64_e32 v[112:113], v[114:115], v[32:33]
	v_fmac_f64_e32 v[10:11], v[122:123], v[32:33]
	;; [unrolled: 1-line block ×8, first 2 shown]
	v_fma_f64 v[140:141], -v[122:123], v[34:35], v[112:113]
	v_fmac_f64_e32 v[10:11], v[114:115], v[34:35]
	v_fma_f64 v[142:143], -v[118:119], v[34:35], v[110:111]
	v_fmac_f64_e32 v[14:15], v[132:133], v[34:35]
	;; [unrolled: 2-line block ×4, first 2 shown]
	global_load_b128 v[32:35], v[124:125], off offset:16
	s_clause 0x3
	global_load_b128 v[108:111], v[38:39], off offset:6192
	global_load_b128 v[112:115], v[38:39], off offset:6160
	;; [unrolled: 1-line block ×4, first 2 shown]
	v_cvt_f64_f32_e32 v[132:133], v46
	v_cvt_f64_f32_e32 v[146:147], v54
	;; [unrolled: 1-line block ×5, first 2 shown]
	s_wait_xcnt 0x0
	v_add_nc_u64_e32 v[38:39], 0x2000, v[38:39]
	s_wait_loadcnt 0x11
	v_fmac_f64_e32 v[140:141], v[128:129], v[60:61]
	v_fmac_f64_e32 v[10:11], v[48:49], v[60:61]
	;; [unrolled: 1-line block ×8, first 2 shown]
	v_cvt_f64_f32_e32 v[60:61], v50
	v_cvt_f64_f32_e32 v[50:51], v51
	v_fma_f64 v[48:49], -v[48:49], v[62:63], v[140:141]
	v_fmac_f64_e32 v[10:11], v[128:129], v[62:63]
	v_fma_f64 v[128:129], -v[44:45], v[62:63], v[142:143]
	v_fmac_f64_e32 v[14:15], v[134:135], v[62:63]
	;; [unrolled: 2-line block ×4, first 2 shown]
	global_load_b128 v[44:47], v[124:125], off offset:32
	s_wait_loadcnt 0xf
	v_cvt_f64_f32_e32 v[62:63], v72
	s_wait_loadcnt 0xe
	v_cvt_f64_f32_e32 v[126:127], v76
	v_cvt_f64_f32_e32 v[76:77], v77
	s_wait_loadcnt 0xd
	v_cvt_f64_f32_e32 v[130:131], v80
	v_cvt_f64_f32_e32 v[80:81], v81
	v_fmac_f64_e32 v[48:49], v[60:61], v[64:65]
	v_fmac_f64_e32 v[10:11], v[50:51], v[64:65]
	;; [unrolled: 1-line block ×8, first 2 shown]
	v_cvt_f64_f32_e32 v[64:65], v73
	v_cvt_f64_f32_e32 v[72:73], v68
	;; [unrolled: 1-line block ×3, first 2 shown]
	v_fma_f64 v[134:135], -v[50:51], v[66:67], v[48:49]
	v_fmac_f64_e32 v[10:11], v[60:61], v[66:67]
	v_fma_f64 v[60:61], -v[144:145], v[66:67], v[128:129]
	v_fmac_f64_e32 v[14:15], v[132:133], v[66:67]
	;; [unrolled: 2-line block ×4, first 2 shown]
	global_load_b128 v[48:51], v[124:125], off offset:48
	v_cvt_f64_f32_e32 v[56:57], v74
	v_cvt_f64_f32_e32 v[58:59], v75
	v_cvt_f64_f32_e32 v[66:67], v70
	v_cvt_f64_f32_e32 v[70:71], v71
	v_cvt_f64_f32_e32 v[74:75], v78
	v_cvt_f64_f32_e32 v[78:79], v79
	s_wait_loadcnt 0xd
	v_fmac_f64_e32 v[134:135], v[62:63], v[84:85]
	v_fmac_f64_e32 v[10:11], v[64:65], v[84:85]
	;; [unrolled: 1-line block ×8, first 2 shown]
	v_cvt_f64_f32_e32 v[84:85], v82
	v_cvt_f64_f32_e32 v[82:83], v83
	v_fma_f64 v[64:65], -v[64:65], v[86:87], v[134:135]
	v_fmac_f64_e32 v[10:11], v[62:63], v[86:87]
	v_fma_f64 v[60:61], -v[68:69], v[86:87], v[60:61]
	v_fmac_f64_e32 v[14:15], v[72:73], v[86:87]
	;; [unrolled: 2-line block ×4, first 2 shown]
	s_wait_loadcnt 0xa
	v_cvt_f64_f32_e32 v[62:63], v96
	v_cvt_f64_f32_e32 v[68:69], v97
	;; [unrolled: 1-line block ×4, first 2 shown]
	s_wait_loadcnt 0x9
	v_cvt_f64_f32_e32 v[80:81], v100
	v_cvt_f64_f32_e32 v[86:87], v101
	s_wait_loadcnt 0x8
	v_cvt_f64_f32_e32 v[92:93], v105
	v_fmac_f64_e32 v[64:65], v[56:57], v[88:89]
	v_fmac_f64_e32 v[10:11], v[58:59], v[88:89]
	v_fmac_f64_e32 v[60:61], v[66:67], v[88:89]
	v_fmac_f64_e32 v[14:15], v[70:71], v[88:89]
	v_fmac_f64_e32 v[52:53], v[74:75], v[88:89]
	v_fmac_f64_e32 v[16:17], v[78:79], v[88:89]
	v_fmac_f64_e32 v[54:55], v[84:85], v[88:89]
	v_fmac_f64_e32 v[18:19], v[82:83], v[88:89]
	v_cvt_f64_f32_e32 v[88:89], v104
	v_fma_f64 v[58:59], -v[58:59], v[90:91], v[64:65]
	v_fmac_f64_e32 v[10:11], v[56:57], v[90:91]
	v_fma_f64 v[56:57], -v[70:71], v[90:91], v[60:61]
	v_fmac_f64_e32 v[14:15], v[66:67], v[90:91]
	;; [unrolled: 2-line block ×4, first 2 shown]
	v_cvt_f64_f32_e32 v[60:61], v99
	v_cvt_f64_f32_e32 v[64:65], v94
	;; [unrolled: 1-line block ×7, first 2 shown]
	s_wait_loadcnt 0x7
	v_fmac_f64_e32 v[58:59], v[62:63], v[28:29]
	v_fmac_f64_e32 v[10:11], v[68:69], v[28:29]
	;; [unrolled: 1-line block ×8, first 2 shown]
	v_cvt_f64_f32_e32 v[28:29], v98
	v_fma_f64 v[58:59], -v[68:69], v[30:31], v[58:59]
	v_fmac_f64_e32 v[10:11], v[62:63], v[30:31]
	v_fma_f64 v[56:57], -v[76:77], v[30:31], v[56:57]
	v_fmac_f64_e32 v[14:15], v[72:73], v[30:31]
	v_fma_f64 v[52:53], -v[86:87], v[30:31], v[52:53]
	v_fmac_f64_e32 v[16:17], v[80:81], v[30:31]
	v_fma_f64 v[54:55], -v[92:93], v[30:31], v[54:55]
	v_fmac_f64_e32 v[18:19], v[88:89], v[30:31]
	s_wait_loadcnt 0x4
	v_cvt_f64_f32_e32 v[30:31], v112
	v_cvt_f64_f32_e32 v[62:63], v108
	;; [unrolled: 1-line block ×3, first 2 shown]
	s_wait_loadcnt 0x3
	v_cvt_f64_f32_e32 v[72:73], v116
	v_cvt_f64_f32_e32 v[76:77], v117
	s_wait_loadcnt 0x2
	v_cvt_f64_f32_e32 v[80:81], v120
	v_cvt_f64_f32_e32 v[84:85], v121
	v_fmac_f64_e32 v[58:59], v[28:29], v[32:33]
	v_fmac_f64_e32 v[10:11], v[60:61], v[32:33]
	;; [unrolled: 1-line block ×8, first 2 shown]
	v_cvt_f64_f32_e32 v[32:33], v113
	v_fma_f64 v[58:59], -v[60:61], v[34:35], v[58:59]
	v_fmac_f64_e32 v[10:11], v[28:29], v[34:35]
	v_fma_f64 v[28:29], -v[66:67], v[34:35], v[56:57]
	v_fmac_f64_e32 v[14:15], v[64:65], v[34:35]
	;; [unrolled: 2-line block ×4, first 2 shown]
	v_cvt_f64_f32_e32 v[34:35], v114
	v_cvt_f64_f32_e32 v[56:57], v110
	;; [unrolled: 1-line block ×7, first 2 shown]
	s_wait_loadcnt 0x1
	v_fmac_f64_e32 v[58:59], v[30:31], v[44:45]
	v_fmac_f64_e32 v[10:11], v[32:33], v[44:45]
	;; [unrolled: 1-line block ×8, first 2 shown]
	v_cvt_f64_f32_e32 v[44:45], v115
	v_fma_f64 v[32:33], -v[32:33], v[46:47], v[58:59]
	v_fmac_f64_e32 v[10:11], v[30:31], v[46:47]
	v_fma_f64 v[28:29], -v[68:69], v[46:47], v[28:29]
	v_fmac_f64_e32 v[14:15], v[62:63], v[46:47]
	;; [unrolled: 2-line block ×4, first 2 shown]
	s_wait_loadcnt 0x0
	v_fmac_f64_e32 v[32:33], v[34:35], v[48:49]
	v_fmac_f64_e32 v[10:11], v[44:45], v[48:49]
	;; [unrolled: 1-line block ×8, first 2 shown]
	v_fma_f64 v[30:31], -v[44:45], v[50:51], v[32:33]
	v_fmac_f64_e32 v[10:11], v[34:35], v[50:51]
	v_fma_f64 v[32:33], -v[60:61], v[50:51], v[28:29]
	v_fmac_f64_e32 v[14:15], v[56:57], v[50:51]
	;; [unrolled: 2-line block ×4, first 2 shown]
	s_and_not1_b32 exec_lo, exec_lo, s7
	s_cbranch_execnz .LBB177_21
; %bb.22:
	s_or_b32 exec_lo, exec_lo, s7
.LBB177_23:
	s_delay_alu instid0(SALU_CYCLE_1)
	s_or_b32 exec_lo, exec_lo, s6
.LBB177_24:
	s_delay_alu instid0(SALU_CYCLE_1)
	s_or_b32 exec_lo, exec_lo, s3
	s_cbranch_execz .LBB177_26
	s_branch .LBB177_37
.LBB177_25:
                                        ; implicit-def: $vgpr10_vgpr11
                                        ; implicit-def: $vgpr30_vgpr31
                                        ; implicit-def: $vgpr14_vgpr15
                                        ; implicit-def: $vgpr32_vgpr33
                                        ; implicit-def: $vgpr16_vgpr17
                                        ; implicit-def: $vgpr34_vgpr35
                                        ; implicit-def: $vgpr18_vgpr19
                                        ; implicit-def: $vgpr28_vgpr29
.LBB177_26:
	v_mov_b64_e32 v[10:11], 0
	v_mov_b64_e32 v[30:31], 0
	;; [unrolled: 1-line block ×8, first 2 shown]
	s_and_saveexec_b32 s3, s2
	s_cbranch_execz .LBB177_36
; %bb.27:
	v_dual_mov_b32 v11, v1 :: v_dual_bitop2_b32 v10, 16, v0 bitop3:0x54
	v_sub_nc_u64_e32 v[14:15], v[12:13], v[0:1]
	v_not_b32_e32 v17, v37
	v_not_b32_e32 v16, v36
	v_mov_b64_e32 v[28:29], 0
	v_sub_nc_u64_e32 v[10:11], v[10:11], v[12:13]
	v_mov_b64_e32 v[18:19], 0
	v_mov_b64_e32 v[34:35], 0
	v_add_nc_u64_e32 v[14:15], v[14:15], v[16:17]
	v_mov_b64_e32 v[16:17], 0
	v_mov_b64_e32 v[32:33], 0
	;; [unrolled: 1-line block ×3, first 2 shown]
	v_add_nc_u64_e32 v[10:11], v[10:11], v[36:37]
	s_mov_b32 s2, exec_lo
	s_delay_alu instid0(VALU_DEP_1) | instskip(NEXT) | instid1(VALU_DEP_1)
	v_max_i64 v[10:11], v[10:11], v[22:23]
	v_add_nc_u64_e32 v[36:37], v[14:15], v[10:11]
	v_mov_b64_e32 v[14:15], 0
	v_mov_b64_e32 v[10:11], 0
	s_delay_alu instid0(VALU_DEP_3) | instskip(NEXT) | instid1(VALU_DEP_1)
	v_dual_mov_b32 v39, 0 :: v_dual_bitop2_b32 v38, 48, v36 bitop3:0x40
	v_cmpx_ne_u64_e32 48, v[38:39]
	s_cbranch_execz .LBB177_31
; %bb.28:
	v_lshrrev_b32_e32 v1, 4, v36
	v_mov_b64_e32 v[10:11], 0
	v_mov_b64_e32 v[30:31], 0
	;; [unrolled: 1-line block ×4, first 2 shown]
	v_add_nc_u32_e32 v1, 1, v1
	v_mov_b64_e32 v[16:17], 0
	v_mov_b64_e32 v[34:35], 0
	;; [unrolled: 1-line block ×4, first 2 shown]
	v_and_b32_e32 v38, 3, v1
	v_lshl_add_u64 v[40:41], v[20:21], 3, s[8:9]
	s_mov_b32 s6, 0
	s_delay_alu instid0(VALU_DEP_2)
	v_sub_nc_u64_e32 v[38:39], 0, v[38:39]
.LBB177_29:                             ; =>This Inner Loop Header: Depth=1
	global_load_b64 v[50:51], v[40:41], off
	s_clause 0x1
	global_load_b128 v[42:45], v[24:25], off
	global_load_b128 v[46:49], v[24:25], off offset:16
	v_add_nc_u64_e32 v[38:39], 1, v[38:39]
	v_add_nc_u64_e32 v[20:21], 16, v[20:21]
	s_wait_xcnt 0x2
	v_add_nc_u64_e32 v[40:41], 0x80, v[40:41]
	s_delay_alu instid0(VALU_DEP_3)
	v_cmp_eq_u64_e32 vcc_lo, 0, v[38:39]
	s_or_b32 s6, vcc_lo, s6
	s_wait_loadcnt 0x2
	v_sub_nc_u64_e32 v[50:51], v[50:51], v[12:13]
	s_wait_loadcnt 0x1
	v_cvt_f64_f32_e32 v[92:93], v44
	v_cvt_f64_f32_e32 v[44:45], v45
	s_wait_loadcnt 0x0
	v_cvt_f64_f32_e32 v[94:95], v46
	v_cvt_f64_f32_e32 v[46:47], v47
	;; [unrolled: 1-line block ×4, first 2 shown]
	v_lshlrev_b64_e32 v[50:51], 6, v[50:51]
	s_wait_kmcnt 0x0
	s_delay_alu instid0(VALU_DEP_1)
	v_add_nc_u64_e32 v[90:91], s[4:5], v[50:51]
	global_load_b128 v[50:53], v[90:91], off
	s_clause 0x1
	global_load_b128 v[54:57], v[24:25], off offset:32
	global_load_b128 v[58:61], v[24:25], off offset:48
	global_load_b128 v[62:65], v[90:91], off offset:16
	s_clause 0x1
	global_load_b128 v[66:69], v[24:25], off offset:64
	global_load_b128 v[70:73], v[24:25], off offset:80
	global_load_b128 v[74:77], v[90:91], off offset:32
	;; [unrolled: 4-line block ×3, first 2 shown]
	s_wait_xcnt 0x0
	v_cvt_f64_f32_e32 v[90:91], v42
	v_cvt_f64_f32_e32 v[42:43], v43
	v_add_nc_u64_e32 v[24:25], 0x800, v[24:25]
	s_wait_loadcnt 0x9
	s_delay_alu instid0(VALU_DEP_3) | instskip(NEXT) | instid1(VALU_DEP_3)
	v_fmac_f64_e32 v[30:31], v[90:91], v[50:51]
	v_fmac_f64_e32 v[10:11], v[42:43], v[50:51]
	;; [unrolled: 1-line block ×8, first 2 shown]
	s_wait_loadcnt 0x8
	v_cvt_f64_f32_e32 v[50:51], v54
	v_cvt_f64_f32_e32 v[54:55], v55
	;; [unrolled: 1-line block ×4, first 2 shown]
	s_wait_loadcnt 0x7
	v_cvt_f64_f32_e32 v[100:101], v58
	v_cvt_f64_f32_e32 v[58:59], v59
	;; [unrolled: 1-line block ×4, first 2 shown]
	v_fma_f64 v[30:31], -v[42:43], v[52:53], v[30:31]
	v_fmac_f64_e32 v[10:11], v[90:91], v[52:53]
	v_fma_f64 v[32:33], -v[44:45], v[52:53], v[32:33]
	v_fmac_f64_e32 v[14:15], v[92:93], v[52:53]
	;; [unrolled: 2-line block ×4, first 2 shown]
	s_wait_loadcnt 0x5
	v_cvt_f64_f32_e32 v[42:43], v66
	v_cvt_f64_f32_e32 v[44:45], v67
	;; [unrolled: 1-line block ×4, first 2 shown]
	s_wait_loadcnt 0x4
	v_cvt_f64_f32_e32 v[52:53], v70
	v_cvt_f64_f32_e32 v[66:67], v72
	;; [unrolled: 1-line block ×3, first 2 shown]
	s_wait_loadcnt 0x1
	v_cvt_f64_f32_e32 v[72:73], v85
	v_fmac_f64_e32 v[30:31], v[50:51], v[62:63]
	v_fmac_f64_e32 v[10:11], v[54:55], v[62:63]
	v_fmac_f64_e32 v[32:33], v[98:99], v[62:63]
	v_fmac_f64_e32 v[14:15], v[56:57], v[62:63]
	v_fmac_f64_e32 v[34:35], v[100:101], v[62:63]
	v_fmac_f64_e32 v[16:17], v[58:59], v[62:63]
	v_fmac_f64_e32 v[28:29], v[102:103], v[62:63]
	v_fmac_f64_e32 v[18:19], v[60:61], v[62:63]
	v_cvt_f64_f32_e32 v[62:63], v71
	v_cvt_f64_f32_e32 v[70:71], v84
	v_fma_f64 v[30:31], -v[54:55], v[64:65], v[30:31]
	v_fmac_f64_e32 v[10:11], v[50:51], v[64:65]
	v_fma_f64 v[32:33], -v[56:57], v[64:65], v[32:33]
	v_fmac_f64_e32 v[14:15], v[98:99], v[64:65]
	;; [unrolled: 2-line block ×4, first 2 shown]
	v_cvt_f64_f32_e32 v[50:51], v78
	v_cvt_f64_f32_e32 v[54:55], v79
	;; [unrolled: 1-line block ×6, first 2 shown]
	v_fmac_f64_e32 v[30:31], v[42:43], v[74:75]
	v_fmac_f64_e32 v[10:11], v[44:45], v[74:75]
	v_fmac_f64_e32 v[32:33], v[46:47], v[74:75]
	v_fmac_f64_e32 v[14:15], v[48:49], v[74:75]
	v_fmac_f64_e32 v[34:35], v[52:53], v[74:75]
	v_fmac_f64_e32 v[16:17], v[62:63], v[74:75]
	v_fmac_f64_e32 v[28:29], v[66:67], v[74:75]
	v_fmac_f64_e32 v[18:19], v[68:69], v[74:75]
	v_fma_f64 v[30:31], -v[44:45], v[76:77], v[30:31]
	v_fmac_f64_e32 v[10:11], v[42:43], v[76:77]
	v_fma_f64 v[32:33], -v[48:49], v[76:77], v[32:33]
	v_fmac_f64_e32 v[14:15], v[46:47], v[76:77]
	;; [unrolled: 2-line block ×4, first 2 shown]
	s_wait_loadcnt 0x0
	v_fmac_f64_e32 v[30:31], v[50:51], v[86:87]
	v_fmac_f64_e32 v[10:11], v[54:55], v[86:87]
	;; [unrolled: 1-line block ×8, first 2 shown]
	v_fma_f64 v[30:31], -v[54:55], v[88:89], v[30:31]
	v_fmac_f64_e32 v[10:11], v[50:51], v[88:89]
	v_fma_f64 v[32:33], -v[58:59], v[88:89], v[32:33]
	v_fmac_f64_e32 v[14:15], v[56:57], v[88:89]
	;; [unrolled: 2-line block ×4, first 2 shown]
	s_and_not1_b32 exec_lo, exec_lo, s6
	s_cbranch_execnz .LBB177_29
; %bb.30:
	s_or_b32 exec_lo, exec_lo, s6
.LBB177_31:
	s_delay_alu instid0(SALU_CYCLE_1) | instskip(NEXT) | instid1(SALU_CYCLE_1)
	s_or_b32 exec_lo, exec_lo, s2
	s_mov_b32 s2, exec_lo
	v_cmpx_lt_u64_e32 47, v[36:37]
	s_cbranch_execz .LBB177_35
; %bb.32:
	v_lshl_add_u64 v[36:37], v[20:21], 3, s[8:9]
	s_mov_b32 s6, 0
	s_delay_alu instid0(VALU_DEP_1)
	v_add_nc_u64_e32 v[36:37], 0x100, v[36:37]
.LBB177_33:                             ; =>This Inner Loop Header: Depth=1
	s_clause 0x1
	global_load_b64 v[46:47], v[36:37], off offset:-256
	global_load_b64 v[94:95], v[36:37], off offset:-128
	s_clause 0x1
	global_load_b128 v[38:41], v[24:25], off
	global_load_b128 v[42:45], v[24:25], off offset:16
	s_clause 0x1
	global_load_b64 v[110:111], v[36:37], off
	global_load_b64 v[112:113], v[36:37], off offset:128
	v_add_nc_u64_e32 v[20:21], 64, v[20:21]
	s_wait_xcnt 0x0
	v_add_nc_u64_e32 v[36:37], 0x200, v[36:37]
	s_delay_alu instid0(VALU_DEP_2)
	v_cmp_ge_i64_e32 vcc_lo, v[20:21], v[22:23]
	s_or_b32 s6, vcc_lo, s6
	s_wait_loadcnt 0x5
	v_sub_nc_u64_e32 v[46:47], v[46:47], v[12:13]
	s_wait_loadcnt 0x4
	v_sub_nc_u64_e32 v[94:95], v[94:95], v[12:13]
	s_wait_loadcnt 0x3
	v_cvt_f64_f32_e32 v[116:117], v38
	v_cvt_f64_f32_e32 v[118:119], v39
	;; [unrolled: 1-line block ×4, first 2 shown]
	s_wait_loadcnt 0x2
	v_cvt_f64_f32_e32 v[124:125], v42
	v_lshlrev_b64_e32 v[46:47], 6, v[46:47]
	v_lshlrev_b64_e32 v[94:95], 6, v[94:95]
	v_cvt_f64_f32_e32 v[126:127], v43
	v_cvt_f64_f32_e32 v[128:129], v44
	v_cvt_f64_f32_e32 v[130:131], v45
	s_wait_kmcnt 0x0
	v_add_nc_u64_e32 v[96:97], s[4:5], v[46:47]
	v_add_nc_u64_e32 v[114:115], s[4:5], v[94:95]
	global_load_b128 v[46:49], v[96:97], off
	s_clause 0x1
	global_load_b128 v[50:53], v[24:25], off offset:32
	global_load_b128 v[54:57], v[24:25], off offset:48
	global_load_b128 v[58:61], v[96:97], off offset:16
	s_clause 0x1
	global_load_b128 v[62:65], v[24:25], off offset:64
	global_load_b128 v[66:69], v[24:25], off offset:80
	global_load_b128 v[70:73], v[96:97], off offset:32
	;; [unrolled: 4-line block ×3, first 2 shown]
	s_clause 0x1
	global_load_b128 v[86:89], v[24:25], off offset:2048
	global_load_b128 v[90:93], v[24:25], off offset:2064
	global_load_b128 v[94:97], v[114:115], off
	s_clause 0x1
	global_load_b128 v[98:101], v[24:25], off offset:2080
	global_load_b128 v[102:105], v[24:25], off offset:2096
	;; [unrolled: 1-line block ×3, first 2 shown]
	s_clause 0x1
	global_load_b128 v[42:45], v[24:25], off offset:2112
	global_load_b128 v[106:109], v[24:25], off offset:2128
	s_wait_loadcnt 0x11
	v_fmac_f64_e32 v[30:31], v[116:117], v[46:47]
	v_fmac_f64_e32 v[10:11], v[118:119], v[46:47]
	;; [unrolled: 1-line block ×8, first 2 shown]
	s_wait_loadcnt 0x10
	v_cvt_f64_f32_e32 v[132:133], v50
	v_cvt_f64_f32_e32 v[50:51], v51
	;; [unrolled: 1-line block ×4, first 2 shown]
	s_wait_loadcnt 0xf
	v_cvt_f64_f32_e32 v[136:137], v54
	v_cvt_f64_f32_e32 v[54:55], v55
	;; [unrolled: 1-line block ×4, first 2 shown]
	s_wait_loadcnt 0x0
	v_cvt_f64_f32_e32 v[140:141], v108
	v_cvt_f64_f32_e32 v[108:109], v109
	v_fma_f64 v[118:119], -v[118:119], v[48:49], v[30:31]
	v_fmac_f64_e32 v[10:11], v[116:117], v[48:49]
	v_fma_f64 v[116:117], -v[122:123], v[48:49], v[32:33]
	v_fmac_f64_e32 v[14:15], v[120:121], v[48:49]
	;; [unrolled: 2-line block ×4, first 2 shown]
	global_load_b128 v[28:31], v[114:115], off offset:32
	s_clause 0x1
	global_load_b128 v[32:35], v[24:25], off offset:2144
	global_load_b128 v[46:49], v[24:25], off offset:2160
	v_cvt_f64_f32_e32 v[124:125], v62
	v_cvt_f64_f32_e32 v[62:63], v63
	;; [unrolled: 1-line block ×8, first 2 shown]
	v_fmac_f64_e32 v[118:119], v[132:133], v[58:59]
	v_fmac_f64_e32 v[10:11], v[50:51], v[58:59]
	;; [unrolled: 1-line block ×8, first 2 shown]
	v_fma_f64 v[118:119], -v[50:51], v[60:61], v[118:119]
	v_fmac_f64_e32 v[10:11], v[132:133], v[60:61]
	v_fma_f64 v[116:117], -v[52:53], v[60:61], v[116:117]
	v_fmac_f64_e32 v[14:15], v[134:135], v[60:61]
	;; [unrolled: 2-line block ×4, first 2 shown]
	global_load_b128 v[50:53], v[114:115], off offset:48
	s_clause 0x1
	global_load_b128 v[54:57], v[24:25], off offset:4096
	global_load_b128 v[58:61], v[24:25], off offset:4112
	s_wait_xcnt 0x2
	v_cvt_f64_f32_e32 v[114:115], v74
	v_cvt_f64_f32_e32 v[74:75], v75
	;; [unrolled: 1-line block ×10, first 2 shown]
	v_fmac_f64_e32 v[118:119], v[124:125], v[70:71]
	v_fmac_f64_e32 v[10:11], v[62:63], v[70:71]
	;; [unrolled: 1-line block ×8, first 2 shown]
	v_fma_f64 v[118:119], -v[62:63], v[72:73], v[118:119]
	v_fmac_f64_e32 v[10:11], v[124:125], v[72:73]
	v_fma_f64 v[116:117], -v[64:65], v[72:73], v[116:117]
	v_fmac_f64_e32 v[14:15], v[126:127], v[72:73]
	;; [unrolled: 2-line block ×4, first 2 shown]
	v_sub_nc_u64_e32 v[62:63], v[110:111], v[12:13]
	v_cvt_f64_f32_e32 v[124:125], v86
	v_cvt_f64_f32_e32 v[86:87], v87
	;; [unrolled: 1-line block ×6, first 2 shown]
	v_lshlrev_b64_e32 v[62:63], 6, v[62:63]
	v_cvt_f64_f32_e32 v[130:131], v92
	v_cvt_f64_f32_e32 v[92:93], v93
	s_delay_alu instid0(VALU_DEP_3)
	v_add_nc_u64_e32 v[110:111], s[4:5], v[62:63]
	global_load_b128 v[62:65], v[110:111], off
	s_clause 0x1
	global_load_b128 v[66:69], v[24:25], off offset:4128
	global_load_b128 v[70:73], v[24:25], off offset:4144
	v_fmac_f64_e32 v[118:119], v[114:115], v[82:83]
	v_fmac_f64_e32 v[10:11], v[74:75], v[82:83]
	v_fmac_f64_e32 v[116:117], v[132:133], v[82:83]
	v_fmac_f64_e32 v[14:15], v[76:77], v[82:83]
	v_fmac_f64_e32 v[120:121], v[134:135], v[82:83]
	v_fmac_f64_e32 v[16:17], v[78:79], v[82:83]
	v_fmac_f64_e32 v[122:123], v[136:137], v[82:83]
	v_fmac_f64_e32 v[18:19], v[80:81], v[82:83]
	v_fma_f64 v[118:119], -v[74:75], v[84:85], v[118:119]
	v_fmac_f64_e32 v[10:11], v[114:115], v[84:85]
	v_fma_f64 v[114:115], -v[76:77], v[84:85], v[116:117]
	v_fmac_f64_e32 v[14:15], v[132:133], v[84:85]
	;; [unrolled: 2-line block ×4, first 2 shown]
	global_load_b128 v[74:77], v[110:111], off offset:16
	s_clause 0x1
	global_load_b128 v[78:81], v[24:25], off offset:4160
	global_load_b128 v[82:85], v[24:25], off offset:4176
	v_cvt_f64_f32_e32 v[122:123], v98
	v_cvt_f64_f32_e32 v[98:99], v99
	;; [unrolled: 1-line block ×8, first 2 shown]
	v_fmac_f64_e32 v[118:119], v[124:125], v[94:95]
	v_fmac_f64_e32 v[10:11], v[86:87], v[94:95]
	;; [unrolled: 1-line block ×8, first 2 shown]
	v_fma_f64 v[118:119], -v[86:87], v[96:97], v[118:119]
	v_fmac_f64_e32 v[10:11], v[124:125], v[96:97]
	v_fma_f64 v[114:115], -v[88:89], v[96:97], v[114:115]
	v_fmac_f64_e32 v[14:15], v[126:127], v[96:97]
	;; [unrolled: 2-line block ×4, first 2 shown]
	global_load_b128 v[86:89], v[110:111], off offset:32
	s_clause 0x1
	global_load_b128 v[90:93], v[24:25], off offset:4208
	global_load_b128 v[94:97], v[24:25], off offset:4192
	v_cvt_f64_f32_e32 v[124:125], v42
	v_cvt_f64_f32_e32 v[126:127], v43
	;; [unrolled: 1-line block ×4, first 2 shown]
	v_fmac_f64_e32 v[118:119], v[122:123], v[38:39]
	v_fmac_f64_e32 v[10:11], v[98:99], v[38:39]
	;; [unrolled: 1-line block ×8, first 2 shown]
	v_fma_f64 v[118:119], -v[98:99], v[40:41], v[118:119]
	v_fmac_f64_e32 v[10:11], v[122:123], v[40:41]
	v_fma_f64 v[114:115], -v[100:101], v[40:41], v[114:115]
	v_fmac_f64_e32 v[14:15], v[132:133], v[40:41]
	;; [unrolled: 2-line block ×4, first 2 shown]
	global_load_b128 v[38:41], v[110:111], off offset:48
	s_clause 0x1
	global_load_b128 v[42:45], v[24:25], off offset:6160
	global_load_b128 v[98:101], v[24:25], off offset:6144
	s_wait_loadcnt 0x10
	s_wait_xcnt 0x2
	v_cvt_f64_f32_e32 v[110:111], v32
	v_cvt_f64_f32_e32 v[116:117], v33
	v_cvt_f64_f32_e32 v[120:121], v34
	v_cvt_f64_f32_e32 v[122:123], v35
	s_wait_loadcnt 0xf
	v_cvt_f64_f32_e32 v[132:133], v46
	v_cvt_f64_f32_e32 v[134:135], v47
	;; [unrolled: 1-line block ×4, first 2 shown]
	v_fmac_f64_e32 v[118:119], v[124:125], v[28:29]
	v_fmac_f64_e32 v[10:11], v[126:127], v[28:29]
	;; [unrolled: 1-line block ×8, first 2 shown]
	v_sub_nc_u64_e32 v[28:29], v[112:113], v[12:13]
	s_delay_alu instid0(VALU_DEP_1) | instskip(NEXT) | instid1(VALU_DEP_1)
	v_lshlrev_b64_e32 v[28:29], 6, v[28:29]
	v_add_nc_u64_e32 v[112:113], s[4:5], v[28:29]
	v_fma_f64 v[118:119], -v[126:127], v[30:31], v[118:119]
	v_fmac_f64_e32 v[10:11], v[124:125], v[30:31]
	v_fma_f64 v[114:115], -v[130:131], v[30:31], v[114:115]
	v_fmac_f64_e32 v[14:15], v[128:129], v[30:31]
	;; [unrolled: 2-line block ×4, first 2 shown]
	s_clause 0x1
	global_load_b128 v[28:31], v[112:113], off offset:16
	global_load_b128 v[32:35], v[112:113], off
	s_clause 0x1
	global_load_b128 v[46:49], v[24:25], off offset:6192
	global_load_b128 v[102:105], v[24:25], off offset:6176
	s_wait_loadcnt 0x11
	v_cvt_f64_f32_e32 v[124:125], v54
	v_cvt_f64_f32_e32 v[126:127], v55
	v_cvt_f64_f32_e32 v[128:129], v56
	v_cvt_f64_f32_e32 v[130:131], v57
	s_wait_loadcnt 0x10
	v_cvt_f64_f32_e32 v[138:139], v58
	v_cvt_f64_f32_e32 v[58:59], v59
	;; [unrolled: 1-line block ×4, first 2 shown]
	v_fmac_f64_e32 v[118:119], v[110:111], v[50:51]
	v_fmac_f64_e32 v[10:11], v[116:117], v[50:51]
	;; [unrolled: 1-line block ×8, first 2 shown]
	v_fma_f64 v[116:117], -v[116:117], v[52:53], v[118:119]
	v_fmac_f64_e32 v[10:11], v[110:111], v[52:53]
	v_fma_f64 v[110:111], -v[122:123], v[52:53], v[114:115]
	v_fmac_f64_e32 v[14:15], v[120:121], v[52:53]
	v_fma_f64 v[106:107], -v[134:135], v[52:53], v[106:107]
	v_fmac_f64_e32 v[16:17], v[132:133], v[52:53]
	v_fma_f64 v[108:109], -v[142:143], v[52:53], v[108:109]
	v_fmac_f64_e32 v[18:19], v[136:137], v[52:53]
	s_clause 0x1
	global_load_b128 v[50:53], v[24:25], off offset:6224
	global_load_b128 v[54:57], v[24:25], off offset:6208
	s_wait_loadcnt 0x10
	v_cvt_f64_f32_e32 v[114:115], v66
	v_cvt_f64_f32_e32 v[118:119], v67
	;; [unrolled: 1-line block ×3, first 2 shown]
	v_fmac_f64_e32 v[116:117], v[124:125], v[62:63]
	v_fmac_f64_e32 v[10:11], v[126:127], v[62:63]
	;; [unrolled: 1-line block ×8, first 2 shown]
	v_cvt_f64_f32_e32 v[122:123], v69
	s_wait_loadcnt 0xf
	v_cvt_f64_f32_e32 v[132:133], v70
	v_cvt_f64_f32_e32 v[134:135], v71
	;; [unrolled: 1-line block ×4, first 2 shown]
	v_fma_f64 v[116:117], -v[126:127], v[64:65], v[116:117]
	v_fmac_f64_e32 v[10:11], v[124:125], v[64:65]
	v_fma_f64 v[110:111], -v[130:131], v[64:65], v[110:111]
	v_fmac_f64_e32 v[14:15], v[128:129], v[64:65]
	;; [unrolled: 2-line block ×4, first 2 shown]
	s_clause 0x1
	global_load_b128 v[58:61], v[112:113], off offset:48
	global_load_b128 v[62:65], v[112:113], off offset:32
	s_clause 0x1
	global_load_b128 v[66:69], v[24:25], off offset:6240
	global_load_b128 v[70:73], v[24:25], off offset:6256
	s_wait_loadcnt 0x11
	s_wait_xcnt 0x2
	v_cvt_f64_f32_e32 v[112:113], v80
	v_cvt_f64_f32_e32 v[80:81], v81
	s_wait_loadcnt 0x10
	v_cvt_f64_f32_e32 v[124:125], v82
	v_cvt_f64_f32_e32 v[82:83], v83
	;; [unrolled: 1-line block ×4, first 2 shown]
	s_wait_xcnt 0x0
	v_add_nc_u64_e32 v[24:25], 0x2000, v[24:25]
	v_fmac_f64_e32 v[116:117], v[114:115], v[74:75]
	v_fmac_f64_e32 v[10:11], v[118:119], v[74:75]
	;; [unrolled: 1-line block ×8, first 2 shown]
	v_cvt_f64_f32_e32 v[74:75], v78
	v_cvt_f64_f32_e32 v[78:79], v79
	v_fma_f64 v[116:117], -v[118:119], v[76:77], v[116:117]
	v_fmac_f64_e32 v[10:11], v[114:115], v[76:77]
	v_fma_f64 v[110:111], -v[122:123], v[76:77], v[110:111]
	v_fmac_f64_e32 v[14:15], v[120:121], v[76:77]
	;; [unrolled: 2-line block ×4, first 2 shown]
	s_wait_loadcnt 0xe
	v_cvt_f64_f32_e32 v[114:115], v90
	s_wait_loadcnt 0xd
	v_cvt_f64_f32_e32 v[76:77], v94
	v_cvt_f64_f32_e32 v[90:91], v91
	;; [unrolled: 1-line block ×4, first 2 shown]
	v_fmac_f64_e32 v[116:117], v[74:75], v[86:87]
	v_fmac_f64_e32 v[10:11], v[78:79], v[86:87]
	;; [unrolled: 1-line block ×8, first 2 shown]
	v_cvt_f64_f32_e32 v[86:87], v95
	v_cvt_f64_f32_e32 v[94:95], v96
	;; [unrolled: 1-line block ×3, first 2 shown]
	v_fma_f64 v[78:79], -v[78:79], v[88:89], v[116:117]
	v_fmac_f64_e32 v[10:11], v[74:75], v[88:89]
	v_fma_f64 v[74:75], -v[80:81], v[88:89], v[110:111]
	v_fmac_f64_e32 v[14:15], v[112:113], v[88:89]
	;; [unrolled: 2-line block ×4, first 2 shown]
	s_wait_loadcnt 0xb
	v_cvt_f64_f32_e32 v[106:107], v44
	s_wait_loadcnt 0xa
	v_cvt_f64_f32_e32 v[84:85], v99
	v_cvt_f64_f32_e32 v[88:89], v100
	;; [unrolled: 1-line block ×3, first 2 shown]
	v_fmac_f64_e32 v[78:79], v[76:77], v[38:39]
	v_fmac_f64_e32 v[10:11], v[86:87], v[38:39]
	;; [unrolled: 1-line block ×8, first 2 shown]
	v_cvt_f64_f32_e32 v[38:39], v98
	v_cvt_f64_f32_e32 v[98:99], v101
	;; [unrolled: 1-line block ×4, first 2 shown]
	v_fma_f64 v[78:79], -v[86:87], v[40:41], v[78:79]
	v_fmac_f64_e32 v[10:11], v[76:77], v[40:41]
	v_fma_f64 v[74:75], -v[96:97], v[40:41], v[74:75]
	v_fmac_f64_e32 v[14:15], v[94:95], v[40:41]
	;; [unrolled: 2-line block ×4, first 2 shown]
	s_wait_loadcnt 0x7
	v_cvt_f64_f32_e32 v[90:91], v46
	s_wait_loadcnt 0x6
	v_cvt_f64_f32_e32 v[40:41], v103
	v_cvt_f64_f32_e32 v[82:83], v104
	;; [unrolled: 1-line block ×6, first 2 shown]
	v_fmac_f64_e32 v[78:79], v[38:39], v[32:33]
	v_fmac_f64_e32 v[10:11], v[84:85], v[32:33]
	;; [unrolled: 1-line block ×8, first 2 shown]
	v_cvt_f64_f32_e32 v[32:33], v102
	v_fma_f64 v[78:79], -v[84:85], v[34:35], v[78:79]
	v_fmac_f64_e32 v[10:11], v[38:39], v[34:35]
	v_fma_f64 v[38:39], -v[98:99], v[34:35], v[74:75]
	v_fmac_f64_e32 v[14:15], v[88:89], v[34:35]
	;; [unrolled: 2-line block ×4, first 2 shown]
	s_wait_loadcnt 0x4
	v_cvt_f64_f32_e32 v[34:35], v55
	v_cvt_f64_f32_e32 v[74:75], v50
	;; [unrolled: 1-line block ×5, first 2 shown]
	v_fmac_f64_e32 v[78:79], v[32:33], v[28:29]
	v_fmac_f64_e32 v[10:11], v[40:41], v[28:29]
	;; [unrolled: 1-line block ×8, first 2 shown]
	v_cvt_f64_f32_e32 v[28:29], v54
	v_cvt_f64_f32_e32 v[54:55], v56
	;; [unrolled: 1-line block ×3, first 2 shown]
	v_fma_f64 v[40:41], -v[40:41], v[30:31], v[78:79]
	v_fmac_f64_e32 v[10:11], v[32:33], v[30:31]
	v_fma_f64 v[32:33], -v[86:87], v[30:31], v[38:39]
	v_fmac_f64_e32 v[14:15], v[82:83], v[30:31]
	;; [unrolled: 2-line block ×4, first 2 shown]
	s_wait_loadcnt 0x1
	v_cvt_f64_f32_e32 v[44:45], v66
	v_cvt_f64_f32_e32 v[30:31], v67
	;; [unrolled: 1-line block ×4, first 2 shown]
	s_wait_loadcnt 0x0
	v_cvt_f64_f32_e32 v[66:67], v71
	v_cvt_f64_f32_e32 v[68:69], v72
	v_fmac_f64_e32 v[40:41], v[28:29], v[62:63]
	v_fmac_f64_e32 v[10:11], v[34:35], v[62:63]
	;; [unrolled: 1-line block ×8, first 2 shown]
	v_cvt_f64_f32_e32 v[62:63], v70
	v_cvt_f64_f32_e32 v[70:71], v73
	v_fma_f64 v[34:35], -v[34:35], v[64:65], v[40:41]
	v_fmac_f64_e32 v[10:11], v[28:29], v[64:65]
	v_fma_f64 v[28:29], -v[56:57], v[64:65], v[32:33]
	v_fmac_f64_e32 v[14:15], v[54:55], v[64:65]
	;; [unrolled: 2-line block ×4, first 2 shown]
	v_fmac_f64_e32 v[34:35], v[44:45], v[58:59]
	v_fmac_f64_e32 v[10:11], v[30:31], v[58:59]
	;; [unrolled: 1-line block ×8, first 2 shown]
	v_fma_f64 v[30:31], -v[30:31], v[60:61], v[34:35]
	v_fmac_f64_e32 v[10:11], v[44:45], v[60:61]
	v_fma_f64 v[32:33], -v[48:49], v[60:61], v[28:29]
	v_fmac_f64_e32 v[14:15], v[46:47], v[60:61]
	;; [unrolled: 2-line block ×4, first 2 shown]
	s_and_not1_b32 exec_lo, exec_lo, s6
	s_cbranch_execnz .LBB177_33
; %bb.34:
	s_or_b32 exec_lo, exec_lo, s6
.LBB177_35:
	s_delay_alu instid0(SALU_CYCLE_1)
	s_or_b32 exec_lo, exec_lo, s2
.LBB177_36:
	s_delay_alu instid0(SALU_CYCLE_1)
	s_or_b32 exec_lo, exec_lo, s3
.LBB177_37:
	v_mbcnt_lo_u32_b32 v1, -1, 0
	s_delay_alu instid0(VALU_DEP_1) | instskip(NEXT) | instid1(VALU_DEP_1)
	v_xor_b32_e32 v12, 8, v1
	v_cmp_gt_i32_e32 vcc_lo, 32, v12
	v_cndmask_b32_e32 v12, v1, v12, vcc_lo
	s_delay_alu instid0(VALU_DEP_1)
	v_lshlrev_b32_e32 v43, 2, v12
	ds_bpermute_b32 v38, v43, v16
	ds_bpermute_b32 v39, v43, v17
	s_wait_dscnt 0x0
	v_add_f64_e32 v[16:17], v[16:17], v[38:39]
	ds_bpermute_b32 v12, v43, v30
	ds_bpermute_b32 v13, v43, v31
	;; [unrolled: 1-line block ×14, first 2 shown]
	s_wait_dscnt 0xc
	v_add_f64_e32 v[12:13], v[30:31], v[12:13]
	s_wait_dscnt 0xa
	v_add_f64_e32 v[10:11], v[10:11], v[20:21]
	;; [unrolled: 2-line block ×4, first 2 shown]
	s_wait_dscnt 0x4
	v_dual_add_f64 v[20:21], v[32:33], v[22:23] :: v_dual_bitop2_b32 v28, 4, v1 bitop3:0x14
	s_wait_dscnt 0x2
	v_add_f64_e32 v[22:23], v[34:35], v[36:37]
	s_delay_alu instid0(VALU_DEP_2) | instskip(SKIP_2) | instid1(VALU_DEP_1)
	v_cmp_gt_i32_e32 vcc_lo, 32, v28
	s_wait_dscnt 0x0
	v_dual_add_f64 v[18:19], v[18:19], v[42:43] :: v_dual_cndmask_b32 v28, v1, v28, vcc_lo
	v_lshlrev_b32_e32 v43, 2, v28
	ds_bpermute_b32 v28, v43, v12
	ds_bpermute_b32 v29, v43, v13
	;; [unrolled: 1-line block ×4, first 2 shown]
	s_wait_dscnt 0x2
	v_add_f64_e32 v[12:13], v[12:13], v[28:29]
	s_wait_dscnt 0x0
	v_add_f64_e32 v[28:29], v[10:11], v[30:31]
	ds_bpermute_b32 v38, v43, v16
	ds_bpermute_b32 v39, v43, v17
	;; [unrolled: 1-line block ×9, first 2 shown]
	v_xor_b32_e32 v10, 2, v1
	s_delay_alu instid0(VALU_DEP_1) | instskip(SKIP_4) | instid1(VALU_DEP_2)
	v_cmp_gt_i32_e32 vcc_lo, 32, v10
	v_cndmask_b32_e32 v10, v1, v10, vcc_lo
	s_wait_dscnt 0x7
	v_add_f64_e32 v[16:17], v[16:17], v[38:39]
	s_wait_dscnt 0x5
	v_dual_add_f64 v[22:23], v[22:23], v[36:37] :: v_dual_lshlrev_b32 v30, 2, v10
	ds_bpermute_b32 v34, v43, v14
	ds_bpermute_b32 v35, v43, v15
	;; [unrolled: 1-line block ×3, first 2 shown]
	s_wait_dscnt 0x6
	v_add_f64_e32 v[20:21], v[20:21], v[32:33]
	s_wait_dscnt 0x4
	v_add_f64_e32 v[32:33], v[24:25], v[40:41]
	ds_bpermute_b32 v10, v30, v12
	ds_bpermute_b32 v11, v30, v13
	;; [unrolled: 1-line block ×4, first 2 shown]
	s_wait_dscnt 0x5
	v_add_f64_e32 v[14:15], v[14:15], v[34:35]
	s_wait_dscnt 0x4
	v_add_f64_e32 v[18:19], v[18:19], v[42:43]
	;; [unrolled: 2-line block ×3, first 2 shown]
	ds_bpermute_b32 v40, v30, v16
	ds_bpermute_b32 v41, v30, v17
	;; [unrolled: 1-line block ×12, first 2 shown]
	s_wait_dscnt 0xc
	v_add_f64_e32 v[30:31], v[28:29], v[24:25]
	s_wait_dscnt 0x2
	v_add_f64_e32 v[24:25], v[14:15], v[36:37]
	v_dual_add_f64 v[14:15], v[22:23], v[38:39] :: v_dual_bitop2_b32 v22, 1, v1 bitop3:0x14
	s_wait_dscnt 0x0
	v_add_f64_e32 v[18:19], v[18:19], v[44:45]
	s_delay_alu instid0(VALU_DEP_2)
	v_cmp_gt_i32_e32 vcc_lo, 32, v22
	v_cndmask_b32_e32 v1, v1, v22, vcc_lo
	v_add_f64_e32 v[12:13], v[20:21], v[34:35]
	v_add_f64_e32 v[20:21], v[16:17], v[40:41]
	;; [unrolled: 1-line block ×3, first 2 shown]
	v_cmp_eq_u32_e32 vcc_lo, 15, v0
	v_lshlrev_b32_e32 v1, 2, v1
	ds_bpermute_b32 v22, v1, v10
	ds_bpermute_b32 v23, v1, v11
	;; [unrolled: 1-line block ×16, first 2 shown]
	s_and_b32 exec_lo, exec_lo, vcc_lo
	s_cbranch_execz .LBB177_8
; %bb.38:
	s_wait_dscnt 0xc
	v_add_f64_e32 v[0:1], v[30:31], v[42:43]
	s_wait_dscnt 0xa
	v_add_f64_e32 v[30:31], v[24:25], v[40:41]
	;; [unrolled: 2-line block ×3, first 2 shown]
	v_add_f64_e32 v[36:37], v[18:19], v[36:37]
	v_add_f64_e32 v[40:41], v[10:11], v[22:23]
	;; [unrolled: 1-line block ×4, first 2 shown]
	s_wait_dscnt 0x0
	v_add_f64_e32 v[34:35], v[16:17], v[34:35]
	v_cmp_eq_f64_e32 vcc_lo, 0, v[2:3]
	v_cmp_eq_f64_e64 s2, 0, v[4:5]
	s_load_b64 s[0:1], s[0:1], 0x68
	v_mul_f64_e64 v[22:23], v[0:1], -v[8:9]
	v_mul_f64_e32 v[24:25], v[6:7], v[0:1]
	v_mul_f64_e64 v[18:19], v[30:31], -v[8:9]
	v_mul_f64_e32 v[20:21], v[6:7], v[30:31]
	;; [unrolled: 2-line block ×4, first 2 shown]
	v_lshlrev_b64_e32 v[0:1], 6, v[26:27]
	s_and_b32 s2, vcc_lo, s2
	v_fmac_f64_e32 v[22:23], v[6:7], v[40:41]
	v_fmac_f64_e32 v[24:25], v[8:9], v[40:41]
	;; [unrolled: 1-line block ×8, first 2 shown]
	s_and_saveexec_b32 s3, s2
	s_delay_alu instid0(SALU_CYCLE_1)
	s_xor_b32 s2, exec_lo, s3
	s_cbranch_execz .LBB177_40
; %bb.39:
	s_wait_kmcnt 0x0
	v_add_nc_u64_e32 v[0:1], s[0:1], v[0:1]
                                        ; implicit-def: $vgpr4_vgpr5
	s_clause 0x3
	global_store_b128 v[0:1], v[22:25], off
	global_store_b128 v[0:1], v[18:21], off offset:16
	global_store_b128 v[0:1], v[14:17], off offset:32
	global_store_b128 v[0:1], v[10:13], off offset:48
                                        ; implicit-def: $vgpr22_vgpr23
                                        ; implicit-def: $vgpr0_vgpr1
                                        ; implicit-def: $vgpr18_vgpr19
                                        ; implicit-def: $vgpr14_vgpr15
                                        ; implicit-def: $vgpr10_vgpr11
.LBB177_40:
	s_wait_xcnt 0x0
	s_and_not1_saveexec_b32 s2, s2
	s_cbranch_execz .LBB177_8
; %bb.41:
	s_wait_kmcnt 0x0
	v_add_nc_u64_e32 v[0:1], s[0:1], v[0:1]
	s_clause 0x3
	global_load_b128 v[6:9], v[0:1], off
	global_load_b128 v[26:29], v[0:1], off offset:16
	global_load_b128 v[30:33], v[0:1], off offset:32
	;; [unrolled: 1-line block ×3, first 2 shown]
	s_wait_loadcnt 0x3
	v_fmac_f64_e32 v[22:23], v[2:3], v[6:7]
	v_fmac_f64_e32 v[24:25], v[4:5], v[6:7]
	s_wait_loadcnt 0x2
	v_fmac_f64_e32 v[18:19], v[2:3], v[26:27]
	v_fmac_f64_e32 v[20:21], v[4:5], v[26:27]
	;; [unrolled: 3-line block ×4, first 2 shown]
	v_fma_f64 v[22:23], -v[4:5], v[8:9], v[22:23]
	v_fmac_f64_e32 v[24:25], v[2:3], v[8:9]
	v_fma_f64 v[18:19], -v[4:5], v[28:29], v[18:19]
	v_fmac_f64_e32 v[20:21], v[2:3], v[28:29]
	v_fma_f64 v[14:15], -v[4:5], v[32:33], v[14:15]
	v_fmac_f64_e32 v[16:17], v[2:3], v[32:33]
	v_fma_f64 v[10:11], -v[4:5], v[36:37], v[10:11]
	v_fmac_f64_e32 v[12:13], v[2:3], v[36:37]
	s_clause 0x3
	global_store_b128 v[0:1], v[22:25], off
	global_store_b128 v[0:1], v[18:21], off offset:16
	global_store_b128 v[0:1], v[14:17], off offset:32
	;; [unrolled: 1-line block ×3, first 2 shown]
	s_sendmsg sendmsg(MSG_DEALLOC_VGPRS)
	s_endpgm
	.section	.rodata,"a",@progbits
	.p2align	6, 0x0
	.amdhsa_kernel _ZN9rocsparseL18bsrxmvn_4x4_kernelILj128ELj16E21rocsparse_complex_numIdEllS1_IfES2_S2_EEvT3_20rocsparse_direction_NS_24const_host_device_scalarIT1_EES4_PKS4_PKT2_SD_SA_PKT4_PKT5_S8_PT6_21rocsparse_index_base_b
		.amdhsa_group_segment_fixed_size 0
		.amdhsa_private_segment_fixed_size 0
		.amdhsa_kernarg_size 120
		.amdhsa_user_sgpr_count 2
		.amdhsa_user_sgpr_dispatch_ptr 0
		.amdhsa_user_sgpr_queue_ptr 0
		.amdhsa_user_sgpr_kernarg_segment_ptr 1
		.amdhsa_user_sgpr_dispatch_id 0
		.amdhsa_user_sgpr_kernarg_preload_length 0
		.amdhsa_user_sgpr_kernarg_preload_offset 0
		.amdhsa_user_sgpr_private_segment_size 0
		.amdhsa_wavefront_size32 1
		.amdhsa_uses_dynamic_stack 0
		.amdhsa_enable_private_segment 0
		.amdhsa_system_sgpr_workgroup_id_x 1
		.amdhsa_system_sgpr_workgroup_id_y 0
		.amdhsa_system_sgpr_workgroup_id_z 0
		.amdhsa_system_sgpr_workgroup_info 0
		.amdhsa_system_vgpr_workitem_id 0
		.amdhsa_next_free_vgpr 152
		.amdhsa_next_free_sgpr 12
		.amdhsa_named_barrier_count 0
		.amdhsa_reserve_vcc 1
		.amdhsa_float_round_mode_32 0
		.amdhsa_float_round_mode_16_64 0
		.amdhsa_float_denorm_mode_32 3
		.amdhsa_float_denorm_mode_16_64 3
		.amdhsa_fp16_overflow 0
		.amdhsa_memory_ordered 1
		.amdhsa_forward_progress 1
		.amdhsa_inst_pref_size 74
		.amdhsa_round_robin_scheduling 0
		.amdhsa_exception_fp_ieee_invalid_op 0
		.amdhsa_exception_fp_denorm_src 0
		.amdhsa_exception_fp_ieee_div_zero 0
		.amdhsa_exception_fp_ieee_overflow 0
		.amdhsa_exception_fp_ieee_underflow 0
		.amdhsa_exception_fp_ieee_inexact 0
		.amdhsa_exception_int_div_zero 0
	.end_amdhsa_kernel
	.section	.text._ZN9rocsparseL18bsrxmvn_4x4_kernelILj128ELj16E21rocsparse_complex_numIdEllS1_IfES2_S2_EEvT3_20rocsparse_direction_NS_24const_host_device_scalarIT1_EES4_PKS4_PKT2_SD_SA_PKT4_PKT5_S8_PT6_21rocsparse_index_base_b,"axG",@progbits,_ZN9rocsparseL18bsrxmvn_4x4_kernelILj128ELj16E21rocsparse_complex_numIdEllS1_IfES2_S2_EEvT3_20rocsparse_direction_NS_24const_host_device_scalarIT1_EES4_PKS4_PKT2_SD_SA_PKT4_PKT5_S8_PT6_21rocsparse_index_base_b,comdat
.Lfunc_end177:
	.size	_ZN9rocsparseL18bsrxmvn_4x4_kernelILj128ELj16E21rocsparse_complex_numIdEllS1_IfES2_S2_EEvT3_20rocsparse_direction_NS_24const_host_device_scalarIT1_EES4_PKS4_PKT2_SD_SA_PKT4_PKT5_S8_PT6_21rocsparse_index_base_b, .Lfunc_end177-_ZN9rocsparseL18bsrxmvn_4x4_kernelILj128ELj16E21rocsparse_complex_numIdEllS1_IfES2_S2_EEvT3_20rocsparse_direction_NS_24const_host_device_scalarIT1_EES4_PKS4_PKT2_SD_SA_PKT4_PKT5_S8_PT6_21rocsparse_index_base_b
                                        ; -- End function
	.set _ZN9rocsparseL18bsrxmvn_4x4_kernelILj128ELj16E21rocsparse_complex_numIdEllS1_IfES2_S2_EEvT3_20rocsparse_direction_NS_24const_host_device_scalarIT1_EES4_PKS4_PKT2_SD_SA_PKT4_PKT5_S8_PT6_21rocsparse_index_base_b.num_vgpr, 152
	.set _ZN9rocsparseL18bsrxmvn_4x4_kernelILj128ELj16E21rocsparse_complex_numIdEllS1_IfES2_S2_EEvT3_20rocsparse_direction_NS_24const_host_device_scalarIT1_EES4_PKS4_PKT2_SD_SA_PKT4_PKT5_S8_PT6_21rocsparse_index_base_b.num_agpr, 0
	.set _ZN9rocsparseL18bsrxmvn_4x4_kernelILj128ELj16E21rocsparse_complex_numIdEllS1_IfES2_S2_EEvT3_20rocsparse_direction_NS_24const_host_device_scalarIT1_EES4_PKS4_PKT2_SD_SA_PKT4_PKT5_S8_PT6_21rocsparse_index_base_b.numbered_sgpr, 12
	.set _ZN9rocsparseL18bsrxmvn_4x4_kernelILj128ELj16E21rocsparse_complex_numIdEllS1_IfES2_S2_EEvT3_20rocsparse_direction_NS_24const_host_device_scalarIT1_EES4_PKS4_PKT2_SD_SA_PKT4_PKT5_S8_PT6_21rocsparse_index_base_b.num_named_barrier, 0
	.set _ZN9rocsparseL18bsrxmvn_4x4_kernelILj128ELj16E21rocsparse_complex_numIdEllS1_IfES2_S2_EEvT3_20rocsparse_direction_NS_24const_host_device_scalarIT1_EES4_PKS4_PKT2_SD_SA_PKT4_PKT5_S8_PT6_21rocsparse_index_base_b.private_seg_size, 0
	.set _ZN9rocsparseL18bsrxmvn_4x4_kernelILj128ELj16E21rocsparse_complex_numIdEllS1_IfES2_S2_EEvT3_20rocsparse_direction_NS_24const_host_device_scalarIT1_EES4_PKS4_PKT2_SD_SA_PKT4_PKT5_S8_PT6_21rocsparse_index_base_b.uses_vcc, 1
	.set _ZN9rocsparseL18bsrxmvn_4x4_kernelILj128ELj16E21rocsparse_complex_numIdEllS1_IfES2_S2_EEvT3_20rocsparse_direction_NS_24const_host_device_scalarIT1_EES4_PKS4_PKT2_SD_SA_PKT4_PKT5_S8_PT6_21rocsparse_index_base_b.uses_flat_scratch, 0
	.set _ZN9rocsparseL18bsrxmvn_4x4_kernelILj128ELj16E21rocsparse_complex_numIdEllS1_IfES2_S2_EEvT3_20rocsparse_direction_NS_24const_host_device_scalarIT1_EES4_PKS4_PKT2_SD_SA_PKT4_PKT5_S8_PT6_21rocsparse_index_base_b.has_dyn_sized_stack, 0
	.set _ZN9rocsparseL18bsrxmvn_4x4_kernelILj128ELj16E21rocsparse_complex_numIdEllS1_IfES2_S2_EEvT3_20rocsparse_direction_NS_24const_host_device_scalarIT1_EES4_PKS4_PKT2_SD_SA_PKT4_PKT5_S8_PT6_21rocsparse_index_base_b.has_recursion, 0
	.set _ZN9rocsparseL18bsrxmvn_4x4_kernelILj128ELj16E21rocsparse_complex_numIdEllS1_IfES2_S2_EEvT3_20rocsparse_direction_NS_24const_host_device_scalarIT1_EES4_PKS4_PKT2_SD_SA_PKT4_PKT5_S8_PT6_21rocsparse_index_base_b.has_indirect_call, 0
	.section	.AMDGPU.csdata,"",@progbits
; Kernel info:
; codeLenInByte = 9352
; TotalNumSgprs: 14
; NumVgprs: 152
; ScratchSize: 0
; MemoryBound: 0
; FloatMode: 240
; IeeeMode: 1
; LDSByteSize: 0 bytes/workgroup (compile time only)
; SGPRBlocks: 0
; VGPRBlocks: 9
; NumSGPRsForWavesPerEU: 14
; NumVGPRsForWavesPerEU: 152
; NamedBarCnt: 0
; Occupancy: 6
; WaveLimiterHint : 1
; COMPUTE_PGM_RSRC2:SCRATCH_EN: 0
; COMPUTE_PGM_RSRC2:USER_SGPR: 2
; COMPUTE_PGM_RSRC2:TRAP_HANDLER: 0
; COMPUTE_PGM_RSRC2:TGID_X_EN: 1
; COMPUTE_PGM_RSRC2:TGID_Y_EN: 0
; COMPUTE_PGM_RSRC2:TGID_Z_EN: 0
; COMPUTE_PGM_RSRC2:TIDIG_COMP_CNT: 0
	.section	.text._ZN9rocsparseL18bsrxmvn_4x4_kernelILj128ELj32E21rocsparse_complex_numIdEllS1_IfES2_S2_EEvT3_20rocsparse_direction_NS_24const_host_device_scalarIT1_EES4_PKS4_PKT2_SD_SA_PKT4_PKT5_S8_PT6_21rocsparse_index_base_b,"axG",@progbits,_ZN9rocsparseL18bsrxmvn_4x4_kernelILj128ELj32E21rocsparse_complex_numIdEllS1_IfES2_S2_EEvT3_20rocsparse_direction_NS_24const_host_device_scalarIT1_EES4_PKS4_PKT2_SD_SA_PKT4_PKT5_S8_PT6_21rocsparse_index_base_b,comdat
	.globl	_ZN9rocsparseL18bsrxmvn_4x4_kernelILj128ELj32E21rocsparse_complex_numIdEllS1_IfES2_S2_EEvT3_20rocsparse_direction_NS_24const_host_device_scalarIT1_EES4_PKS4_PKT2_SD_SA_PKT4_PKT5_S8_PT6_21rocsparse_index_base_b ; -- Begin function _ZN9rocsparseL18bsrxmvn_4x4_kernelILj128ELj32E21rocsparse_complex_numIdEllS1_IfES2_S2_EEvT3_20rocsparse_direction_NS_24const_host_device_scalarIT1_EES4_PKS4_PKT2_SD_SA_PKT4_PKT5_S8_PT6_21rocsparse_index_base_b
	.p2align	8
	.type	_ZN9rocsparseL18bsrxmvn_4x4_kernelILj128ELj32E21rocsparse_complex_numIdEllS1_IfES2_S2_EEvT3_20rocsparse_direction_NS_24const_host_device_scalarIT1_EES4_PKS4_PKT2_SD_SA_PKT4_PKT5_S8_PT6_21rocsparse_index_base_b,@function
_ZN9rocsparseL18bsrxmvn_4x4_kernelILj128ELj32E21rocsparse_complex_numIdEllS1_IfES2_S2_EEvT3_20rocsparse_direction_NS_24const_host_device_scalarIT1_EES4_PKS4_PKT2_SD_SA_PKT4_PKT5_S8_PT6_21rocsparse_index_base_b: ; @_ZN9rocsparseL18bsrxmvn_4x4_kernelILj128ELj32E21rocsparse_complex_numIdEllS1_IfES2_S2_EEvT3_20rocsparse_direction_NS_24const_host_device_scalarIT1_EES4_PKS4_PKT2_SD_SA_PKT4_PKT5_S8_PT6_21rocsparse_index_base_b
; %bb.0:
	s_clause 0x1
	s_load_b64 s[4:5], s[0:1], 0x70
	s_load_b64 s[2:3], s[0:1], 0x10
	v_mov_b32_e32 v1, 0
	s_add_nc_u64 s[6:7], s[0:1], 16
	s_load_b64 s[8:9], s[0:1], 0x58
	s_wait_kmcnt 0x0
	s_bitcmp1_b32 s5, 0
	s_cselect_b32 s3, s7, s3
	s_cselect_b32 s2, s6, s2
	flat_load_b128 v[6:9], v1, s[2:3]
	s_wait_xcnt 0x0
	s_add_nc_u64 s[2:3], s[0:1], 0x58
	s_delay_alu instid0(SALU_CYCLE_1)
	s_cselect_b32 s3, s3, s9
	s_cselect_b32 s2, s2, s8
	flat_load_b128 v[2:5], v1, s[2:3]
	s_wait_loadcnt_dscnt 0x101
	v_cmp_eq_f64_e32 vcc_lo, 0, v[6:7]
	s_wait_xcnt 0x0
	v_cmp_eq_f64_e64 s2, 0, v[8:9]
	s_and_b32 s5, vcc_lo, s2
	s_mov_b32 s2, -1
	s_and_saveexec_b32 s3, s5
	s_cbranch_execz .LBB178_2
; %bb.1:
	s_wait_loadcnt_dscnt 0x0
	v_cmp_neq_f64_e32 vcc_lo, 1.0, v[2:3]
	v_cmp_neq_f64_e64 s2, 0, v[4:5]
	s_or_b32 s2, vcc_lo, s2
	s_delay_alu instid0(SALU_CYCLE_1)
	s_or_not1_b32 s2, s2, exec_lo
.LBB178_2:
	s_or_b32 exec_lo, exec_lo, s3
	s_and_saveexec_b32 s3, s2
	s_cbranch_execz .LBB178_8
; %bb.3:
	s_load_b64 s[2:3], s[0:1], 0x28
	s_bfe_u32 s5, ttmp6, 0x4000c
	s_and_b32 s6, ttmp6, 15
	s_add_co_i32 s5, s5, 1
	s_getreg_b32 s7, hwreg(HW_REG_IB_STS2, 6, 4)
	s_mul_i32 s5, ttmp9, s5
	v_dual_lshrrev_b32 v1, 5, v0 :: v_dual_mov_b32 v11, 0
	s_add_co_i32 s6, s6, s5
	s_cmp_eq_u32 s7, 0
	s_cselect_b32 s5, ttmp9, s6
	s_mov_b32 s6, 0
	v_lshl_or_b32 v10, s5, 2, v1
	s_wait_kmcnt 0x0
	s_cmp_lg_u64 s[2:3], 0
	s_cbranch_scc0 .LBB178_9
; %bb.4:
	s_load_b64 s[6:7], s[0:1], 0x20
                                        ; implicit-def: $vgpr26_vgpr27
                                        ; implicit-def: $vgpr18_vgpr19
	s_wait_kmcnt 0x0
	v_cmp_gt_i64_e32 vcc_lo, s[6:7], v[10:11]
	s_mov_b32 s7, 0
	s_mov_b32 s6, 0
	s_and_saveexec_b32 s5, vcc_lo
	s_delay_alu instid0(SALU_CYCLE_1)
	s_xor_b32 s8, exec_lo, s5
	s_cbranch_execz .LBB178_6
; %bb.5:
	v_lshl_add_u64 v[12:13], v[10:11], 3, s[2:3]
	s_mov_b32 s5, 0
	s_mov_b32 s6, exec_lo
	v_mov_b64_e32 v[18:19], s[4:5]
	global_load_b64 v[12:13], v[12:13], off
	s_wait_loadcnt 0x0
	v_sub_nc_u64_e64 v[26:27], v[12:13], s[4:5]
.LBB178_6:
	s_or_b32 exec_lo, exec_lo, s8
	s_delay_alu instid0(SALU_CYCLE_1)
	s_and_b32 vcc_lo, exec_lo, s7
	s_cbranch_vccnz .LBB178_10
.LBB178_7:
	s_and_b32 exec_lo, exec_lo, s6
	s_cbranch_execnz .LBB178_13
.LBB178_8:
	s_sendmsg sendmsg(MSG_DEALLOC_VGPRS)
	s_endpgm
.LBB178_9:
                                        ; implicit-def: $vgpr26_vgpr27
                                        ; implicit-def: $vgpr18_vgpr19
	s_cbranch_execz .LBB178_7
.LBB178_10:
	s_load_b64 s[2:3], s[0:1], 0x0
	s_wait_kmcnt 0x0
	v_cmp_gt_i64_e32 vcc_lo, s[2:3], v[10:11]
	s_and_saveexec_b32 s2, vcc_lo
; %bb.11:
	s_mov_b32 s5, 0
	s_or_b32 s6, s6, exec_lo
; %bb.12:
	s_or_b32 exec_lo, exec_lo, s2
	v_mov_b64_e32 v[18:19], s[4:5]
	v_mov_b64_e32 v[26:27], v[10:11]
	s_and_b32 exec_lo, exec_lo, s6
	s_cbranch_execz .LBB178_8
.LBB178_13:
	s_load_b256 s[4:11], s[0:1], 0x30
	s_delay_alu instid0(VALU_DEP_1) | instskip(SKIP_3) | instid1(VALU_DEP_2)
	v_lshlrev_b64_e32 v[10:11], 3, v[26:27]
	v_dual_mov_b32 v1, 0 :: v_dual_bitop2_b32 v0, 31, v0 bitop3:0x40
	s_load_b32 s3, s[0:1], 0x8
	s_wait_kmcnt 0x0
	v_add_nc_u64_e32 v[12:13], s[4:5], v[10:11]
	v_add_nc_u64_e32 v[10:11], s[6:7], v[10:11]
	s_cmp_eq_u64 s[6:7], 0
	s_load_b64 s[4:5], s[0:1], 0x50
	s_cselect_b32 vcc_lo, -1, 0
	s_cmp_eq_u32 s3, 1
	global_load_b64 v[36:37], v[12:13], off
	s_wait_xcnt 0x0
	v_add_nc_u64_e32 v[12:13], 8, v[12:13]
	s_delay_alu instid0(VALU_DEP_1) | instskip(SKIP_3) | instid1(VALU_DEP_1)
	v_dual_cndmask_b32 v11, v11, v13 :: v_dual_cndmask_b32 v10, v10, v12
	global_load_b64 v[10:11], v[10:11], off
	s_wait_loadcnt 0x1
	v_sub_nc_u64_e32 v[12:13], v[36:37], v[18:19]
	v_add_nc_u64_e32 v[20:21], v[12:13], v[0:1]
	s_wait_loadcnt 0x0
	v_sub_nc_u64_e32 v[22:23], v[10:11], v[18:19]
	s_delay_alu instid0(VALU_DEP_2) | instskip(NEXT) | instid1(VALU_DEP_2)
	v_lshlrev_b64_e32 v[12:13], 7, v[20:21]
	v_cmp_lt_i64_e64 s2, v[20:21], v[22:23]
	s_delay_alu instid0(VALU_DEP_2)
	v_add_nc_u64_e32 v[24:25], s[10:11], v[12:13]
	s_cbranch_scc1 .LBB178_25
; %bb.14:
	v_mov_b64_e32 v[10:11], 0
	v_mov_b64_e32 v[30:31], 0
	;; [unrolled: 1-line block ×8, first 2 shown]
	s_and_saveexec_b32 s3, s2
	s_cbranch_execz .LBB178_24
; %bb.15:
	v_dual_mov_b32 v11, v1 :: v_dual_bitop2_b32 v10, 32, v0 bitop3:0x54
	v_sub_nc_u64_e32 v[12:13], v[18:19], v[0:1]
	v_not_b32_e32 v15, v37
	v_not_b32_e32 v14, v36
	v_mov_b64_e32 v[28:29], 0
	v_sub_nc_u64_e32 v[10:11], v[10:11], v[18:19]
	v_mov_b64_e32 v[16:17], 0
	v_mov_b64_e32 v[34:35], 0
	v_add_nc_u64_e32 v[12:13], v[12:13], v[14:15]
	v_mov_b64_e32 v[14:15], 0
	v_mov_b64_e32 v[32:33], 0
	;; [unrolled: 1-line block ×3, first 2 shown]
	v_add_nc_u64_e32 v[10:11], v[10:11], v[36:37]
	v_mov_b64_e32 v[38:39], v[24:25]
	v_mov_b64_e32 v[40:41], v[20:21]
	v_mov_b32_e32 v47, 0
	s_mov_b32 s6, exec_lo
	s_delay_alu instid0(VALU_DEP_4) | instskip(NEXT) | instid1(VALU_DEP_1)
	v_max_i64 v[10:11], v[10:11], v[22:23]
	v_add_nc_u64_e32 v[42:43], v[12:13], v[10:11]
	v_mov_b64_e32 v[12:13], 0
	v_mov_b64_e32 v[10:11], 0
	s_delay_alu instid0(VALU_DEP_3) | instskip(NEXT) | instid1(VALU_DEP_1)
	v_and_b32_e32 v46, 0x60, v42
	v_cmpx_ne_u64_e32 0x60, v[46:47]
	s_cbranch_execz .LBB178_19
; %bb.16:
	v_lshrrev_b32_e32 v10, 5, v42
	v_mov_b64_e32 v[30:31], 0
	v_mov_b64_e32 v[12:13], 0
	;; [unrolled: 1-line block ×4, first 2 shown]
	v_add_nc_u32_e32 v14, 1, v10
	v_mov_b64_e32 v[10:11], 0
	v_mov_b64_e32 v[16:17], 0
	;; [unrolled: 1-line block ×4, first 2 shown]
	v_and_b32_e32 v46, 3, v14
	v_mov_b64_e32 v[14:15], 0
	v_mov_b64_e32 v[38:39], v[24:25]
	v_lshl_add_u64 v[44:45], v[20:21], 3, s[8:9]
	s_mov_b32 s7, 0
	v_sub_nc_u64_e32 v[46:47], 0, v[46:47]
.LBB178_17:                             ; =>This Inner Loop Header: Depth=1
	global_load_b64 v[68:69], v[44:45], off
	s_clause 0x4
	global_load_b128 v[48:51], v[38:39], off
	global_load_b128 v[52:55], v[38:39], off offset:32
	global_load_b128 v[56:59], v[38:39], off offset:64
	;; [unrolled: 1-line block ×4, first 2 shown]
	v_add_nc_u64_e32 v[46:47], 1, v[46:47]
	v_add_nc_u64_e32 v[40:41], 32, v[40:41]
	s_wait_xcnt 0x5
	v_add_nc_u64_e32 v[44:45], 0x100, v[44:45]
	s_delay_alu instid0(VALU_DEP_3)
	v_cmp_eq_u64_e32 vcc_lo, 0, v[46:47]
	s_or_b32 s7, vcc_lo, s7
	s_wait_loadcnt 0x5
	v_sub_nc_u64_e32 v[68:69], v[68:69], v[18:19]
	s_wait_loadcnt 0x3
	v_cvt_f64_f32_e32 v[98:99], v52
	v_cvt_f64_f32_e32 v[52:53], v53
	s_wait_loadcnt 0x2
	v_cvt_f64_f32_e32 v[100:101], v56
	v_cvt_f64_f32_e32 v[56:57], v57
	s_wait_loadcnt 0x1
	v_cvt_f64_f32_e32 v[102:103], v60
	v_lshlrev_b64_e32 v[68:69], 6, v[68:69]
	v_cvt_f64_f32_e32 v[60:61], v61
	v_cvt_f64_f32_e32 v[104:105], v54
	;; [unrolled: 1-line block ×6, first 2 shown]
	s_wait_kmcnt 0x0
	v_add_nc_u64_e32 v[96:97], s[4:5], v[68:69]
	v_cvt_f64_f32_e32 v[62:63], v63
	s_clause 0x1
	global_load_b128 v[68:71], v[96:97], off
	global_load_b128 v[72:75], v[96:97], off offset:16
	s_clause 0x2
	global_load_b128 v[76:79], v[38:39], off offset:16
	global_load_b128 v[80:83], v[38:39], off offset:80
	;; [unrolled: 1-line block ×3, first 2 shown]
	s_clause 0x1
	global_load_b128 v[88:91], v[96:97], off offset:32
	global_load_b128 v[92:95], v[96:97], off offset:48
	s_wait_xcnt 0x0
	v_cvt_f64_f32_e32 v[96:97], v48
	v_cvt_f64_f32_e32 v[48:49], v49
	v_add_nc_u64_e32 v[38:39], 0x1000, v[38:39]
	s_wait_loadcnt 0x6
	s_delay_alu instid0(VALU_DEP_3) | instskip(NEXT) | instid1(VALU_DEP_3)
	v_fmac_f64_e32 v[30:31], v[96:97], v[68:69]
	v_fmac_f64_e32 v[10:11], v[48:49], v[68:69]
	;; [unrolled: 1-line block ×8, first 2 shown]
	v_cvt_f64_f32_e32 v[68:69], v50
	v_cvt_f64_f32_e32 v[50:51], v51
	v_fma_f64 v[30:31], -v[48:49], v[70:71], v[30:31]
	v_fmac_f64_e32 v[10:11], v[96:97], v[70:71]
	v_fma_f64 v[32:33], -v[52:53], v[70:71], v[32:33]
	v_fmac_f64_e32 v[12:13], v[98:99], v[70:71]
	v_fma_f64 v[34:35], -v[56:57], v[70:71], v[34:35]
	v_fmac_f64_e32 v[14:15], v[100:101], v[70:71]
	v_fma_f64 v[28:29], -v[60:61], v[70:71], v[28:29]
	v_fmac_f64_e32 v[16:17], v[102:103], v[70:71]
	s_wait_loadcnt 0x4
	v_cvt_f64_f32_e32 v[48:49], v76
	v_cvt_f64_f32_e32 v[52:53], v77
	;; [unrolled: 1-line block ×4, first 2 shown]
	s_wait_loadcnt 0x3
	v_cvt_f64_f32_e32 v[64:65], v80
	v_cvt_f64_f32_e32 v[70:71], v81
	s_wait_loadcnt 0x2
	v_cvt_f64_f32_e32 v[76:77], v85
	v_fmac_f64_e32 v[30:31], v[68:69], v[72:73]
	v_fmac_f64_e32 v[10:11], v[50:51], v[72:73]
	;; [unrolled: 1-line block ×8, first 2 shown]
	v_cvt_f64_f32_e32 v[72:73], v84
	v_fma_f64 v[30:31], -v[50:51], v[74:75], v[30:31]
	v_fmac_f64_e32 v[10:11], v[68:69], v[74:75]
	v_fma_f64 v[32:33], -v[54:55], v[74:75], v[32:33]
	v_fmac_f64_e32 v[12:13], v[104:105], v[74:75]
	;; [unrolled: 2-line block ×4, first 2 shown]
	v_cvt_f64_f32_e32 v[50:51], v78
	v_cvt_f64_f32_e32 v[54:55], v79
	;; [unrolled: 1-line block ×8, first 2 shown]
	s_wait_loadcnt 0x1
	v_fmac_f64_e32 v[30:31], v[48:49], v[88:89]
	v_fmac_f64_e32 v[10:11], v[52:53], v[88:89]
	;; [unrolled: 1-line block ×8, first 2 shown]
	v_fma_f64 v[30:31], -v[52:53], v[90:91], v[30:31]
	v_fmac_f64_e32 v[10:11], v[48:49], v[90:91]
	v_fma_f64 v[32:33], -v[60:61], v[90:91], v[32:33]
	v_fmac_f64_e32 v[12:13], v[56:57], v[90:91]
	;; [unrolled: 2-line block ×4, first 2 shown]
	s_wait_loadcnt 0x0
	v_fmac_f64_e32 v[30:31], v[50:51], v[92:93]
	v_fmac_f64_e32 v[10:11], v[54:55], v[92:93]
	;; [unrolled: 1-line block ×8, first 2 shown]
	v_fma_f64 v[30:31], -v[54:55], v[94:95], v[30:31]
	v_fmac_f64_e32 v[10:11], v[50:51], v[94:95]
	v_fma_f64 v[32:33], -v[62:63], v[94:95], v[32:33]
	v_fmac_f64_e32 v[12:13], v[58:59], v[94:95]
	;; [unrolled: 2-line block ×4, first 2 shown]
	s_and_not1_b32 exec_lo, exec_lo, s7
	s_cbranch_execnz .LBB178_17
; %bb.18:
	s_or_b32 exec_lo, exec_lo, s7
.LBB178_19:
	s_delay_alu instid0(SALU_CYCLE_1) | instskip(NEXT) | instid1(SALU_CYCLE_1)
	s_or_b32 exec_lo, exec_lo, s6
	s_mov_b32 s6, exec_lo
	v_cmpx_lt_u64_e32 0x5f, v[42:43]
	s_cbranch_execz .LBB178_23
; %bb.20:
	v_lshl_add_u64 v[42:43], v[40:41], 3, s[8:9]
	s_mov_b32 s7, 0
	s_delay_alu instid0(VALU_DEP_1)
	v_add_nc_u64_e32 v[42:43], 0x200, v[42:43]
.LBB178_21:                             ; =>This Inner Loop Header: Depth=1
	s_clause 0x1
	global_load_b64 v[60:61], v[42:43], off offset:-512
	global_load_b64 v[108:109], v[42:43], off offset:-256
	s_clause 0x3
	global_load_b128 v[44:47], v[38:39], off
	global_load_b128 v[48:51], v[38:39], off offset:32
	global_load_b128 v[52:55], v[38:39], off offset:64
	;; [unrolled: 1-line block ×3, first 2 shown]
	s_clause 0x1
	global_load_b64 v[132:133], v[42:43], off
	global_load_b64 v[134:135], v[42:43], off offset:256
	v_add_nc_u64_e32 v[40:41], 0x80, v[40:41]
	s_wait_xcnt 0x0
	v_add_nc_u64_e32 v[42:43], 0x400, v[42:43]
	s_delay_alu instid0(VALU_DEP_2)
	v_cmp_ge_i64_e32 vcc_lo, v[40:41], v[22:23]
	s_or_b32 s7, vcc_lo, s7
	s_wait_loadcnt 0x7
	v_sub_nc_u64_e32 v[60:61], v[60:61], v[18:19]
	s_wait_loadcnt 0x6
	v_sub_nc_u64_e32 v[108:109], v[108:109], v[18:19]
	s_wait_loadcnt 0x5
	v_cvt_f64_f32_e32 v[138:139], v44
	v_cvt_f64_f32_e32 v[44:45], v45
	s_wait_loadcnt 0x4
	v_cvt_f64_f32_e32 v[140:141], v48
	v_cvt_f64_f32_e32 v[48:49], v49
	s_wait_loadcnt 0x3
	v_cvt_f64_f32_e32 v[142:143], v52
	v_lshlrev_b64_e32 v[60:61], 6, v[60:61]
	v_lshlrev_b64_e32 v[108:109], 6, v[108:109]
	v_cvt_f64_f32_e32 v[52:53], v53
	s_wait_loadcnt 0x2
	v_cvt_f64_f32_e32 v[144:145], v56
	v_cvt_f64_f32_e32 v[56:57], v57
	;; [unrolled: 1-line block ×4, first 2 shown]
	s_wait_kmcnt 0x0
	v_add_nc_u64_e32 v[110:111], s[4:5], v[60:61]
	v_add_nc_u64_e32 v[136:137], s[4:5], v[108:109]
	v_cvt_f64_f32_e32 v[148:149], v54
	v_cvt_f64_f32_e32 v[54:55], v55
	;; [unrolled: 1-line block ×4, first 2 shown]
	s_clause 0x1
	global_load_b128 v[60:63], v[110:111], off
	global_load_b128 v[64:67], v[110:111], off offset:16
	s_clause 0x3
	global_load_b128 v[68:71], v[38:39], off offset:16
	global_load_b128 v[72:75], v[38:39], off offset:48
	global_load_b128 v[76:79], v[38:39], off offset:80
	global_load_b128 v[80:83], v[38:39], off offset:112
	s_clause 0x1
	global_load_b128 v[84:87], v[110:111], off offset:32
	global_load_b128 v[88:91], v[110:111], off offset:48
	s_clause 0x3
	global_load_b128 v[92:95], v[38:39], off offset:4096
	global_load_b128 v[96:99], v[38:39], off offset:4128
	;; [unrolled: 1-line block ×4, first 2 shown]
	s_clause 0x1
	global_load_b128 v[108:111], v[136:137], off
	global_load_b128 v[112:115], v[136:137], off offset:16
	s_clause 0x3
	global_load_b128 v[116:119], v[38:39], off offset:4144
	global_load_b128 v[120:123], v[38:39], off offset:4112
	;; [unrolled: 1-line block ×4, first 2 shown]
	s_wait_loadcnt 0x11
	v_fmac_f64_e32 v[30:31], v[138:139], v[60:61]
	v_fmac_f64_e32 v[10:11], v[44:45], v[60:61]
	;; [unrolled: 1-line block ×8, first 2 shown]
	v_cvt_f64_f32_e32 v[60:61], v46
	v_cvt_f64_f32_e32 v[46:47], v47
	v_fma_f64 v[44:45], -v[44:45], v[62:63], v[30:31]
	v_fmac_f64_e32 v[10:11], v[138:139], v[62:63]
	v_fma_f64 v[32:33], -v[48:49], v[62:63], v[32:33]
	v_fmac_f64_e32 v[12:13], v[140:141], v[62:63]
	v_fma_f64 v[34:35], -v[52:53], v[62:63], v[34:35]
	v_fmac_f64_e32 v[14:15], v[142:143], v[62:63]
	v_fma_f64 v[48:49], -v[56:57], v[62:63], v[28:29]
	v_fmac_f64_e32 v[16:17], v[144:145], v[62:63]
	global_load_b128 v[28:31], v[136:137], off offset:32
	s_wait_loadcnt 0x10
	v_cvt_f64_f32_e32 v[62:63], v68
	s_wait_loadcnt 0xe
	v_cvt_f64_f32_e32 v[138:139], v76
	v_cvt_f64_f32_e32 v[76:77], v77
	s_wait_loadcnt 0xd
	v_cvt_f64_f32_e32 v[140:141], v80
	v_cvt_f64_f32_e32 v[80:81], v81
	v_fmac_f64_e32 v[44:45], v[60:61], v[64:65]
	v_fmac_f64_e32 v[10:11], v[46:47], v[64:65]
	;; [unrolled: 1-line block ×8, first 2 shown]
	v_cvt_f64_f32_e32 v[64:65], v69
	v_cvt_f64_f32_e32 v[68:69], v72
	;; [unrolled: 1-line block ×3, first 2 shown]
	v_fma_f64 v[142:143], -v[46:47], v[66:67], v[44:45]
	v_fmac_f64_e32 v[10:11], v[60:61], v[66:67]
	v_fma_f64 v[60:61], -v[50:51], v[66:67], v[32:33]
	v_fmac_f64_e32 v[12:13], v[146:147], v[66:67]
	;; [unrolled: 2-line block ×4, first 2 shown]
	global_load_b128 v[32:35], v[136:137], off offset:48
	s_clause 0x3
	global_load_b128 v[44:47], v[38:39], off offset:8224
	global_load_b128 v[48:51], v[38:39], off offset:8192
	;; [unrolled: 1-line block ×4, first 2 shown]
	v_cvt_f64_f32_e32 v[66:67], v70
	v_cvt_f64_f32_e32 v[70:71], v71
	s_wait_xcnt 0x4
	v_cvt_f64_f32_e32 v[136:137], v78
	v_cvt_f64_f32_e32 v[78:79], v79
	;; [unrolled: 1-line block ×4, first 2 shown]
	s_wait_loadcnt 0x11
	v_fmac_f64_e32 v[142:143], v[62:63], v[84:85]
	v_fmac_f64_e32 v[10:11], v[64:65], v[84:85]
	;; [unrolled: 1-line block ×8, first 2 shown]
	v_cvt_f64_f32_e32 v[84:85], v74
	v_cvt_f64_f32_e32 v[74:75], v75
	v_fma_f64 v[64:65], -v[64:65], v[86:87], v[142:143]
	v_fmac_f64_e32 v[10:11], v[62:63], v[86:87]
	v_fma_f64 v[72:73], -v[72:73], v[86:87], v[60:61]
	v_fmac_f64_e32 v[12:13], v[68:69], v[86:87]
	;; [unrolled: 2-line block ×4, first 2 shown]
	v_sub_nc_u64_e32 v[60:61], v[132:133], v[18:19]
	s_wait_loadcnt 0xf
	v_cvt_f64_f32_e32 v[86:87], v92
	s_wait_loadcnt 0xd
	v_cvt_f64_f32_e32 v[138:139], v100
	v_cvt_f64_f32_e32 v[100:101], v101
	s_wait_loadcnt 0xc
	v_cvt_f64_f32_e32 v[140:141], v104
	v_cvt_f64_f32_e32 v[104:105], v105
	;; [unrolled: 1-line block ×3, first 2 shown]
	v_lshlrev_b64_e32 v[60:61], 6, v[60:61]
	v_cvt_f64_f32_e32 v[102:103], v103
	s_delay_alu instid0(VALU_DEP_2)
	v_add_nc_u64_e32 v[132:133], s[4:5], v[60:61]
	global_load_b128 v[60:63], v[132:133], off
	v_fmac_f64_e32 v[64:65], v[66:67], v[88:89]
	v_fmac_f64_e32 v[10:11], v[70:71], v[88:89]
	;; [unrolled: 1-line block ×8, first 2 shown]
	v_cvt_f64_f32_e32 v[88:89], v93
	v_cvt_f64_f32_e32 v[92:93], v96
	;; [unrolled: 1-line block ×3, first 2 shown]
	v_fma_f64 v[142:143], -v[70:71], v[90:91], v[64:65]
	v_fmac_f64_e32 v[10:11], v[66:67], v[90:91]
	v_fma_f64 v[144:145], -v[74:75], v[90:91], v[72:73]
	v_fmac_f64_e32 v[12:13], v[84:85], v[90:91]
	;; [unrolled: 2-line block ×4, first 2 shown]
	global_load_b128 v[64:67], v[132:133], off offset:16
	s_clause 0x3
	global_load_b128 v[68:71], v[38:39], off offset:8240
	global_load_b128 v[72:75], v[38:39], off offset:8208
	;; [unrolled: 1-line block ×4, first 2 shown]
	v_cvt_f64_f32_e32 v[90:91], v94
	v_cvt_f64_f32_e32 v[94:95], v95
	;; [unrolled: 1-line block ×4, first 2 shown]
	s_wait_loadcnt 0x11
	v_fmac_f64_e32 v[142:143], v[86:87], v[108:109]
	v_fmac_f64_e32 v[10:11], v[88:89], v[108:109]
	;; [unrolled: 1-line block ×8, first 2 shown]
	v_cvt_f64_f32_e32 v[108:109], v98
	v_cvt_f64_f32_e32 v[98:99], v99
	v_fma_f64 v[88:89], -v[88:89], v[110:111], v[142:143]
	v_fmac_f64_e32 v[10:11], v[86:87], v[110:111]
	v_fma_f64 v[96:97], -v[96:97], v[110:111], v[144:145]
	v_fmac_f64_e32 v[12:13], v[92:93], v[110:111]
	;; [unrolled: 2-line block ×4, first 2 shown]
	global_load_b128 v[84:87], v[132:133], off offset:32
	s_wait_loadcnt 0xf
	v_cvt_f64_f32_e32 v[110:111], v120
	s_wait_loadcnt 0xe
	v_cvt_f64_f32_e32 v[136:137], v124
	v_cvt_f64_f32_e32 v[124:125], v125
	s_wait_loadcnt 0xd
	v_cvt_f64_f32_e32 v[138:139], v128
	v_cvt_f64_f32_e32 v[128:129], v129
	v_fmac_f64_e32 v[88:89], v[90:91], v[112:113]
	v_fmac_f64_e32 v[10:11], v[94:95], v[112:113]
	;; [unrolled: 1-line block ×8, first 2 shown]
	v_cvt_f64_f32_e32 v[112:113], v121
	v_cvt_f64_f32_e32 v[120:121], v116
	;; [unrolled: 1-line block ×3, first 2 shown]
	v_fma_f64 v[140:141], -v[94:95], v[114:115], v[88:89]
	v_fmac_f64_e32 v[10:11], v[90:91], v[114:115]
	v_fma_f64 v[142:143], -v[98:99], v[114:115], v[96:97]
	v_fmac_f64_e32 v[12:13], v[108:109], v[114:115]
	;; [unrolled: 2-line block ×4, first 2 shown]
	global_load_b128 v[88:91], v[132:133], off offset:48
	s_clause 0x3
	global_load_b128 v[92:95], v[38:39], off offset:12320
	global_load_b128 v[96:99], v[38:39], off offset:12288
	;; [unrolled: 1-line block ×4, first 2 shown]
	v_cvt_f64_f32_e32 v[114:115], v122
	v_cvt_f64_f32_e32 v[122:123], v123
	s_wait_xcnt 0x4
	v_cvt_f64_f32_e32 v[132:133], v118
	v_cvt_f64_f32_e32 v[118:119], v119
	;; [unrolled: 1-line block ×6, first 2 shown]
	s_wait_loadcnt 0x11
	v_fmac_f64_e32 v[140:141], v[110:111], v[28:29]
	v_fmac_f64_e32 v[10:11], v[112:113], v[28:29]
	;; [unrolled: 1-line block ×8, first 2 shown]
	v_sub_nc_u64_e32 v[28:29], v[134:135], v[18:19]
	s_delay_alu instid0(VALU_DEP_1)
	v_lshlrev_b64_e32 v[28:29], 6, v[28:29]
	v_fma_f64 v[112:113], -v[112:113], v[30:31], v[140:141]
	v_fmac_f64_e32 v[10:11], v[110:111], v[30:31]
	v_fma_f64 v[110:111], -v[116:117], v[30:31], v[142:143]
	v_fmac_f64_e32 v[12:13], v[120:121], v[30:31]
	;; [unrolled: 2-line block ×4, first 2 shown]
	v_add_nc_u64_e32 v[124:125], s[4:5], v[28:29]
	s_wait_loadcnt 0xe
	v_cvt_f64_f32_e32 v[128:129], v48
	v_cvt_f64_f32_e32 v[48:49], v49
	;; [unrolled: 1-line block ×4, first 2 shown]
	s_wait_loadcnt 0xd
	v_cvt_f64_f32_e32 v[136:137], v52
	v_cvt_f64_f32_e32 v[52:53], v53
	global_load_b128 v[28:31], v[124:125], off
	s_wait_loadcnt 0xd
	v_cvt_f64_f32_e32 v[138:139], v56
	v_cvt_f64_f32_e32 v[56:57], v57
	;; [unrolled: 1-line block ×3, first 2 shown]
	v_fmac_f64_e32 v[112:113], v[114:115], v[32:33]
	v_fmac_f64_e32 v[10:11], v[122:123], v[32:33]
	;; [unrolled: 1-line block ×8, first 2 shown]
	v_fma_f64 v[140:141], -v[122:123], v[34:35], v[112:113]
	v_fmac_f64_e32 v[10:11], v[114:115], v[34:35]
	v_fma_f64 v[142:143], -v[118:119], v[34:35], v[110:111]
	v_fmac_f64_e32 v[12:13], v[132:133], v[34:35]
	;; [unrolled: 2-line block ×4, first 2 shown]
	global_load_b128 v[32:35], v[124:125], off offset:16
	s_clause 0x3
	global_load_b128 v[108:111], v[38:39], off offset:12336
	global_load_b128 v[112:115], v[38:39], off offset:12304
	;; [unrolled: 1-line block ×4, first 2 shown]
	v_cvt_f64_f32_e32 v[132:133], v46
	v_cvt_f64_f32_e32 v[146:147], v54
	;; [unrolled: 1-line block ×5, first 2 shown]
	s_wait_xcnt 0x0
	v_add_nc_u64_e32 v[38:39], 0x4000, v[38:39]
	s_wait_loadcnt 0x11
	v_fmac_f64_e32 v[140:141], v[128:129], v[60:61]
	v_fmac_f64_e32 v[10:11], v[48:49], v[60:61]
	;; [unrolled: 1-line block ×8, first 2 shown]
	v_cvt_f64_f32_e32 v[60:61], v50
	v_cvt_f64_f32_e32 v[50:51], v51
	v_fma_f64 v[48:49], -v[48:49], v[62:63], v[140:141]
	v_fmac_f64_e32 v[10:11], v[128:129], v[62:63]
	v_fma_f64 v[128:129], -v[44:45], v[62:63], v[142:143]
	v_fmac_f64_e32 v[12:13], v[134:135], v[62:63]
	;; [unrolled: 2-line block ×4, first 2 shown]
	global_load_b128 v[44:47], v[124:125], off offset:32
	s_wait_loadcnt 0xf
	v_cvt_f64_f32_e32 v[62:63], v72
	s_wait_loadcnt 0xe
	v_cvt_f64_f32_e32 v[126:127], v76
	v_cvt_f64_f32_e32 v[76:77], v77
	s_wait_loadcnt 0xd
	v_cvt_f64_f32_e32 v[130:131], v80
	v_cvt_f64_f32_e32 v[80:81], v81
	v_fmac_f64_e32 v[48:49], v[60:61], v[64:65]
	v_fmac_f64_e32 v[10:11], v[50:51], v[64:65]
	;; [unrolled: 1-line block ×8, first 2 shown]
	v_cvt_f64_f32_e32 v[64:65], v73
	v_cvt_f64_f32_e32 v[72:73], v68
	v_cvt_f64_f32_e32 v[68:69], v69
	v_fma_f64 v[134:135], -v[50:51], v[66:67], v[48:49]
	v_fmac_f64_e32 v[10:11], v[60:61], v[66:67]
	v_fma_f64 v[60:61], -v[144:145], v[66:67], v[128:129]
	v_fmac_f64_e32 v[12:13], v[132:133], v[66:67]
	;; [unrolled: 2-line block ×4, first 2 shown]
	global_load_b128 v[48:51], v[124:125], off offset:48
	v_cvt_f64_f32_e32 v[56:57], v74
	v_cvt_f64_f32_e32 v[58:59], v75
	;; [unrolled: 1-line block ×6, first 2 shown]
	s_wait_loadcnt 0xd
	v_fmac_f64_e32 v[134:135], v[62:63], v[84:85]
	v_fmac_f64_e32 v[10:11], v[64:65], v[84:85]
	;; [unrolled: 1-line block ×8, first 2 shown]
	v_cvt_f64_f32_e32 v[84:85], v82
	v_cvt_f64_f32_e32 v[82:83], v83
	v_fma_f64 v[64:65], -v[64:65], v[86:87], v[134:135]
	v_fmac_f64_e32 v[10:11], v[62:63], v[86:87]
	v_fma_f64 v[60:61], -v[68:69], v[86:87], v[60:61]
	v_fmac_f64_e32 v[12:13], v[72:73], v[86:87]
	;; [unrolled: 2-line block ×4, first 2 shown]
	s_wait_loadcnt 0xa
	v_cvt_f64_f32_e32 v[62:63], v96
	v_cvt_f64_f32_e32 v[68:69], v97
	;; [unrolled: 1-line block ×4, first 2 shown]
	s_wait_loadcnt 0x9
	v_cvt_f64_f32_e32 v[80:81], v100
	v_cvt_f64_f32_e32 v[86:87], v101
	s_wait_loadcnt 0x8
	v_cvt_f64_f32_e32 v[92:93], v105
	v_fmac_f64_e32 v[64:65], v[56:57], v[88:89]
	v_fmac_f64_e32 v[10:11], v[58:59], v[88:89]
	;; [unrolled: 1-line block ×8, first 2 shown]
	v_cvt_f64_f32_e32 v[88:89], v104
	v_fma_f64 v[58:59], -v[58:59], v[90:91], v[64:65]
	v_fmac_f64_e32 v[10:11], v[56:57], v[90:91]
	v_fma_f64 v[56:57], -v[70:71], v[90:91], v[60:61]
	v_fmac_f64_e32 v[12:13], v[66:67], v[90:91]
	v_fma_f64 v[52:53], -v[78:79], v[90:91], v[52:53]
	v_fmac_f64_e32 v[14:15], v[74:75], v[90:91]
	v_fma_f64 v[54:55], -v[82:83], v[90:91], v[54:55]
	v_fmac_f64_e32 v[16:17], v[84:85], v[90:91]
	v_cvt_f64_f32_e32 v[60:61], v99
	v_cvt_f64_f32_e32 v[64:65], v94
	v_cvt_f64_f32_e32 v[66:67], v95
	v_cvt_f64_f32_e32 v[70:71], v102
	v_cvt_f64_f32_e32 v[74:75], v103
	v_cvt_f64_f32_e32 v[78:79], v106
	v_cvt_f64_f32_e32 v[82:83], v107
	s_wait_loadcnt 0x7
	v_fmac_f64_e32 v[58:59], v[62:63], v[28:29]
	v_fmac_f64_e32 v[10:11], v[68:69], v[28:29]
	;; [unrolled: 1-line block ×8, first 2 shown]
	v_cvt_f64_f32_e32 v[28:29], v98
	v_fma_f64 v[58:59], -v[68:69], v[30:31], v[58:59]
	v_fmac_f64_e32 v[10:11], v[62:63], v[30:31]
	v_fma_f64 v[56:57], -v[76:77], v[30:31], v[56:57]
	v_fmac_f64_e32 v[12:13], v[72:73], v[30:31]
	;; [unrolled: 2-line block ×4, first 2 shown]
	s_wait_loadcnt 0x4
	v_cvt_f64_f32_e32 v[30:31], v112
	v_cvt_f64_f32_e32 v[62:63], v108
	;; [unrolled: 1-line block ×3, first 2 shown]
	s_wait_loadcnt 0x3
	v_cvt_f64_f32_e32 v[72:73], v116
	v_cvt_f64_f32_e32 v[76:77], v117
	s_wait_loadcnt 0x2
	v_cvt_f64_f32_e32 v[80:81], v120
	v_cvt_f64_f32_e32 v[84:85], v121
	v_fmac_f64_e32 v[58:59], v[28:29], v[32:33]
	v_fmac_f64_e32 v[10:11], v[60:61], v[32:33]
	;; [unrolled: 1-line block ×8, first 2 shown]
	v_cvt_f64_f32_e32 v[32:33], v113
	v_fma_f64 v[58:59], -v[60:61], v[34:35], v[58:59]
	v_fmac_f64_e32 v[10:11], v[28:29], v[34:35]
	v_fma_f64 v[28:29], -v[66:67], v[34:35], v[56:57]
	v_fmac_f64_e32 v[12:13], v[64:65], v[34:35]
	;; [unrolled: 2-line block ×4, first 2 shown]
	v_cvt_f64_f32_e32 v[34:35], v114
	v_cvt_f64_f32_e32 v[56:57], v110
	;; [unrolled: 1-line block ×7, first 2 shown]
	s_wait_loadcnt 0x1
	v_fmac_f64_e32 v[58:59], v[30:31], v[44:45]
	v_fmac_f64_e32 v[10:11], v[32:33], v[44:45]
	;; [unrolled: 1-line block ×8, first 2 shown]
	v_cvt_f64_f32_e32 v[44:45], v115
	v_fma_f64 v[32:33], -v[32:33], v[46:47], v[58:59]
	v_fmac_f64_e32 v[10:11], v[30:31], v[46:47]
	v_fma_f64 v[28:29], -v[68:69], v[46:47], v[28:29]
	v_fmac_f64_e32 v[12:13], v[62:63], v[46:47]
	;; [unrolled: 2-line block ×4, first 2 shown]
	s_wait_loadcnt 0x0
	v_fmac_f64_e32 v[32:33], v[34:35], v[48:49]
	v_fmac_f64_e32 v[10:11], v[44:45], v[48:49]
	;; [unrolled: 1-line block ×8, first 2 shown]
	v_fma_f64 v[30:31], -v[44:45], v[50:51], v[32:33]
	v_fmac_f64_e32 v[10:11], v[34:35], v[50:51]
	v_fma_f64 v[32:33], -v[60:61], v[50:51], v[28:29]
	v_fmac_f64_e32 v[12:13], v[56:57], v[50:51]
	;; [unrolled: 2-line block ×4, first 2 shown]
	s_and_not1_b32 exec_lo, exec_lo, s7
	s_cbranch_execnz .LBB178_21
; %bb.22:
	s_or_b32 exec_lo, exec_lo, s7
.LBB178_23:
	s_delay_alu instid0(SALU_CYCLE_1)
	s_or_b32 exec_lo, exec_lo, s6
.LBB178_24:
	s_delay_alu instid0(SALU_CYCLE_1)
	s_or_b32 exec_lo, exec_lo, s3
	s_cbranch_execz .LBB178_26
	s_branch .LBB178_37
.LBB178_25:
                                        ; implicit-def: $vgpr10_vgpr11
                                        ; implicit-def: $vgpr30_vgpr31
                                        ; implicit-def: $vgpr12_vgpr13
                                        ; implicit-def: $vgpr32_vgpr33
                                        ; implicit-def: $vgpr14_vgpr15
                                        ; implicit-def: $vgpr34_vgpr35
                                        ; implicit-def: $vgpr16_vgpr17
                                        ; implicit-def: $vgpr28_vgpr29
.LBB178_26:
	v_mov_b64_e32 v[10:11], 0
	v_mov_b64_e32 v[30:31], 0
	;; [unrolled: 1-line block ×8, first 2 shown]
	s_and_saveexec_b32 s3, s2
	s_cbranch_execz .LBB178_36
; %bb.27:
	v_dual_mov_b32 v11, v1 :: v_dual_bitop2_b32 v10, 32, v0 bitop3:0x54
	v_sub_nc_u64_e32 v[12:13], v[18:19], v[0:1]
	v_not_b32_e32 v15, v37
	v_not_b32_e32 v14, v36
	v_mov_b64_e32 v[28:29], 0
	v_sub_nc_u64_e32 v[10:11], v[10:11], v[18:19]
	v_mov_b64_e32 v[16:17], 0
	v_mov_b64_e32 v[34:35], 0
	v_add_nc_u64_e32 v[12:13], v[12:13], v[14:15]
	v_mov_b64_e32 v[14:15], 0
	v_mov_b64_e32 v[32:33], 0
	;; [unrolled: 1-line block ×3, first 2 shown]
	v_add_nc_u64_e32 v[10:11], v[10:11], v[36:37]
	v_mov_b32_e32 v39, 0
	s_mov_b32 s2, exec_lo
	s_delay_alu instid0(VALU_DEP_2) | instskip(NEXT) | instid1(VALU_DEP_1)
	v_max_i64 v[10:11], v[10:11], v[22:23]
	v_add_nc_u64_e32 v[36:37], v[12:13], v[10:11]
	v_mov_b64_e32 v[12:13], 0
	v_mov_b64_e32 v[10:11], 0
	s_delay_alu instid0(VALU_DEP_3) | instskip(NEXT) | instid1(VALU_DEP_1)
	v_and_b32_e32 v38, 0x60, v36
	v_cmpx_ne_u64_e32 0x60, v[38:39]
	s_cbranch_execz .LBB178_31
; %bb.28:
	v_lshrrev_b32_e32 v1, 5, v36
	v_mov_b64_e32 v[10:11], 0
	v_mov_b64_e32 v[30:31], 0
	;; [unrolled: 1-line block ×4, first 2 shown]
	v_add_nc_u32_e32 v1, 1, v1
	v_mov_b64_e32 v[14:15], 0
	v_mov_b64_e32 v[34:35], 0
	;; [unrolled: 1-line block ×4, first 2 shown]
	v_and_b32_e32 v38, 3, v1
	v_lshl_add_u64 v[40:41], v[20:21], 3, s[8:9]
	s_mov_b32 s6, 0
	s_delay_alu instid0(VALU_DEP_2)
	v_sub_nc_u64_e32 v[38:39], 0, v[38:39]
.LBB178_29:                             ; =>This Inner Loop Header: Depth=1
	global_load_b64 v[50:51], v[40:41], off
	s_clause 0x1
	global_load_b128 v[42:45], v[24:25], off
	global_load_b128 v[46:49], v[24:25], off offset:16
	v_add_nc_u64_e32 v[38:39], 1, v[38:39]
	v_add_nc_u64_e32 v[20:21], 32, v[20:21]
	s_wait_xcnt 0x2
	v_add_nc_u64_e32 v[40:41], 0x100, v[40:41]
	s_delay_alu instid0(VALU_DEP_3)
	v_cmp_eq_u64_e32 vcc_lo, 0, v[38:39]
	s_or_b32 s6, vcc_lo, s6
	s_wait_loadcnt 0x2
	v_sub_nc_u64_e32 v[50:51], v[50:51], v[18:19]
	s_wait_loadcnt 0x1
	v_cvt_f64_f32_e32 v[92:93], v44
	v_cvt_f64_f32_e32 v[44:45], v45
	s_wait_loadcnt 0x0
	v_cvt_f64_f32_e32 v[94:95], v46
	v_cvt_f64_f32_e32 v[46:47], v47
	;; [unrolled: 1-line block ×4, first 2 shown]
	v_lshlrev_b64_e32 v[50:51], 6, v[50:51]
	s_wait_kmcnt 0x0
	s_delay_alu instid0(VALU_DEP_1)
	v_add_nc_u64_e32 v[90:91], s[4:5], v[50:51]
	global_load_b128 v[50:53], v[90:91], off
	s_clause 0x1
	global_load_b128 v[54:57], v[24:25], off offset:32
	global_load_b128 v[58:61], v[24:25], off offset:48
	global_load_b128 v[62:65], v[90:91], off offset:16
	s_clause 0x1
	global_load_b128 v[66:69], v[24:25], off offset:64
	global_load_b128 v[70:73], v[24:25], off offset:80
	global_load_b128 v[74:77], v[90:91], off offset:32
	;; [unrolled: 4-line block ×3, first 2 shown]
	s_wait_xcnt 0x0
	v_cvt_f64_f32_e32 v[90:91], v42
	v_cvt_f64_f32_e32 v[42:43], v43
	v_add_nc_u64_e32 v[24:25], 0x1000, v[24:25]
	s_wait_loadcnt 0x9
	s_delay_alu instid0(VALU_DEP_3) | instskip(NEXT) | instid1(VALU_DEP_3)
	v_fmac_f64_e32 v[30:31], v[90:91], v[50:51]
	v_fmac_f64_e32 v[10:11], v[42:43], v[50:51]
	;; [unrolled: 1-line block ×8, first 2 shown]
	s_wait_loadcnt 0x8
	v_cvt_f64_f32_e32 v[50:51], v54
	v_cvt_f64_f32_e32 v[54:55], v55
	;; [unrolled: 1-line block ×4, first 2 shown]
	s_wait_loadcnt 0x7
	v_cvt_f64_f32_e32 v[100:101], v58
	v_cvt_f64_f32_e32 v[58:59], v59
	;; [unrolled: 1-line block ×4, first 2 shown]
	v_fma_f64 v[30:31], -v[42:43], v[52:53], v[30:31]
	v_fmac_f64_e32 v[10:11], v[90:91], v[52:53]
	v_fma_f64 v[32:33], -v[44:45], v[52:53], v[32:33]
	v_fmac_f64_e32 v[12:13], v[92:93], v[52:53]
	;; [unrolled: 2-line block ×4, first 2 shown]
	s_wait_loadcnt 0x5
	v_cvt_f64_f32_e32 v[42:43], v66
	v_cvt_f64_f32_e32 v[44:45], v67
	v_cvt_f64_f32_e32 v[46:47], v68
	v_cvt_f64_f32_e32 v[48:49], v69
	s_wait_loadcnt 0x4
	v_cvt_f64_f32_e32 v[52:53], v70
	v_cvt_f64_f32_e32 v[66:67], v72
	v_cvt_f64_f32_e32 v[68:69], v73
	s_wait_loadcnt 0x1
	v_cvt_f64_f32_e32 v[72:73], v85
	v_fmac_f64_e32 v[30:31], v[50:51], v[62:63]
	v_fmac_f64_e32 v[10:11], v[54:55], v[62:63]
	;; [unrolled: 1-line block ×8, first 2 shown]
	v_cvt_f64_f32_e32 v[62:63], v71
	v_cvt_f64_f32_e32 v[70:71], v84
	v_fma_f64 v[30:31], -v[54:55], v[64:65], v[30:31]
	v_fmac_f64_e32 v[10:11], v[50:51], v[64:65]
	v_fma_f64 v[32:33], -v[56:57], v[64:65], v[32:33]
	v_fmac_f64_e32 v[12:13], v[98:99], v[64:65]
	;; [unrolled: 2-line block ×4, first 2 shown]
	v_cvt_f64_f32_e32 v[50:51], v78
	v_cvt_f64_f32_e32 v[54:55], v79
	;; [unrolled: 1-line block ×6, first 2 shown]
	v_fmac_f64_e32 v[30:31], v[42:43], v[74:75]
	v_fmac_f64_e32 v[10:11], v[44:45], v[74:75]
	;; [unrolled: 1-line block ×8, first 2 shown]
	v_fma_f64 v[30:31], -v[44:45], v[76:77], v[30:31]
	v_fmac_f64_e32 v[10:11], v[42:43], v[76:77]
	v_fma_f64 v[32:33], -v[48:49], v[76:77], v[32:33]
	v_fmac_f64_e32 v[12:13], v[46:47], v[76:77]
	;; [unrolled: 2-line block ×4, first 2 shown]
	s_wait_loadcnt 0x0
	v_fmac_f64_e32 v[30:31], v[50:51], v[86:87]
	v_fmac_f64_e32 v[10:11], v[54:55], v[86:87]
	;; [unrolled: 1-line block ×8, first 2 shown]
	v_fma_f64 v[30:31], -v[54:55], v[88:89], v[30:31]
	v_fmac_f64_e32 v[10:11], v[50:51], v[88:89]
	v_fma_f64 v[32:33], -v[58:59], v[88:89], v[32:33]
	v_fmac_f64_e32 v[12:13], v[56:57], v[88:89]
	;; [unrolled: 2-line block ×4, first 2 shown]
	s_and_not1_b32 exec_lo, exec_lo, s6
	s_cbranch_execnz .LBB178_29
; %bb.30:
	s_or_b32 exec_lo, exec_lo, s6
.LBB178_31:
	s_delay_alu instid0(SALU_CYCLE_1) | instskip(NEXT) | instid1(SALU_CYCLE_1)
	s_or_b32 exec_lo, exec_lo, s2
	s_mov_b32 s2, exec_lo
	v_cmpx_lt_u64_e32 0x5f, v[36:37]
	s_cbranch_execz .LBB178_35
; %bb.32:
	v_lshl_add_u64 v[36:37], v[20:21], 3, s[8:9]
	s_mov_b32 s6, 0
	s_delay_alu instid0(VALU_DEP_1)
	v_add_nc_u64_e32 v[36:37], 0x200, v[36:37]
.LBB178_33:                             ; =>This Inner Loop Header: Depth=1
	s_clause 0x1
	global_load_b64 v[46:47], v[36:37], off offset:-512
	global_load_b64 v[94:95], v[36:37], off offset:-256
	s_clause 0x1
	global_load_b128 v[38:41], v[24:25], off
	global_load_b128 v[42:45], v[24:25], off offset:16
	s_clause 0x1
	global_load_b64 v[110:111], v[36:37], off
	global_load_b64 v[112:113], v[36:37], off offset:256
	v_add_nc_u64_e32 v[20:21], 0x80, v[20:21]
	s_wait_xcnt 0x0
	v_add_nc_u64_e32 v[36:37], 0x400, v[36:37]
	s_delay_alu instid0(VALU_DEP_2)
	v_cmp_ge_i64_e32 vcc_lo, v[20:21], v[22:23]
	s_or_b32 s6, vcc_lo, s6
	s_wait_loadcnt 0x5
	v_sub_nc_u64_e32 v[46:47], v[46:47], v[18:19]
	s_wait_loadcnt 0x4
	v_sub_nc_u64_e32 v[94:95], v[94:95], v[18:19]
	s_wait_loadcnt 0x3
	v_cvt_f64_f32_e32 v[116:117], v38
	v_cvt_f64_f32_e32 v[118:119], v39
	v_cvt_f64_f32_e32 v[120:121], v40
	v_cvt_f64_f32_e32 v[122:123], v41
	s_wait_loadcnt 0x2
	v_cvt_f64_f32_e32 v[124:125], v42
	v_lshlrev_b64_e32 v[46:47], 6, v[46:47]
	v_lshlrev_b64_e32 v[94:95], 6, v[94:95]
	v_cvt_f64_f32_e32 v[126:127], v43
	v_cvt_f64_f32_e32 v[128:129], v44
	;; [unrolled: 1-line block ×3, first 2 shown]
	s_wait_kmcnt 0x0
	v_add_nc_u64_e32 v[96:97], s[4:5], v[46:47]
	v_add_nc_u64_e32 v[114:115], s[4:5], v[94:95]
	global_load_b128 v[46:49], v[96:97], off
	s_clause 0x1
	global_load_b128 v[50:53], v[24:25], off offset:32
	global_load_b128 v[54:57], v[24:25], off offset:48
	global_load_b128 v[58:61], v[96:97], off offset:16
	s_clause 0x1
	global_load_b128 v[62:65], v[24:25], off offset:64
	global_load_b128 v[66:69], v[24:25], off offset:80
	global_load_b128 v[70:73], v[96:97], off offset:32
	;; [unrolled: 4-line block ×3, first 2 shown]
	s_clause 0x1
	global_load_b128 v[86:89], v[24:25], off offset:4096
	global_load_b128 v[90:93], v[24:25], off offset:4112
	global_load_b128 v[94:97], v[114:115], off
	s_clause 0x1
	global_load_b128 v[98:101], v[24:25], off offset:4128
	global_load_b128 v[102:105], v[24:25], off offset:4144
	global_load_b128 v[38:41], v[114:115], off offset:16
	s_clause 0x1
	global_load_b128 v[42:45], v[24:25], off offset:4160
	global_load_b128 v[106:109], v[24:25], off offset:4176
	s_wait_loadcnt 0x11
	v_fmac_f64_e32 v[30:31], v[116:117], v[46:47]
	v_fmac_f64_e32 v[10:11], v[118:119], v[46:47]
	;; [unrolled: 1-line block ×8, first 2 shown]
	s_wait_loadcnt 0x10
	v_cvt_f64_f32_e32 v[132:133], v50
	v_cvt_f64_f32_e32 v[50:51], v51
	;; [unrolled: 1-line block ×4, first 2 shown]
	s_wait_loadcnt 0xf
	v_cvt_f64_f32_e32 v[136:137], v54
	v_cvt_f64_f32_e32 v[54:55], v55
	;; [unrolled: 1-line block ×4, first 2 shown]
	s_wait_loadcnt 0x0
	v_cvt_f64_f32_e32 v[140:141], v108
	v_cvt_f64_f32_e32 v[108:109], v109
	v_fma_f64 v[118:119], -v[118:119], v[48:49], v[30:31]
	v_fmac_f64_e32 v[10:11], v[116:117], v[48:49]
	v_fma_f64 v[116:117], -v[122:123], v[48:49], v[32:33]
	v_fmac_f64_e32 v[12:13], v[120:121], v[48:49]
	;; [unrolled: 2-line block ×4, first 2 shown]
	global_load_b128 v[28:31], v[114:115], off offset:32
	s_clause 0x1
	global_load_b128 v[32:35], v[24:25], off offset:4192
	global_load_b128 v[46:49], v[24:25], off offset:4208
	v_cvt_f64_f32_e32 v[124:125], v62
	v_cvt_f64_f32_e32 v[62:63], v63
	;; [unrolled: 1-line block ×8, first 2 shown]
	v_fmac_f64_e32 v[118:119], v[132:133], v[58:59]
	v_fmac_f64_e32 v[10:11], v[50:51], v[58:59]
	;; [unrolled: 1-line block ×8, first 2 shown]
	v_fma_f64 v[118:119], -v[50:51], v[60:61], v[118:119]
	v_fmac_f64_e32 v[10:11], v[132:133], v[60:61]
	v_fma_f64 v[116:117], -v[52:53], v[60:61], v[116:117]
	v_fmac_f64_e32 v[12:13], v[134:135], v[60:61]
	;; [unrolled: 2-line block ×4, first 2 shown]
	global_load_b128 v[50:53], v[114:115], off offset:48
	s_clause 0x1
	global_load_b128 v[54:57], v[24:25], off offset:8192
	global_load_b128 v[58:61], v[24:25], off offset:8208
	s_wait_xcnt 0x2
	v_cvt_f64_f32_e32 v[114:115], v74
	v_cvt_f64_f32_e32 v[74:75], v75
	;; [unrolled: 1-line block ×10, first 2 shown]
	v_fmac_f64_e32 v[118:119], v[124:125], v[70:71]
	v_fmac_f64_e32 v[10:11], v[62:63], v[70:71]
	;; [unrolled: 1-line block ×8, first 2 shown]
	v_fma_f64 v[118:119], -v[62:63], v[72:73], v[118:119]
	v_fmac_f64_e32 v[10:11], v[124:125], v[72:73]
	v_fma_f64 v[116:117], -v[64:65], v[72:73], v[116:117]
	v_fmac_f64_e32 v[12:13], v[126:127], v[72:73]
	;; [unrolled: 2-line block ×4, first 2 shown]
	v_sub_nc_u64_e32 v[62:63], v[110:111], v[18:19]
	v_cvt_f64_f32_e32 v[124:125], v86
	v_cvt_f64_f32_e32 v[86:87], v87
	;; [unrolled: 1-line block ×6, first 2 shown]
	v_lshlrev_b64_e32 v[62:63], 6, v[62:63]
	v_cvt_f64_f32_e32 v[130:131], v92
	v_cvt_f64_f32_e32 v[92:93], v93
	s_delay_alu instid0(VALU_DEP_3)
	v_add_nc_u64_e32 v[110:111], s[4:5], v[62:63]
	global_load_b128 v[62:65], v[110:111], off
	s_clause 0x1
	global_load_b128 v[66:69], v[24:25], off offset:8224
	global_load_b128 v[70:73], v[24:25], off offset:8240
	v_fmac_f64_e32 v[118:119], v[114:115], v[82:83]
	v_fmac_f64_e32 v[10:11], v[74:75], v[82:83]
	;; [unrolled: 1-line block ×8, first 2 shown]
	v_fma_f64 v[118:119], -v[74:75], v[84:85], v[118:119]
	v_fmac_f64_e32 v[10:11], v[114:115], v[84:85]
	v_fma_f64 v[114:115], -v[76:77], v[84:85], v[116:117]
	v_fmac_f64_e32 v[12:13], v[132:133], v[84:85]
	;; [unrolled: 2-line block ×4, first 2 shown]
	global_load_b128 v[74:77], v[110:111], off offset:16
	s_clause 0x1
	global_load_b128 v[78:81], v[24:25], off offset:8256
	global_load_b128 v[82:85], v[24:25], off offset:8272
	v_cvt_f64_f32_e32 v[122:123], v98
	v_cvt_f64_f32_e32 v[98:99], v99
	;; [unrolled: 1-line block ×8, first 2 shown]
	v_fmac_f64_e32 v[118:119], v[124:125], v[94:95]
	v_fmac_f64_e32 v[10:11], v[86:87], v[94:95]
	;; [unrolled: 1-line block ×8, first 2 shown]
	v_fma_f64 v[118:119], -v[86:87], v[96:97], v[118:119]
	v_fmac_f64_e32 v[10:11], v[124:125], v[96:97]
	v_fma_f64 v[114:115], -v[88:89], v[96:97], v[114:115]
	v_fmac_f64_e32 v[12:13], v[126:127], v[96:97]
	;; [unrolled: 2-line block ×4, first 2 shown]
	global_load_b128 v[86:89], v[110:111], off offset:32
	s_clause 0x1
	global_load_b128 v[90:93], v[24:25], off offset:8304
	global_load_b128 v[94:97], v[24:25], off offset:8288
	v_cvt_f64_f32_e32 v[124:125], v42
	v_cvt_f64_f32_e32 v[126:127], v43
	;; [unrolled: 1-line block ×4, first 2 shown]
	v_fmac_f64_e32 v[118:119], v[122:123], v[38:39]
	v_fmac_f64_e32 v[10:11], v[98:99], v[38:39]
	v_fmac_f64_e32 v[114:115], v[132:133], v[38:39]
	v_fmac_f64_e32 v[12:13], v[100:101], v[38:39]
	v_fmac_f64_e32 v[116:117], v[134:135], v[38:39]
	v_fmac_f64_e32 v[14:15], v[102:103], v[38:39]
	v_fmac_f64_e32 v[120:121], v[136:137], v[38:39]
	v_fmac_f64_e32 v[16:17], v[104:105], v[38:39]
	v_fma_f64 v[118:119], -v[98:99], v[40:41], v[118:119]
	v_fmac_f64_e32 v[10:11], v[122:123], v[40:41]
	v_fma_f64 v[114:115], -v[100:101], v[40:41], v[114:115]
	v_fmac_f64_e32 v[12:13], v[132:133], v[40:41]
	;; [unrolled: 2-line block ×4, first 2 shown]
	global_load_b128 v[38:41], v[110:111], off offset:48
	s_clause 0x1
	global_load_b128 v[42:45], v[24:25], off offset:12304
	global_load_b128 v[98:101], v[24:25], off offset:12288
	s_wait_loadcnt 0x10
	s_wait_xcnt 0x2
	v_cvt_f64_f32_e32 v[110:111], v32
	v_cvt_f64_f32_e32 v[116:117], v33
	;; [unrolled: 1-line block ×4, first 2 shown]
	s_wait_loadcnt 0xf
	v_cvt_f64_f32_e32 v[132:133], v46
	v_cvt_f64_f32_e32 v[134:135], v47
	;; [unrolled: 1-line block ×4, first 2 shown]
	v_fmac_f64_e32 v[118:119], v[124:125], v[28:29]
	v_fmac_f64_e32 v[10:11], v[126:127], v[28:29]
	;; [unrolled: 1-line block ×8, first 2 shown]
	v_sub_nc_u64_e32 v[28:29], v[112:113], v[18:19]
	s_delay_alu instid0(VALU_DEP_1) | instskip(NEXT) | instid1(VALU_DEP_1)
	v_lshlrev_b64_e32 v[28:29], 6, v[28:29]
	v_add_nc_u64_e32 v[112:113], s[4:5], v[28:29]
	v_fma_f64 v[118:119], -v[126:127], v[30:31], v[118:119]
	v_fmac_f64_e32 v[10:11], v[124:125], v[30:31]
	v_fma_f64 v[114:115], -v[130:131], v[30:31], v[114:115]
	v_fmac_f64_e32 v[12:13], v[128:129], v[30:31]
	v_fma_f64 v[106:107], -v[106:107], v[30:31], v[102:103]
	v_fmac_f64_e32 v[14:15], v[138:139], v[30:31]
	v_fma_f64 v[108:109], -v[108:109], v[30:31], v[104:105]
	v_fmac_f64_e32 v[16:17], v[140:141], v[30:31]
	s_clause 0x1
	global_load_b128 v[28:31], v[112:113], off offset:16
	global_load_b128 v[32:35], v[112:113], off
	s_clause 0x1
	global_load_b128 v[46:49], v[24:25], off offset:12336
	global_load_b128 v[102:105], v[24:25], off offset:12320
	s_wait_loadcnt 0x11
	v_cvt_f64_f32_e32 v[124:125], v54
	v_cvt_f64_f32_e32 v[126:127], v55
	;; [unrolled: 1-line block ×4, first 2 shown]
	s_wait_loadcnt 0x10
	v_cvt_f64_f32_e32 v[138:139], v58
	v_cvt_f64_f32_e32 v[58:59], v59
	;; [unrolled: 1-line block ×4, first 2 shown]
	v_fmac_f64_e32 v[118:119], v[110:111], v[50:51]
	v_fmac_f64_e32 v[10:11], v[116:117], v[50:51]
	;; [unrolled: 1-line block ×8, first 2 shown]
	v_fma_f64 v[116:117], -v[116:117], v[52:53], v[118:119]
	v_fmac_f64_e32 v[10:11], v[110:111], v[52:53]
	v_fma_f64 v[110:111], -v[122:123], v[52:53], v[114:115]
	v_fmac_f64_e32 v[12:13], v[120:121], v[52:53]
	;; [unrolled: 2-line block ×4, first 2 shown]
	s_clause 0x1
	global_load_b128 v[50:53], v[24:25], off offset:12368
	global_load_b128 v[54:57], v[24:25], off offset:12352
	s_wait_loadcnt 0x10
	v_cvt_f64_f32_e32 v[114:115], v66
	v_cvt_f64_f32_e32 v[118:119], v67
	v_cvt_f64_f32_e32 v[120:121], v68
	v_fmac_f64_e32 v[116:117], v[124:125], v[62:63]
	v_fmac_f64_e32 v[10:11], v[126:127], v[62:63]
	v_fmac_f64_e32 v[110:111], v[128:129], v[62:63]
	v_fmac_f64_e32 v[12:13], v[130:131], v[62:63]
	v_fmac_f64_e32 v[106:107], v[138:139], v[62:63]
	v_fmac_f64_e32 v[14:15], v[58:59], v[62:63]
	v_fmac_f64_e32 v[108:109], v[140:141], v[62:63]
	v_fmac_f64_e32 v[16:17], v[60:61], v[62:63]
	v_cvt_f64_f32_e32 v[122:123], v69
	s_wait_loadcnt 0xf
	v_cvt_f64_f32_e32 v[132:133], v70
	v_cvt_f64_f32_e32 v[134:135], v71
	;; [unrolled: 1-line block ×4, first 2 shown]
	v_fma_f64 v[116:117], -v[126:127], v[64:65], v[116:117]
	v_fmac_f64_e32 v[10:11], v[124:125], v[64:65]
	v_fma_f64 v[110:111], -v[130:131], v[64:65], v[110:111]
	v_fmac_f64_e32 v[12:13], v[128:129], v[64:65]
	;; [unrolled: 2-line block ×4, first 2 shown]
	s_clause 0x1
	global_load_b128 v[58:61], v[112:113], off offset:48
	global_load_b128 v[62:65], v[112:113], off offset:32
	s_clause 0x1
	global_load_b128 v[66:69], v[24:25], off offset:12384
	global_load_b128 v[70:73], v[24:25], off offset:12400
	s_wait_loadcnt 0x11
	s_wait_xcnt 0x2
	v_cvt_f64_f32_e32 v[112:113], v80
	v_cvt_f64_f32_e32 v[80:81], v81
	s_wait_loadcnt 0x10
	v_cvt_f64_f32_e32 v[124:125], v82
	v_cvt_f64_f32_e32 v[82:83], v83
	;; [unrolled: 1-line block ×4, first 2 shown]
	s_wait_xcnt 0x0
	v_add_nc_u64_e32 v[24:25], 0x4000, v[24:25]
	v_fmac_f64_e32 v[116:117], v[114:115], v[74:75]
	v_fmac_f64_e32 v[10:11], v[118:119], v[74:75]
	;; [unrolled: 1-line block ×8, first 2 shown]
	v_cvt_f64_f32_e32 v[74:75], v78
	v_cvt_f64_f32_e32 v[78:79], v79
	v_fma_f64 v[116:117], -v[118:119], v[76:77], v[116:117]
	v_fmac_f64_e32 v[10:11], v[114:115], v[76:77]
	v_fma_f64 v[110:111], -v[122:123], v[76:77], v[110:111]
	v_fmac_f64_e32 v[12:13], v[120:121], v[76:77]
	;; [unrolled: 2-line block ×4, first 2 shown]
	s_wait_loadcnt 0xe
	v_cvt_f64_f32_e32 v[114:115], v90
	s_wait_loadcnt 0xd
	v_cvt_f64_f32_e32 v[76:77], v94
	v_cvt_f64_f32_e32 v[90:91], v91
	;; [unrolled: 1-line block ×4, first 2 shown]
	v_fmac_f64_e32 v[116:117], v[74:75], v[86:87]
	v_fmac_f64_e32 v[10:11], v[78:79], v[86:87]
	;; [unrolled: 1-line block ×8, first 2 shown]
	v_cvt_f64_f32_e32 v[86:87], v95
	v_cvt_f64_f32_e32 v[94:95], v96
	;; [unrolled: 1-line block ×3, first 2 shown]
	v_fma_f64 v[78:79], -v[78:79], v[88:89], v[116:117]
	v_fmac_f64_e32 v[10:11], v[74:75], v[88:89]
	v_fma_f64 v[74:75], -v[80:81], v[88:89], v[110:111]
	v_fmac_f64_e32 v[12:13], v[112:113], v[88:89]
	;; [unrolled: 2-line block ×4, first 2 shown]
	s_wait_loadcnt 0xb
	v_cvt_f64_f32_e32 v[106:107], v44
	s_wait_loadcnt 0xa
	v_cvt_f64_f32_e32 v[84:85], v99
	v_cvt_f64_f32_e32 v[88:89], v100
	;; [unrolled: 1-line block ×3, first 2 shown]
	v_fmac_f64_e32 v[78:79], v[76:77], v[38:39]
	v_fmac_f64_e32 v[10:11], v[86:87], v[38:39]
	;; [unrolled: 1-line block ×8, first 2 shown]
	v_cvt_f64_f32_e32 v[38:39], v98
	v_cvt_f64_f32_e32 v[98:99], v101
	;; [unrolled: 1-line block ×4, first 2 shown]
	v_fma_f64 v[78:79], -v[86:87], v[40:41], v[78:79]
	v_fmac_f64_e32 v[10:11], v[76:77], v[40:41]
	v_fma_f64 v[74:75], -v[96:97], v[40:41], v[74:75]
	v_fmac_f64_e32 v[12:13], v[94:95], v[40:41]
	;; [unrolled: 2-line block ×4, first 2 shown]
	s_wait_loadcnt 0x7
	v_cvt_f64_f32_e32 v[90:91], v46
	s_wait_loadcnt 0x6
	v_cvt_f64_f32_e32 v[40:41], v103
	v_cvt_f64_f32_e32 v[82:83], v104
	;; [unrolled: 1-line block ×6, first 2 shown]
	v_fmac_f64_e32 v[78:79], v[38:39], v[32:33]
	v_fmac_f64_e32 v[10:11], v[84:85], v[32:33]
	;; [unrolled: 1-line block ×8, first 2 shown]
	v_cvt_f64_f32_e32 v[32:33], v102
	v_fma_f64 v[78:79], -v[84:85], v[34:35], v[78:79]
	v_fmac_f64_e32 v[10:11], v[38:39], v[34:35]
	v_fma_f64 v[38:39], -v[98:99], v[34:35], v[74:75]
	v_fmac_f64_e32 v[12:13], v[88:89], v[34:35]
	;; [unrolled: 2-line block ×4, first 2 shown]
	s_wait_loadcnt 0x4
	v_cvt_f64_f32_e32 v[34:35], v55
	v_cvt_f64_f32_e32 v[74:75], v50
	;; [unrolled: 1-line block ×5, first 2 shown]
	v_fmac_f64_e32 v[78:79], v[32:33], v[28:29]
	v_fmac_f64_e32 v[10:11], v[40:41], v[28:29]
	;; [unrolled: 1-line block ×8, first 2 shown]
	v_cvt_f64_f32_e32 v[28:29], v54
	v_cvt_f64_f32_e32 v[54:55], v56
	;; [unrolled: 1-line block ×3, first 2 shown]
	v_fma_f64 v[40:41], -v[40:41], v[30:31], v[78:79]
	v_fmac_f64_e32 v[10:11], v[32:33], v[30:31]
	v_fma_f64 v[32:33], -v[86:87], v[30:31], v[38:39]
	v_fmac_f64_e32 v[12:13], v[82:83], v[30:31]
	;; [unrolled: 2-line block ×4, first 2 shown]
	s_wait_loadcnt 0x1
	v_cvt_f64_f32_e32 v[44:45], v66
	v_cvt_f64_f32_e32 v[30:31], v67
	v_cvt_f64_f32_e32 v[46:47], v68
	v_cvt_f64_f32_e32 v[48:49], v69
	s_wait_loadcnt 0x0
	v_cvt_f64_f32_e32 v[66:67], v71
	v_cvt_f64_f32_e32 v[68:69], v72
	v_fmac_f64_e32 v[40:41], v[28:29], v[62:63]
	v_fmac_f64_e32 v[10:11], v[34:35], v[62:63]
	;; [unrolled: 1-line block ×8, first 2 shown]
	v_cvt_f64_f32_e32 v[62:63], v70
	v_cvt_f64_f32_e32 v[70:71], v73
	v_fma_f64 v[34:35], -v[34:35], v[64:65], v[40:41]
	v_fmac_f64_e32 v[10:11], v[28:29], v[64:65]
	v_fma_f64 v[28:29], -v[56:57], v[64:65], v[32:33]
	v_fmac_f64_e32 v[12:13], v[54:55], v[64:65]
	;; [unrolled: 2-line block ×4, first 2 shown]
	v_fmac_f64_e32 v[34:35], v[44:45], v[58:59]
	v_fmac_f64_e32 v[10:11], v[30:31], v[58:59]
	;; [unrolled: 1-line block ×8, first 2 shown]
	v_fma_f64 v[30:31], -v[30:31], v[60:61], v[34:35]
	v_fmac_f64_e32 v[10:11], v[44:45], v[60:61]
	v_fma_f64 v[32:33], -v[48:49], v[60:61], v[28:29]
	v_fmac_f64_e32 v[12:13], v[46:47], v[60:61]
	;; [unrolled: 2-line block ×4, first 2 shown]
	s_and_not1_b32 exec_lo, exec_lo, s6
	s_cbranch_execnz .LBB178_33
; %bb.34:
	s_or_b32 exec_lo, exec_lo, s6
.LBB178_35:
	s_delay_alu instid0(SALU_CYCLE_1)
	s_or_b32 exec_lo, exec_lo, s2
.LBB178_36:
	s_delay_alu instid0(SALU_CYCLE_1)
	s_or_b32 exec_lo, exec_lo, s3
.LBB178_37:
	v_mbcnt_lo_u32_b32 v1, -1, 0
	s_delay_alu instid0(VALU_DEP_1) | instskip(NEXT) | instid1(VALU_DEP_1)
	v_xor_b32_e32 v18, 16, v1
	v_cmp_gt_i32_e32 vcc_lo, 32, v18
	v_cndmask_b32_e32 v18, v1, v18, vcc_lo
	s_delay_alu instid0(VALU_DEP_1)
	v_lshlrev_b32_e32 v43, 2, v18
	ds_bpermute_b32 v24, v43, v12
	ds_bpermute_b32 v25, v43, v13
	s_wait_dscnt 0x0
	v_add_f64_e32 v[12:13], v[12:13], v[24:25]
	ds_bpermute_b32 v18, v43, v30
	ds_bpermute_b32 v19, v43, v31
	;; [unrolled: 1-line block ×14, first 2 shown]
	s_wait_dscnt 0xc
	v_add_f64_e32 v[18:19], v[30:31], v[18:19]
	s_wait_dscnt 0xa
	v_add_f64_e32 v[10:11], v[10:11], v[20:21]
	;; [unrolled: 2-line block ×3, first 2 shown]
	s_wait_dscnt 0x4
	v_dual_add_f64 v[20:21], v[32:33], v[22:23] :: v_dual_bitop2_b32 v28, 8, v1 bitop3:0x14
	s_delay_alu instid0(VALU_DEP_1)
	v_cmp_gt_i32_e32 vcc_lo, 32, v28
	v_add_f64_e32 v[14:15], v[14:15], v[38:39]
	s_wait_dscnt 0x2
	v_add_f64_e32 v[22:23], v[34:35], v[36:37]
	v_cndmask_b32_e32 v28, v1, v28, vcc_lo
	s_wait_dscnt 0x0
	s_delay_alu instid0(VALU_DEP_1)
	v_dual_add_f64 v[16:17], v[16:17], v[42:43] :: v_dual_lshlrev_b32 v43, 2, v28
	ds_bpermute_b32 v34, v43, v12
	ds_bpermute_b32 v35, v43, v13
	;; [unrolled: 1-line block ×16, first 2 shown]
	s_wait_dscnt 0xc
	v_add_f64_e32 v[18:19], v[18:19], v[28:29]
	s_wait_dscnt 0xa
	v_dual_add_f64 v[10:11], v[10:11], v[30:31] :: v_dual_bitop2_b32 v28, 4, v1 bitop3:0x14
	s_wait_dscnt 0x8
	v_add_f64_e32 v[24:25], v[24:25], v[40:41]
	s_delay_alu instid0(VALU_DEP_2)
	v_cmp_gt_i32_e32 vcc_lo, 32, v28
	s_wait_dscnt 0x6
	v_add_f64_e32 v[20:21], v[20:21], v[32:33]
	s_wait_dscnt 0x4
	v_dual_add_f64 v[14:15], v[14:15], v[38:39] :: v_dual_cndmask_b32 v28, v1, v28, vcc_lo
	v_add_f64_e32 v[12:13], v[12:13], v[34:35]
	s_wait_dscnt 0x0
	s_delay_alu instid0(VALU_DEP_2)
	v_dual_add_f64 v[16:17], v[16:17], v[42:43] :: v_dual_lshlrev_b32 v43, 2, v28
	ds_bpermute_b32 v28, v43, v18
	ds_bpermute_b32 v29, v43, v19
	;; [unrolled: 1-line block ×12, first 2 shown]
	s_wait_dscnt 0xa
	v_add_f64_e32 v[18:19], v[18:19], v[28:29]
	s_wait_dscnt 0x8
	v_dual_add_f64 v[28:29], v[10:11], v[30:31] :: v_dual_bitop2_b32 v10, 2, v1 bitop3:0x14
	ds_bpermute_b32 v42, v43, v16
	v_cmp_gt_i32_e32 vcc_lo, 32, v10
	s_wait_dscnt 0x5
	v_add_f64_e32 v[20:21], v[20:21], v[32:33]
	v_dual_add_f64 v[22:23], v[22:23], v[36:37] :: v_dual_cndmask_b32 v10, v1, v10, vcc_lo
	s_wait_dscnt 0x1
	v_add_f64_e32 v[32:33], v[12:13], v[34:35]
	v_add_f64_e32 v[34:35], v[14:15], v[38:39]
	ds_bpermute_b32 v36, v43, v22
	ds_bpermute_b32 v37, v43, v23
	;; [unrolled: 1-line block ×3, first 2 shown]
	s_wait_dscnt 0x1
	v_add_f64_e32 v[22:23], v[22:23], v[36:37]
	v_dual_add_f64 v[36:37], v[24:25], v[40:41] :: v_dual_lshlrev_b32 v24, 2, v10
	s_wait_dscnt 0x0
	v_add_f64_e32 v[38:39], v[16:17], v[42:43]
	ds_bpermute_b32 v12, v24, v28
	ds_bpermute_b32 v13, v24, v29
	ds_bpermute_b32 v14, v24, v20
	ds_bpermute_b32 v15, v24, v21
	ds_bpermute_b32 v42, v24, v34
	ds_bpermute_b32 v43, v24, v35
	s_wait_dscnt 0x4
	v_add_f64_e32 v[30:31], v[28:29], v[12:13]
	s_wait_dscnt 0x2
	v_add_f64_e32 v[12:13], v[20:21], v[14:15]
	ds_bpermute_b32 v40, v24, v22
	ds_bpermute_b32 v41, v24, v23
	;; [unrolled: 1-line block ×6, first 2 shown]
	s_wait_dscnt 0x6
	v_add_f64_e32 v[20:21], v[34:35], v[42:43]
	s_wait_dscnt 0x4
	v_add_f64_e32 v[14:15], v[22:23], v[40:41]
	v_xor_b32_e32 v22, 1, v1
	s_delay_alu instid0(VALU_DEP_1)
	v_cmp_gt_i32_e32 vcc_lo, 32, v22
	v_cndmask_b32_e32 v1, v1, v22, vcc_lo
	ds_bpermute_b32 v10, v24, v18
	ds_bpermute_b32 v11, v24, v19
	v_cmp_eq_u32_e32 vcc_lo, 31, v0
	v_lshlrev_b32_e32 v1, 2, v1
	ds_bpermute_b32 v16, v24, v32
	ds_bpermute_b32 v17, v24, v33
	;; [unrolled: 1-line block ×6, first 2 shown]
	s_wait_dscnt 0x6
	v_add_f64_e32 v[10:11], v[18:19], v[10:11]
	v_add_f64_e32 v[18:19], v[38:39], v[46:47]
	ds_bpermute_b32 v38, v1, v20
	ds_bpermute_b32 v39, v1, v21
	s_wait_dscnt 0x6
	v_add_f64_e32 v[24:25], v[32:33], v[16:17]
	v_add_f64_e32 v[16:17], v[36:37], v[44:45]
	ds_bpermute_b32 v32, v1, v14
	ds_bpermute_b32 v33, v1, v15
	;; [unrolled: 1-line block ×10, first 2 shown]
	s_and_b32 exec_lo, exec_lo, vcc_lo
	s_cbranch_execz .LBB178_8
; %bb.38:
	s_wait_dscnt 0xe
	v_add_f64_e32 v[0:1], v[30:31], v[42:43]
	s_wait_dscnt 0x2
	v_add_f64_e32 v[30:31], v[24:25], v[40:41]
	v_add_f64_e32 v[38:39], v[20:21], v[38:39]
	;; [unrolled: 1-line block ×6, first 2 shown]
	s_wait_dscnt 0x0
	v_add_f64_e32 v[34:35], v[16:17], v[34:35]
	v_cmp_eq_f64_e32 vcc_lo, 0, v[2:3]
	v_cmp_eq_f64_e64 s2, 0, v[4:5]
	s_load_b64 s[0:1], s[0:1], 0x68
	v_mul_f64_e64 v[22:23], v[0:1], -v[8:9]
	v_mul_f64_e32 v[24:25], v[6:7], v[0:1]
	v_mul_f64_e64 v[18:19], v[30:31], -v[8:9]
	v_mul_f64_e32 v[20:21], v[6:7], v[30:31]
	;; [unrolled: 2-line block ×4, first 2 shown]
	v_lshlrev_b64_e32 v[0:1], 6, v[26:27]
	s_and_b32 s2, vcc_lo, s2
	v_fmac_f64_e32 v[22:23], v[6:7], v[40:41]
	v_fmac_f64_e32 v[24:25], v[8:9], v[40:41]
	;; [unrolled: 1-line block ×8, first 2 shown]
	s_and_saveexec_b32 s3, s2
	s_delay_alu instid0(SALU_CYCLE_1)
	s_xor_b32 s2, exec_lo, s3
	s_cbranch_execz .LBB178_40
; %bb.39:
	s_wait_kmcnt 0x0
	v_add_nc_u64_e32 v[0:1], s[0:1], v[0:1]
                                        ; implicit-def: $vgpr4_vgpr5
	s_clause 0x3
	global_store_b128 v[0:1], v[22:25], off
	global_store_b128 v[0:1], v[18:21], off offset:16
	global_store_b128 v[0:1], v[14:17], off offset:32
	;; [unrolled: 1-line block ×3, first 2 shown]
                                        ; implicit-def: $vgpr22_vgpr23
                                        ; implicit-def: $vgpr0_vgpr1
                                        ; implicit-def: $vgpr18_vgpr19
                                        ; implicit-def: $vgpr14_vgpr15
                                        ; implicit-def: $vgpr10_vgpr11
.LBB178_40:
	s_wait_xcnt 0x0
	s_and_not1_saveexec_b32 s2, s2
	s_cbranch_execz .LBB178_8
; %bb.41:
	s_wait_kmcnt 0x0
	v_add_nc_u64_e32 v[0:1], s[0:1], v[0:1]
	s_clause 0x3
	global_load_b128 v[6:9], v[0:1], off
	global_load_b128 v[26:29], v[0:1], off offset:16
	global_load_b128 v[30:33], v[0:1], off offset:32
	;; [unrolled: 1-line block ×3, first 2 shown]
	s_wait_loadcnt 0x3
	v_fmac_f64_e32 v[22:23], v[2:3], v[6:7]
	v_fmac_f64_e32 v[24:25], v[4:5], v[6:7]
	s_wait_loadcnt 0x2
	v_fmac_f64_e32 v[18:19], v[2:3], v[26:27]
	v_fmac_f64_e32 v[20:21], v[4:5], v[26:27]
	;; [unrolled: 3-line block ×4, first 2 shown]
	v_fma_f64 v[22:23], -v[4:5], v[8:9], v[22:23]
	v_fmac_f64_e32 v[24:25], v[2:3], v[8:9]
	v_fma_f64 v[18:19], -v[4:5], v[28:29], v[18:19]
	v_fmac_f64_e32 v[20:21], v[2:3], v[28:29]
	;; [unrolled: 2-line block ×4, first 2 shown]
	s_clause 0x3
	global_store_b128 v[0:1], v[22:25], off
	global_store_b128 v[0:1], v[18:21], off offset:16
	global_store_b128 v[0:1], v[14:17], off offset:32
	;; [unrolled: 1-line block ×3, first 2 shown]
	s_sendmsg sendmsg(MSG_DEALLOC_VGPRS)
	s_endpgm
	.section	.rodata,"a",@progbits
	.p2align	6, 0x0
	.amdhsa_kernel _ZN9rocsparseL18bsrxmvn_4x4_kernelILj128ELj32E21rocsparse_complex_numIdEllS1_IfES2_S2_EEvT3_20rocsparse_direction_NS_24const_host_device_scalarIT1_EES4_PKS4_PKT2_SD_SA_PKT4_PKT5_S8_PT6_21rocsparse_index_base_b
		.amdhsa_group_segment_fixed_size 0
		.amdhsa_private_segment_fixed_size 0
		.amdhsa_kernarg_size 120
		.amdhsa_user_sgpr_count 2
		.amdhsa_user_sgpr_dispatch_ptr 0
		.amdhsa_user_sgpr_queue_ptr 0
		.amdhsa_user_sgpr_kernarg_segment_ptr 1
		.amdhsa_user_sgpr_dispatch_id 0
		.amdhsa_user_sgpr_kernarg_preload_length 0
		.amdhsa_user_sgpr_kernarg_preload_offset 0
		.amdhsa_user_sgpr_private_segment_size 0
		.amdhsa_wavefront_size32 1
		.amdhsa_uses_dynamic_stack 0
		.amdhsa_enable_private_segment 0
		.amdhsa_system_sgpr_workgroup_id_x 1
		.amdhsa_system_sgpr_workgroup_id_y 0
		.amdhsa_system_sgpr_workgroup_id_z 0
		.amdhsa_system_sgpr_workgroup_info 0
		.amdhsa_system_vgpr_workitem_id 0
		.amdhsa_next_free_vgpr 152
		.amdhsa_next_free_sgpr 12
		.amdhsa_named_barrier_count 0
		.amdhsa_reserve_vcc 1
		.amdhsa_float_round_mode_32 0
		.amdhsa_float_round_mode_16_64 0
		.amdhsa_float_denorm_mode_32 3
		.amdhsa_float_denorm_mode_16_64 3
		.amdhsa_fp16_overflow 0
		.amdhsa_memory_ordered 1
		.amdhsa_forward_progress 1
		.amdhsa_inst_pref_size 75
		.amdhsa_round_robin_scheduling 0
		.amdhsa_exception_fp_ieee_invalid_op 0
		.amdhsa_exception_fp_denorm_src 0
		.amdhsa_exception_fp_ieee_div_zero 0
		.amdhsa_exception_fp_ieee_overflow 0
		.amdhsa_exception_fp_ieee_underflow 0
		.amdhsa_exception_fp_ieee_inexact 0
		.amdhsa_exception_int_div_zero 0
	.end_amdhsa_kernel
	.section	.text._ZN9rocsparseL18bsrxmvn_4x4_kernelILj128ELj32E21rocsparse_complex_numIdEllS1_IfES2_S2_EEvT3_20rocsparse_direction_NS_24const_host_device_scalarIT1_EES4_PKS4_PKT2_SD_SA_PKT4_PKT5_S8_PT6_21rocsparse_index_base_b,"axG",@progbits,_ZN9rocsparseL18bsrxmvn_4x4_kernelILj128ELj32E21rocsparse_complex_numIdEllS1_IfES2_S2_EEvT3_20rocsparse_direction_NS_24const_host_device_scalarIT1_EES4_PKS4_PKT2_SD_SA_PKT4_PKT5_S8_PT6_21rocsparse_index_base_b,comdat
.Lfunc_end178:
	.size	_ZN9rocsparseL18bsrxmvn_4x4_kernelILj128ELj32E21rocsparse_complex_numIdEllS1_IfES2_S2_EEvT3_20rocsparse_direction_NS_24const_host_device_scalarIT1_EES4_PKS4_PKT2_SD_SA_PKT4_PKT5_S8_PT6_21rocsparse_index_base_b, .Lfunc_end178-_ZN9rocsparseL18bsrxmvn_4x4_kernelILj128ELj32E21rocsparse_complex_numIdEllS1_IfES2_S2_EEvT3_20rocsparse_direction_NS_24const_host_device_scalarIT1_EES4_PKS4_PKT2_SD_SA_PKT4_PKT5_S8_PT6_21rocsparse_index_base_b
                                        ; -- End function
	.set _ZN9rocsparseL18bsrxmvn_4x4_kernelILj128ELj32E21rocsparse_complex_numIdEllS1_IfES2_S2_EEvT3_20rocsparse_direction_NS_24const_host_device_scalarIT1_EES4_PKS4_PKT2_SD_SA_PKT4_PKT5_S8_PT6_21rocsparse_index_base_b.num_vgpr, 152
	.set _ZN9rocsparseL18bsrxmvn_4x4_kernelILj128ELj32E21rocsparse_complex_numIdEllS1_IfES2_S2_EEvT3_20rocsparse_direction_NS_24const_host_device_scalarIT1_EES4_PKS4_PKT2_SD_SA_PKT4_PKT5_S8_PT6_21rocsparse_index_base_b.num_agpr, 0
	.set _ZN9rocsparseL18bsrxmvn_4x4_kernelILj128ELj32E21rocsparse_complex_numIdEllS1_IfES2_S2_EEvT3_20rocsparse_direction_NS_24const_host_device_scalarIT1_EES4_PKS4_PKT2_SD_SA_PKT4_PKT5_S8_PT6_21rocsparse_index_base_b.numbered_sgpr, 12
	.set _ZN9rocsparseL18bsrxmvn_4x4_kernelILj128ELj32E21rocsparse_complex_numIdEllS1_IfES2_S2_EEvT3_20rocsparse_direction_NS_24const_host_device_scalarIT1_EES4_PKS4_PKT2_SD_SA_PKT4_PKT5_S8_PT6_21rocsparse_index_base_b.num_named_barrier, 0
	.set _ZN9rocsparseL18bsrxmvn_4x4_kernelILj128ELj32E21rocsparse_complex_numIdEllS1_IfES2_S2_EEvT3_20rocsparse_direction_NS_24const_host_device_scalarIT1_EES4_PKS4_PKT2_SD_SA_PKT4_PKT5_S8_PT6_21rocsparse_index_base_b.private_seg_size, 0
	.set _ZN9rocsparseL18bsrxmvn_4x4_kernelILj128ELj32E21rocsparse_complex_numIdEllS1_IfES2_S2_EEvT3_20rocsparse_direction_NS_24const_host_device_scalarIT1_EES4_PKS4_PKT2_SD_SA_PKT4_PKT5_S8_PT6_21rocsparse_index_base_b.uses_vcc, 1
	.set _ZN9rocsparseL18bsrxmvn_4x4_kernelILj128ELj32E21rocsparse_complex_numIdEllS1_IfES2_S2_EEvT3_20rocsparse_direction_NS_24const_host_device_scalarIT1_EES4_PKS4_PKT2_SD_SA_PKT4_PKT5_S8_PT6_21rocsparse_index_base_b.uses_flat_scratch, 0
	.set _ZN9rocsparseL18bsrxmvn_4x4_kernelILj128ELj32E21rocsparse_complex_numIdEllS1_IfES2_S2_EEvT3_20rocsparse_direction_NS_24const_host_device_scalarIT1_EES4_PKS4_PKT2_SD_SA_PKT4_PKT5_S8_PT6_21rocsparse_index_base_b.has_dyn_sized_stack, 0
	.set _ZN9rocsparseL18bsrxmvn_4x4_kernelILj128ELj32E21rocsparse_complex_numIdEllS1_IfES2_S2_EEvT3_20rocsparse_direction_NS_24const_host_device_scalarIT1_EES4_PKS4_PKT2_SD_SA_PKT4_PKT5_S8_PT6_21rocsparse_index_base_b.has_recursion, 0
	.set _ZN9rocsparseL18bsrxmvn_4x4_kernelILj128ELj32E21rocsparse_complex_numIdEllS1_IfES2_S2_EEvT3_20rocsparse_direction_NS_24const_host_device_scalarIT1_EES4_PKS4_PKT2_SD_SA_PKT4_PKT5_S8_PT6_21rocsparse_index_base_b.has_indirect_call, 0
	.section	.AMDGPU.csdata,"",@progbits
; Kernel info:
; codeLenInByte = 9592
; TotalNumSgprs: 14
; NumVgprs: 152
; ScratchSize: 0
; MemoryBound: 0
; FloatMode: 240
; IeeeMode: 1
; LDSByteSize: 0 bytes/workgroup (compile time only)
; SGPRBlocks: 0
; VGPRBlocks: 9
; NumSGPRsForWavesPerEU: 14
; NumVGPRsForWavesPerEU: 152
; NamedBarCnt: 0
; Occupancy: 6
; WaveLimiterHint : 1
; COMPUTE_PGM_RSRC2:SCRATCH_EN: 0
; COMPUTE_PGM_RSRC2:USER_SGPR: 2
; COMPUTE_PGM_RSRC2:TRAP_HANDLER: 0
; COMPUTE_PGM_RSRC2:TGID_X_EN: 1
; COMPUTE_PGM_RSRC2:TGID_Y_EN: 0
; COMPUTE_PGM_RSRC2:TGID_Z_EN: 0
; COMPUTE_PGM_RSRC2:TIDIG_COMP_CNT: 0
	.section	.text._ZN9rocsparseL18bsrxmvn_4x4_kernelILj128ELj64E21rocsparse_complex_numIdEllS1_IfES2_S2_EEvT3_20rocsparse_direction_NS_24const_host_device_scalarIT1_EES4_PKS4_PKT2_SD_SA_PKT4_PKT5_S8_PT6_21rocsparse_index_base_b,"axG",@progbits,_ZN9rocsparseL18bsrxmvn_4x4_kernelILj128ELj64E21rocsparse_complex_numIdEllS1_IfES2_S2_EEvT3_20rocsparse_direction_NS_24const_host_device_scalarIT1_EES4_PKS4_PKT2_SD_SA_PKT4_PKT5_S8_PT6_21rocsparse_index_base_b,comdat
	.globl	_ZN9rocsparseL18bsrxmvn_4x4_kernelILj128ELj64E21rocsparse_complex_numIdEllS1_IfES2_S2_EEvT3_20rocsparse_direction_NS_24const_host_device_scalarIT1_EES4_PKS4_PKT2_SD_SA_PKT4_PKT5_S8_PT6_21rocsparse_index_base_b ; -- Begin function _ZN9rocsparseL18bsrxmvn_4x4_kernelILj128ELj64E21rocsparse_complex_numIdEllS1_IfES2_S2_EEvT3_20rocsparse_direction_NS_24const_host_device_scalarIT1_EES4_PKS4_PKT2_SD_SA_PKT4_PKT5_S8_PT6_21rocsparse_index_base_b
	.p2align	8
	.type	_ZN9rocsparseL18bsrxmvn_4x4_kernelILj128ELj64E21rocsparse_complex_numIdEllS1_IfES2_S2_EEvT3_20rocsparse_direction_NS_24const_host_device_scalarIT1_EES4_PKS4_PKT2_SD_SA_PKT4_PKT5_S8_PT6_21rocsparse_index_base_b,@function
_ZN9rocsparseL18bsrxmvn_4x4_kernelILj128ELj64E21rocsparse_complex_numIdEllS1_IfES2_S2_EEvT3_20rocsparse_direction_NS_24const_host_device_scalarIT1_EES4_PKS4_PKT2_SD_SA_PKT4_PKT5_S8_PT6_21rocsparse_index_base_b: ; @_ZN9rocsparseL18bsrxmvn_4x4_kernelILj128ELj64E21rocsparse_complex_numIdEllS1_IfES2_S2_EEvT3_20rocsparse_direction_NS_24const_host_device_scalarIT1_EES4_PKS4_PKT2_SD_SA_PKT4_PKT5_S8_PT6_21rocsparse_index_base_b
; %bb.0:
	s_clause 0x1
	s_load_b64 s[4:5], s[0:1], 0x70
	s_load_b64 s[2:3], s[0:1], 0x10
	v_mov_b32_e32 v1, 0
	s_add_nc_u64 s[6:7], s[0:1], 16
	s_load_b64 s[8:9], s[0:1], 0x58
	s_wait_kmcnt 0x0
	s_bitcmp1_b32 s5, 0
	s_cselect_b32 s3, s7, s3
	s_cselect_b32 s2, s6, s2
	flat_load_b128 v[6:9], v1, s[2:3]
	s_wait_xcnt 0x0
	s_add_nc_u64 s[2:3], s[0:1], 0x58
	s_delay_alu instid0(SALU_CYCLE_1)
	s_cselect_b32 s3, s3, s9
	s_cselect_b32 s2, s2, s8
	flat_load_b128 v[2:5], v1, s[2:3]
	s_wait_loadcnt_dscnt 0x101
	v_cmp_eq_f64_e32 vcc_lo, 0, v[6:7]
	s_wait_xcnt 0x0
	v_cmp_eq_f64_e64 s2, 0, v[8:9]
	s_and_b32 s5, vcc_lo, s2
	s_mov_b32 s2, -1
	s_and_saveexec_b32 s3, s5
	s_cbranch_execz .LBB179_2
; %bb.1:
	s_wait_loadcnt_dscnt 0x0
	v_cmp_neq_f64_e32 vcc_lo, 1.0, v[2:3]
	v_cmp_neq_f64_e64 s2, 0, v[4:5]
	s_or_b32 s2, vcc_lo, s2
	s_delay_alu instid0(SALU_CYCLE_1)
	s_or_not1_b32 s2, s2, exec_lo
.LBB179_2:
	s_or_b32 exec_lo, exec_lo, s3
	s_and_saveexec_b32 s3, s2
	s_cbranch_execz .LBB179_8
; %bb.3:
	s_load_b64 s[2:3], s[0:1], 0x28
	s_bfe_u32 s5, ttmp6, 0x4000c
	s_and_b32 s6, ttmp6, 15
	s_add_co_i32 s5, s5, 1
	s_getreg_b32 s7, hwreg(HW_REG_IB_STS2, 6, 4)
	s_mul_i32 s5, ttmp9, s5
	v_dual_lshrrev_b32 v1, 6, v0 :: v_dual_mov_b32 v11, 0
	s_add_co_i32 s6, s6, s5
	s_cmp_eq_u32 s7, 0
	s_cselect_b32 s5, ttmp9, s6
	s_mov_b32 s6, 0
	v_lshl_or_b32 v10, s5, 1, v1
	s_wait_kmcnt 0x0
	s_cmp_lg_u64 s[2:3], 0
	s_cbranch_scc0 .LBB179_9
; %bb.4:
	s_load_b64 s[6:7], s[0:1], 0x20
                                        ; implicit-def: $vgpr26_vgpr27
                                        ; implicit-def: $vgpr18_vgpr19
	s_wait_kmcnt 0x0
	v_cmp_gt_i64_e32 vcc_lo, s[6:7], v[10:11]
	s_mov_b32 s7, 0
	s_mov_b32 s6, 0
	s_and_saveexec_b32 s5, vcc_lo
	s_delay_alu instid0(SALU_CYCLE_1)
	s_xor_b32 s8, exec_lo, s5
	s_cbranch_execz .LBB179_6
; %bb.5:
	v_lshl_add_u64 v[12:13], v[10:11], 3, s[2:3]
	s_mov_b32 s5, 0
	s_mov_b32 s6, exec_lo
	v_mov_b64_e32 v[18:19], s[4:5]
	global_load_b64 v[12:13], v[12:13], off
	s_wait_loadcnt 0x0
	v_sub_nc_u64_e64 v[26:27], v[12:13], s[4:5]
.LBB179_6:
	s_or_b32 exec_lo, exec_lo, s8
	s_delay_alu instid0(SALU_CYCLE_1)
	s_and_b32 vcc_lo, exec_lo, s7
	s_cbranch_vccnz .LBB179_10
.LBB179_7:
	s_and_b32 exec_lo, exec_lo, s6
	s_cbranch_execnz .LBB179_13
.LBB179_8:
	s_sendmsg sendmsg(MSG_DEALLOC_VGPRS)
	s_endpgm
.LBB179_9:
                                        ; implicit-def: $vgpr26_vgpr27
                                        ; implicit-def: $vgpr18_vgpr19
	s_cbranch_execz .LBB179_7
.LBB179_10:
	s_load_b64 s[2:3], s[0:1], 0x0
	s_wait_kmcnt 0x0
	v_cmp_gt_i64_e32 vcc_lo, s[2:3], v[10:11]
	s_and_saveexec_b32 s2, vcc_lo
; %bb.11:
	s_mov_b32 s5, 0
	s_or_b32 s6, s6, exec_lo
; %bb.12:
	s_or_b32 exec_lo, exec_lo, s2
	v_mov_b64_e32 v[18:19], s[4:5]
	v_mov_b64_e32 v[26:27], v[10:11]
	s_and_b32 exec_lo, exec_lo, s6
	s_cbranch_execz .LBB179_8
.LBB179_13:
	s_load_b256 s[4:11], s[0:1], 0x30
	s_delay_alu instid0(VALU_DEP_1) | instskip(SKIP_3) | instid1(VALU_DEP_2)
	v_lshlrev_b64_e32 v[10:11], 3, v[26:27]
	v_dual_mov_b32 v1, 0 :: v_dual_bitop2_b32 v0, 63, v0 bitop3:0x40
	s_load_b32 s3, s[0:1], 0x8
	s_wait_kmcnt 0x0
	v_add_nc_u64_e32 v[12:13], s[4:5], v[10:11]
	v_add_nc_u64_e32 v[10:11], s[6:7], v[10:11]
	s_cmp_eq_u64 s[6:7], 0
	s_load_b64 s[4:5], s[0:1], 0x50
	s_cselect_b32 vcc_lo, -1, 0
	s_cmp_eq_u32 s3, 1
	global_load_b64 v[36:37], v[12:13], off
	s_wait_xcnt 0x0
	v_add_nc_u64_e32 v[12:13], 8, v[12:13]
	s_delay_alu instid0(VALU_DEP_1) | instskip(SKIP_3) | instid1(VALU_DEP_1)
	v_dual_cndmask_b32 v11, v11, v13 :: v_dual_cndmask_b32 v10, v10, v12
	global_load_b64 v[10:11], v[10:11], off
	s_wait_loadcnt 0x1
	v_sub_nc_u64_e32 v[12:13], v[36:37], v[18:19]
	v_add_nc_u64_e32 v[20:21], v[12:13], v[0:1]
	s_wait_loadcnt 0x0
	v_sub_nc_u64_e32 v[22:23], v[10:11], v[18:19]
	s_delay_alu instid0(VALU_DEP_2) | instskip(NEXT) | instid1(VALU_DEP_2)
	v_lshlrev_b64_e32 v[12:13], 7, v[20:21]
	v_cmp_lt_i64_e64 s2, v[20:21], v[22:23]
	s_delay_alu instid0(VALU_DEP_2)
	v_add_nc_u64_e32 v[24:25], s[10:11], v[12:13]
	s_cbranch_scc1 .LBB179_25
; %bb.14:
	v_mov_b64_e32 v[10:11], 0
	v_mov_b64_e32 v[30:31], 0
	;; [unrolled: 1-line block ×8, first 2 shown]
	s_and_saveexec_b32 s3, s2
	s_cbranch_execz .LBB179_24
; %bb.15:
	v_dual_mov_b32 v11, v1 :: v_dual_bitop2_b32 v10, 64, v0 bitop3:0x54
	v_sub_nc_u64_e32 v[12:13], v[18:19], v[0:1]
	v_not_b32_e32 v15, v37
	v_not_b32_e32 v14, v36
	v_mov_b64_e32 v[28:29], 0
	v_sub_nc_u64_e32 v[10:11], v[10:11], v[18:19]
	v_mov_b64_e32 v[16:17], 0
	v_mov_b64_e32 v[34:35], 0
	v_add_nc_u64_e32 v[12:13], v[12:13], v[14:15]
	v_mov_b64_e32 v[14:15], 0
	v_mov_b64_e32 v[32:33], 0
	v_mov_b64_e32 v[30:31], 0
	v_add_nc_u64_e32 v[10:11], v[10:11], v[36:37]
	v_mov_b64_e32 v[38:39], v[24:25]
	v_mov_b64_e32 v[40:41], v[20:21]
	v_mov_b32_e32 v47, 0
	s_mov_b32 s6, exec_lo
	s_delay_alu instid0(VALU_DEP_4) | instskip(NEXT) | instid1(VALU_DEP_1)
	v_max_i64 v[10:11], v[10:11], v[22:23]
	v_add_nc_u64_e32 v[42:43], v[12:13], v[10:11]
	v_mov_b64_e32 v[12:13], 0
	v_mov_b64_e32 v[10:11], 0
	s_delay_alu instid0(VALU_DEP_3) | instskip(NEXT) | instid1(VALU_DEP_1)
	v_and_b32_e32 v46, 0xc0, v42
	v_cmpx_ne_u64_e32 0xc0, v[46:47]
	s_cbranch_execz .LBB179_19
; %bb.16:
	v_lshrrev_b32_e32 v10, 6, v42
	v_mov_b64_e32 v[30:31], 0
	v_mov_b64_e32 v[12:13], 0
	;; [unrolled: 1-line block ×4, first 2 shown]
	v_add_nc_u32_e32 v14, 1, v10
	v_mov_b64_e32 v[10:11], 0
	v_mov_b64_e32 v[16:17], 0
	;; [unrolled: 1-line block ×4, first 2 shown]
	v_and_b32_e32 v46, 3, v14
	v_mov_b64_e32 v[14:15], 0
	v_mov_b64_e32 v[38:39], v[24:25]
	v_lshl_add_u64 v[44:45], v[20:21], 3, s[8:9]
	s_mov_b32 s7, 0
	v_sub_nc_u64_e32 v[46:47], 0, v[46:47]
.LBB179_17:                             ; =>This Inner Loop Header: Depth=1
	global_load_b64 v[68:69], v[44:45], off
	s_clause 0x4
	global_load_b128 v[48:51], v[38:39], off
	global_load_b128 v[52:55], v[38:39], off offset:32
	global_load_b128 v[56:59], v[38:39], off offset:64
	;; [unrolled: 1-line block ×4, first 2 shown]
	v_add_nc_u64_e32 v[46:47], 1, v[46:47]
	v_add_nc_u64_e32 v[40:41], 64, v[40:41]
	s_wait_xcnt 0x5
	v_add_nc_u64_e32 v[44:45], 0x200, v[44:45]
	s_delay_alu instid0(VALU_DEP_3)
	v_cmp_eq_u64_e32 vcc_lo, 0, v[46:47]
	s_or_b32 s7, vcc_lo, s7
	s_wait_loadcnt 0x5
	v_sub_nc_u64_e32 v[68:69], v[68:69], v[18:19]
	s_wait_loadcnt 0x3
	v_cvt_f64_f32_e32 v[98:99], v52
	v_cvt_f64_f32_e32 v[52:53], v53
	s_wait_loadcnt 0x2
	v_cvt_f64_f32_e32 v[100:101], v56
	v_cvt_f64_f32_e32 v[56:57], v57
	s_wait_loadcnt 0x1
	v_cvt_f64_f32_e32 v[102:103], v60
	v_lshlrev_b64_e32 v[68:69], 6, v[68:69]
	v_cvt_f64_f32_e32 v[60:61], v61
	v_cvt_f64_f32_e32 v[104:105], v54
	;; [unrolled: 1-line block ×6, first 2 shown]
	s_wait_kmcnt 0x0
	v_add_nc_u64_e32 v[96:97], s[4:5], v[68:69]
	v_cvt_f64_f32_e32 v[62:63], v63
	s_clause 0x1
	global_load_b128 v[68:71], v[96:97], off
	global_load_b128 v[72:75], v[96:97], off offset:16
	s_clause 0x2
	global_load_b128 v[76:79], v[38:39], off offset:16
	global_load_b128 v[80:83], v[38:39], off offset:80
	global_load_b128 v[84:87], v[38:39], off offset:112
	s_clause 0x1
	global_load_b128 v[88:91], v[96:97], off offset:32
	global_load_b128 v[92:95], v[96:97], off offset:48
	s_wait_xcnt 0x0
	v_cvt_f64_f32_e32 v[96:97], v48
	v_cvt_f64_f32_e32 v[48:49], v49
	v_add_nc_u64_e32 v[38:39], 0x2000, v[38:39]
	s_wait_loadcnt 0x6
	s_delay_alu instid0(VALU_DEP_3) | instskip(NEXT) | instid1(VALU_DEP_3)
	v_fmac_f64_e32 v[30:31], v[96:97], v[68:69]
	v_fmac_f64_e32 v[10:11], v[48:49], v[68:69]
	;; [unrolled: 1-line block ×8, first 2 shown]
	v_cvt_f64_f32_e32 v[68:69], v50
	v_cvt_f64_f32_e32 v[50:51], v51
	v_fma_f64 v[30:31], -v[48:49], v[70:71], v[30:31]
	v_fmac_f64_e32 v[10:11], v[96:97], v[70:71]
	v_fma_f64 v[32:33], -v[52:53], v[70:71], v[32:33]
	v_fmac_f64_e32 v[12:13], v[98:99], v[70:71]
	;; [unrolled: 2-line block ×4, first 2 shown]
	s_wait_loadcnt 0x4
	v_cvt_f64_f32_e32 v[48:49], v76
	v_cvt_f64_f32_e32 v[52:53], v77
	;; [unrolled: 1-line block ×4, first 2 shown]
	s_wait_loadcnt 0x3
	v_cvt_f64_f32_e32 v[64:65], v80
	v_cvt_f64_f32_e32 v[70:71], v81
	s_wait_loadcnt 0x2
	v_cvt_f64_f32_e32 v[76:77], v85
	v_fmac_f64_e32 v[30:31], v[68:69], v[72:73]
	v_fmac_f64_e32 v[10:11], v[50:51], v[72:73]
	;; [unrolled: 1-line block ×8, first 2 shown]
	v_cvt_f64_f32_e32 v[72:73], v84
	v_fma_f64 v[30:31], -v[50:51], v[74:75], v[30:31]
	v_fmac_f64_e32 v[10:11], v[68:69], v[74:75]
	v_fma_f64 v[32:33], -v[54:55], v[74:75], v[32:33]
	v_fmac_f64_e32 v[12:13], v[104:105], v[74:75]
	;; [unrolled: 2-line block ×4, first 2 shown]
	v_cvt_f64_f32_e32 v[50:51], v78
	v_cvt_f64_f32_e32 v[54:55], v79
	;; [unrolled: 1-line block ×8, first 2 shown]
	s_wait_loadcnt 0x1
	v_fmac_f64_e32 v[30:31], v[48:49], v[88:89]
	v_fmac_f64_e32 v[10:11], v[52:53], v[88:89]
	;; [unrolled: 1-line block ×8, first 2 shown]
	v_fma_f64 v[30:31], -v[52:53], v[90:91], v[30:31]
	v_fmac_f64_e32 v[10:11], v[48:49], v[90:91]
	v_fma_f64 v[32:33], -v[60:61], v[90:91], v[32:33]
	v_fmac_f64_e32 v[12:13], v[56:57], v[90:91]
	;; [unrolled: 2-line block ×4, first 2 shown]
	s_wait_loadcnt 0x0
	v_fmac_f64_e32 v[30:31], v[50:51], v[92:93]
	v_fmac_f64_e32 v[10:11], v[54:55], v[92:93]
	;; [unrolled: 1-line block ×8, first 2 shown]
	v_fma_f64 v[30:31], -v[54:55], v[94:95], v[30:31]
	v_fmac_f64_e32 v[10:11], v[50:51], v[94:95]
	v_fma_f64 v[32:33], -v[62:63], v[94:95], v[32:33]
	v_fmac_f64_e32 v[12:13], v[58:59], v[94:95]
	;; [unrolled: 2-line block ×4, first 2 shown]
	s_and_not1_b32 exec_lo, exec_lo, s7
	s_cbranch_execnz .LBB179_17
; %bb.18:
	s_or_b32 exec_lo, exec_lo, s7
.LBB179_19:
	s_delay_alu instid0(SALU_CYCLE_1) | instskip(NEXT) | instid1(SALU_CYCLE_1)
	s_or_b32 exec_lo, exec_lo, s6
	s_mov_b32 s6, exec_lo
	v_cmpx_lt_u64_e32 0xbf, v[42:43]
	s_cbranch_execz .LBB179_23
; %bb.20:
	v_lshl_add_u64 v[42:43], v[40:41], 3, s[8:9]
	s_mov_b32 s7, 0
	s_delay_alu instid0(VALU_DEP_1)
	v_add_nc_u64_e32 v[42:43], 0x400, v[42:43]
.LBB179_21:                             ; =>This Inner Loop Header: Depth=1
	s_clause 0x1
	global_load_b64 v[60:61], v[42:43], off offset:-1024
	global_load_b64 v[108:109], v[42:43], off offset:-512
	s_clause 0x3
	global_load_b128 v[44:47], v[38:39], off
	global_load_b128 v[48:51], v[38:39], off offset:32
	global_load_b128 v[52:55], v[38:39], off offset:64
	;; [unrolled: 1-line block ×3, first 2 shown]
	s_clause 0x1
	global_load_b64 v[132:133], v[42:43], off
	global_load_b64 v[134:135], v[42:43], off offset:512
	v_add_nc_u64_e32 v[40:41], 0x100, v[40:41]
	s_wait_xcnt 0x0
	v_add_nc_u64_e32 v[42:43], 0x800, v[42:43]
	s_delay_alu instid0(VALU_DEP_2)
	v_cmp_ge_i64_e32 vcc_lo, v[40:41], v[22:23]
	s_or_b32 s7, vcc_lo, s7
	s_wait_loadcnt 0x7
	v_sub_nc_u64_e32 v[60:61], v[60:61], v[18:19]
	s_wait_loadcnt 0x6
	v_sub_nc_u64_e32 v[108:109], v[108:109], v[18:19]
	s_wait_loadcnt 0x5
	v_cvt_f64_f32_e32 v[138:139], v44
	v_cvt_f64_f32_e32 v[44:45], v45
	s_wait_loadcnt 0x4
	v_cvt_f64_f32_e32 v[140:141], v48
	v_cvt_f64_f32_e32 v[48:49], v49
	s_wait_loadcnt 0x3
	v_cvt_f64_f32_e32 v[142:143], v52
	v_lshlrev_b64_e32 v[60:61], 6, v[60:61]
	v_lshlrev_b64_e32 v[108:109], 6, v[108:109]
	v_cvt_f64_f32_e32 v[52:53], v53
	s_wait_loadcnt 0x2
	v_cvt_f64_f32_e32 v[144:145], v56
	v_cvt_f64_f32_e32 v[56:57], v57
	v_cvt_f64_f32_e32 v[146:147], v50
	v_cvt_f64_f32_e32 v[50:51], v51
	s_wait_kmcnt 0x0
	v_add_nc_u64_e32 v[110:111], s[4:5], v[60:61]
	v_add_nc_u64_e32 v[136:137], s[4:5], v[108:109]
	v_cvt_f64_f32_e32 v[148:149], v54
	v_cvt_f64_f32_e32 v[54:55], v55
	;; [unrolled: 1-line block ×4, first 2 shown]
	s_clause 0x1
	global_load_b128 v[60:63], v[110:111], off
	global_load_b128 v[64:67], v[110:111], off offset:16
	s_clause 0x3
	global_load_b128 v[68:71], v[38:39], off offset:16
	global_load_b128 v[72:75], v[38:39], off offset:48
	;; [unrolled: 1-line block ×4, first 2 shown]
	s_clause 0x1
	global_load_b128 v[84:87], v[110:111], off offset:32
	global_load_b128 v[88:91], v[110:111], off offset:48
	s_clause 0x3
	global_load_b128 v[92:95], v[38:39], off offset:8192
	global_load_b128 v[96:99], v[38:39], off offset:8224
	;; [unrolled: 1-line block ×4, first 2 shown]
	s_clause 0x1
	global_load_b128 v[108:111], v[136:137], off
	global_load_b128 v[112:115], v[136:137], off offset:16
	s_clause 0x3
	global_load_b128 v[116:119], v[38:39], off offset:8240
	global_load_b128 v[120:123], v[38:39], off offset:8208
	global_load_b128 v[124:127], v[38:39], off offset:8272
	global_load_b128 v[128:131], v[38:39], off offset:8304
	s_wait_loadcnt 0x11
	v_fmac_f64_e32 v[30:31], v[138:139], v[60:61]
	v_fmac_f64_e32 v[10:11], v[44:45], v[60:61]
	;; [unrolled: 1-line block ×8, first 2 shown]
	v_cvt_f64_f32_e32 v[60:61], v46
	v_cvt_f64_f32_e32 v[46:47], v47
	v_fma_f64 v[44:45], -v[44:45], v[62:63], v[30:31]
	v_fmac_f64_e32 v[10:11], v[138:139], v[62:63]
	v_fma_f64 v[32:33], -v[48:49], v[62:63], v[32:33]
	v_fmac_f64_e32 v[12:13], v[140:141], v[62:63]
	;; [unrolled: 2-line block ×4, first 2 shown]
	global_load_b128 v[28:31], v[136:137], off offset:32
	s_wait_loadcnt 0x10
	v_cvt_f64_f32_e32 v[62:63], v68
	s_wait_loadcnt 0xe
	v_cvt_f64_f32_e32 v[138:139], v76
	v_cvt_f64_f32_e32 v[76:77], v77
	s_wait_loadcnt 0xd
	v_cvt_f64_f32_e32 v[140:141], v80
	v_cvt_f64_f32_e32 v[80:81], v81
	v_fmac_f64_e32 v[44:45], v[60:61], v[64:65]
	v_fmac_f64_e32 v[10:11], v[46:47], v[64:65]
	;; [unrolled: 1-line block ×8, first 2 shown]
	v_cvt_f64_f32_e32 v[64:65], v69
	v_cvt_f64_f32_e32 v[68:69], v72
	;; [unrolled: 1-line block ×3, first 2 shown]
	v_fma_f64 v[142:143], -v[46:47], v[66:67], v[44:45]
	v_fmac_f64_e32 v[10:11], v[60:61], v[66:67]
	v_fma_f64 v[60:61], -v[50:51], v[66:67], v[32:33]
	v_fmac_f64_e32 v[12:13], v[146:147], v[66:67]
	;; [unrolled: 2-line block ×4, first 2 shown]
	global_load_b128 v[32:35], v[136:137], off offset:48
	s_clause 0x3
	global_load_b128 v[44:47], v[38:39], off offset:16416
	global_load_b128 v[48:51], v[38:39], off offset:16384
	;; [unrolled: 1-line block ×4, first 2 shown]
	v_cvt_f64_f32_e32 v[66:67], v70
	v_cvt_f64_f32_e32 v[70:71], v71
	s_wait_xcnt 0x4
	v_cvt_f64_f32_e32 v[136:137], v78
	v_cvt_f64_f32_e32 v[78:79], v79
	;; [unrolled: 1-line block ×4, first 2 shown]
	s_wait_loadcnt 0x11
	v_fmac_f64_e32 v[142:143], v[62:63], v[84:85]
	v_fmac_f64_e32 v[10:11], v[64:65], v[84:85]
	;; [unrolled: 1-line block ×8, first 2 shown]
	v_cvt_f64_f32_e32 v[84:85], v74
	v_cvt_f64_f32_e32 v[74:75], v75
	v_fma_f64 v[64:65], -v[64:65], v[86:87], v[142:143]
	v_fmac_f64_e32 v[10:11], v[62:63], v[86:87]
	v_fma_f64 v[72:73], -v[72:73], v[86:87], v[60:61]
	v_fmac_f64_e32 v[12:13], v[68:69], v[86:87]
	;; [unrolled: 2-line block ×4, first 2 shown]
	v_sub_nc_u64_e32 v[60:61], v[132:133], v[18:19]
	s_wait_loadcnt 0xf
	v_cvt_f64_f32_e32 v[86:87], v92
	s_wait_loadcnt 0xd
	v_cvt_f64_f32_e32 v[138:139], v100
	v_cvt_f64_f32_e32 v[100:101], v101
	s_wait_loadcnt 0xc
	v_cvt_f64_f32_e32 v[140:141], v104
	v_cvt_f64_f32_e32 v[104:105], v105
	;; [unrolled: 1-line block ×3, first 2 shown]
	v_lshlrev_b64_e32 v[60:61], 6, v[60:61]
	v_cvt_f64_f32_e32 v[102:103], v103
	s_delay_alu instid0(VALU_DEP_2)
	v_add_nc_u64_e32 v[132:133], s[4:5], v[60:61]
	global_load_b128 v[60:63], v[132:133], off
	v_fmac_f64_e32 v[64:65], v[66:67], v[88:89]
	v_fmac_f64_e32 v[10:11], v[70:71], v[88:89]
	;; [unrolled: 1-line block ×8, first 2 shown]
	v_cvt_f64_f32_e32 v[88:89], v93
	v_cvt_f64_f32_e32 v[92:93], v96
	;; [unrolled: 1-line block ×3, first 2 shown]
	v_fma_f64 v[142:143], -v[70:71], v[90:91], v[64:65]
	v_fmac_f64_e32 v[10:11], v[66:67], v[90:91]
	v_fma_f64 v[144:145], -v[74:75], v[90:91], v[72:73]
	v_fmac_f64_e32 v[12:13], v[84:85], v[90:91]
	;; [unrolled: 2-line block ×4, first 2 shown]
	global_load_b128 v[64:67], v[132:133], off offset:16
	s_clause 0x3
	global_load_b128 v[68:71], v[38:39], off offset:16432
	global_load_b128 v[72:75], v[38:39], off offset:16400
	;; [unrolled: 1-line block ×4, first 2 shown]
	v_cvt_f64_f32_e32 v[90:91], v94
	v_cvt_f64_f32_e32 v[94:95], v95
	;; [unrolled: 1-line block ×4, first 2 shown]
	s_wait_loadcnt 0x11
	v_fmac_f64_e32 v[142:143], v[86:87], v[108:109]
	v_fmac_f64_e32 v[10:11], v[88:89], v[108:109]
	;; [unrolled: 1-line block ×8, first 2 shown]
	v_cvt_f64_f32_e32 v[108:109], v98
	v_cvt_f64_f32_e32 v[98:99], v99
	v_fma_f64 v[88:89], -v[88:89], v[110:111], v[142:143]
	v_fmac_f64_e32 v[10:11], v[86:87], v[110:111]
	v_fma_f64 v[96:97], -v[96:97], v[110:111], v[144:145]
	v_fmac_f64_e32 v[12:13], v[92:93], v[110:111]
	;; [unrolled: 2-line block ×4, first 2 shown]
	global_load_b128 v[84:87], v[132:133], off offset:32
	s_wait_loadcnt 0xf
	v_cvt_f64_f32_e32 v[110:111], v120
	s_wait_loadcnt 0xe
	v_cvt_f64_f32_e32 v[136:137], v124
	v_cvt_f64_f32_e32 v[124:125], v125
	s_wait_loadcnt 0xd
	v_cvt_f64_f32_e32 v[138:139], v128
	v_cvt_f64_f32_e32 v[128:129], v129
	v_fmac_f64_e32 v[88:89], v[90:91], v[112:113]
	v_fmac_f64_e32 v[10:11], v[94:95], v[112:113]
	;; [unrolled: 1-line block ×8, first 2 shown]
	v_cvt_f64_f32_e32 v[112:113], v121
	v_cvt_f64_f32_e32 v[120:121], v116
	;; [unrolled: 1-line block ×3, first 2 shown]
	v_fma_f64 v[140:141], -v[94:95], v[114:115], v[88:89]
	v_fmac_f64_e32 v[10:11], v[90:91], v[114:115]
	v_fma_f64 v[142:143], -v[98:99], v[114:115], v[96:97]
	v_fmac_f64_e32 v[12:13], v[108:109], v[114:115]
	;; [unrolled: 2-line block ×4, first 2 shown]
	global_load_b128 v[88:91], v[132:133], off offset:48
	s_clause 0x3
	global_load_b128 v[92:95], v[38:39], off offset:24608
	global_load_b128 v[96:99], v[38:39], off offset:24576
	;; [unrolled: 1-line block ×4, first 2 shown]
	v_cvt_f64_f32_e32 v[114:115], v122
	v_cvt_f64_f32_e32 v[122:123], v123
	s_wait_xcnt 0x4
	v_cvt_f64_f32_e32 v[132:133], v118
	v_cvt_f64_f32_e32 v[118:119], v119
	;; [unrolled: 1-line block ×6, first 2 shown]
	s_wait_loadcnt 0x11
	v_fmac_f64_e32 v[140:141], v[110:111], v[28:29]
	v_fmac_f64_e32 v[10:11], v[112:113], v[28:29]
	;; [unrolled: 1-line block ×8, first 2 shown]
	v_sub_nc_u64_e32 v[28:29], v[134:135], v[18:19]
	s_delay_alu instid0(VALU_DEP_1)
	v_lshlrev_b64_e32 v[28:29], 6, v[28:29]
	v_fma_f64 v[112:113], -v[112:113], v[30:31], v[140:141]
	v_fmac_f64_e32 v[10:11], v[110:111], v[30:31]
	v_fma_f64 v[110:111], -v[116:117], v[30:31], v[142:143]
	v_fmac_f64_e32 v[12:13], v[120:121], v[30:31]
	v_fma_f64 v[108:109], -v[124:125], v[30:31], v[108:109]
	v_fmac_f64_e32 v[14:15], v[136:137], v[30:31]
	v_fma_f64 v[116:117], -v[128:129], v[30:31], v[144:145]
	v_fmac_f64_e32 v[16:17], v[138:139], v[30:31]
	v_add_nc_u64_e32 v[124:125], s[4:5], v[28:29]
	s_wait_loadcnt 0xe
	v_cvt_f64_f32_e32 v[128:129], v48
	v_cvt_f64_f32_e32 v[48:49], v49
	;; [unrolled: 1-line block ×4, first 2 shown]
	s_wait_loadcnt 0xd
	v_cvt_f64_f32_e32 v[136:137], v52
	v_cvt_f64_f32_e32 v[52:53], v53
	global_load_b128 v[28:31], v[124:125], off
	s_wait_loadcnt 0xd
	v_cvt_f64_f32_e32 v[138:139], v56
	v_cvt_f64_f32_e32 v[56:57], v57
	;; [unrolled: 1-line block ×3, first 2 shown]
	v_fmac_f64_e32 v[112:113], v[114:115], v[32:33]
	v_fmac_f64_e32 v[10:11], v[122:123], v[32:33]
	;; [unrolled: 1-line block ×8, first 2 shown]
	v_fma_f64 v[140:141], -v[122:123], v[34:35], v[112:113]
	v_fmac_f64_e32 v[10:11], v[114:115], v[34:35]
	v_fma_f64 v[142:143], -v[118:119], v[34:35], v[110:111]
	v_fmac_f64_e32 v[12:13], v[132:133], v[34:35]
	v_fma_f64 v[126:127], -v[126:127], v[34:35], v[108:109]
	v_fmac_f64_e32 v[14:15], v[146:147], v[34:35]
	v_fma_f64 v[130:131], -v[130:131], v[34:35], v[116:117]
	v_fmac_f64_e32 v[16:17], v[148:149], v[34:35]
	global_load_b128 v[32:35], v[124:125], off offset:16
	s_clause 0x3
	global_load_b128 v[108:111], v[38:39], off offset:24624
	global_load_b128 v[112:115], v[38:39], off offset:24592
	;; [unrolled: 1-line block ×4, first 2 shown]
	v_cvt_f64_f32_e32 v[132:133], v46
	v_cvt_f64_f32_e32 v[146:147], v54
	;; [unrolled: 1-line block ×5, first 2 shown]
	s_wait_xcnt 0x0
	v_add_nc_u64_e32 v[38:39], 0x8000, v[38:39]
	s_wait_loadcnt 0x11
	v_fmac_f64_e32 v[140:141], v[128:129], v[60:61]
	v_fmac_f64_e32 v[10:11], v[48:49], v[60:61]
	;; [unrolled: 1-line block ×8, first 2 shown]
	v_cvt_f64_f32_e32 v[60:61], v50
	v_cvt_f64_f32_e32 v[50:51], v51
	v_fma_f64 v[48:49], -v[48:49], v[62:63], v[140:141]
	v_fmac_f64_e32 v[10:11], v[128:129], v[62:63]
	v_fma_f64 v[128:129], -v[44:45], v[62:63], v[142:143]
	v_fmac_f64_e32 v[12:13], v[134:135], v[62:63]
	;; [unrolled: 2-line block ×4, first 2 shown]
	global_load_b128 v[44:47], v[124:125], off offset:32
	s_wait_loadcnt 0xf
	v_cvt_f64_f32_e32 v[62:63], v72
	s_wait_loadcnt 0xe
	v_cvt_f64_f32_e32 v[126:127], v76
	v_cvt_f64_f32_e32 v[76:77], v77
	s_wait_loadcnt 0xd
	v_cvt_f64_f32_e32 v[130:131], v80
	v_cvt_f64_f32_e32 v[80:81], v81
	v_fmac_f64_e32 v[48:49], v[60:61], v[64:65]
	v_fmac_f64_e32 v[10:11], v[50:51], v[64:65]
	;; [unrolled: 1-line block ×8, first 2 shown]
	v_cvt_f64_f32_e32 v[64:65], v73
	v_cvt_f64_f32_e32 v[72:73], v68
	;; [unrolled: 1-line block ×3, first 2 shown]
	v_fma_f64 v[134:135], -v[50:51], v[66:67], v[48:49]
	v_fmac_f64_e32 v[10:11], v[60:61], v[66:67]
	v_fma_f64 v[60:61], -v[144:145], v[66:67], v[128:129]
	v_fmac_f64_e32 v[12:13], v[132:133], v[66:67]
	;; [unrolled: 2-line block ×4, first 2 shown]
	global_load_b128 v[48:51], v[124:125], off offset:48
	v_cvt_f64_f32_e32 v[56:57], v74
	v_cvt_f64_f32_e32 v[58:59], v75
	;; [unrolled: 1-line block ×6, first 2 shown]
	s_wait_loadcnt 0xd
	v_fmac_f64_e32 v[134:135], v[62:63], v[84:85]
	v_fmac_f64_e32 v[10:11], v[64:65], v[84:85]
	;; [unrolled: 1-line block ×8, first 2 shown]
	v_cvt_f64_f32_e32 v[84:85], v82
	v_cvt_f64_f32_e32 v[82:83], v83
	v_fma_f64 v[64:65], -v[64:65], v[86:87], v[134:135]
	v_fmac_f64_e32 v[10:11], v[62:63], v[86:87]
	v_fma_f64 v[60:61], -v[68:69], v[86:87], v[60:61]
	v_fmac_f64_e32 v[12:13], v[72:73], v[86:87]
	;; [unrolled: 2-line block ×4, first 2 shown]
	s_wait_loadcnt 0xa
	v_cvt_f64_f32_e32 v[62:63], v96
	v_cvt_f64_f32_e32 v[68:69], v97
	;; [unrolled: 1-line block ×4, first 2 shown]
	s_wait_loadcnt 0x9
	v_cvt_f64_f32_e32 v[80:81], v100
	v_cvt_f64_f32_e32 v[86:87], v101
	s_wait_loadcnt 0x8
	v_cvt_f64_f32_e32 v[92:93], v105
	v_fmac_f64_e32 v[64:65], v[56:57], v[88:89]
	v_fmac_f64_e32 v[10:11], v[58:59], v[88:89]
	;; [unrolled: 1-line block ×8, first 2 shown]
	v_cvt_f64_f32_e32 v[88:89], v104
	v_fma_f64 v[58:59], -v[58:59], v[90:91], v[64:65]
	v_fmac_f64_e32 v[10:11], v[56:57], v[90:91]
	v_fma_f64 v[56:57], -v[70:71], v[90:91], v[60:61]
	v_fmac_f64_e32 v[12:13], v[66:67], v[90:91]
	;; [unrolled: 2-line block ×4, first 2 shown]
	v_cvt_f64_f32_e32 v[60:61], v99
	v_cvt_f64_f32_e32 v[64:65], v94
	;; [unrolled: 1-line block ×7, first 2 shown]
	s_wait_loadcnt 0x7
	v_fmac_f64_e32 v[58:59], v[62:63], v[28:29]
	v_fmac_f64_e32 v[10:11], v[68:69], v[28:29]
	;; [unrolled: 1-line block ×8, first 2 shown]
	v_cvt_f64_f32_e32 v[28:29], v98
	v_fma_f64 v[58:59], -v[68:69], v[30:31], v[58:59]
	v_fmac_f64_e32 v[10:11], v[62:63], v[30:31]
	v_fma_f64 v[56:57], -v[76:77], v[30:31], v[56:57]
	v_fmac_f64_e32 v[12:13], v[72:73], v[30:31]
	;; [unrolled: 2-line block ×4, first 2 shown]
	s_wait_loadcnt 0x4
	v_cvt_f64_f32_e32 v[30:31], v112
	v_cvt_f64_f32_e32 v[62:63], v108
	;; [unrolled: 1-line block ×3, first 2 shown]
	s_wait_loadcnt 0x3
	v_cvt_f64_f32_e32 v[72:73], v116
	v_cvt_f64_f32_e32 v[76:77], v117
	s_wait_loadcnt 0x2
	v_cvt_f64_f32_e32 v[80:81], v120
	v_cvt_f64_f32_e32 v[84:85], v121
	v_fmac_f64_e32 v[58:59], v[28:29], v[32:33]
	v_fmac_f64_e32 v[10:11], v[60:61], v[32:33]
	;; [unrolled: 1-line block ×8, first 2 shown]
	v_cvt_f64_f32_e32 v[32:33], v113
	v_fma_f64 v[58:59], -v[60:61], v[34:35], v[58:59]
	v_fmac_f64_e32 v[10:11], v[28:29], v[34:35]
	v_fma_f64 v[28:29], -v[66:67], v[34:35], v[56:57]
	v_fmac_f64_e32 v[12:13], v[64:65], v[34:35]
	;; [unrolled: 2-line block ×4, first 2 shown]
	v_cvt_f64_f32_e32 v[34:35], v114
	v_cvt_f64_f32_e32 v[56:57], v110
	;; [unrolled: 1-line block ×7, first 2 shown]
	s_wait_loadcnt 0x1
	v_fmac_f64_e32 v[58:59], v[30:31], v[44:45]
	v_fmac_f64_e32 v[10:11], v[32:33], v[44:45]
	;; [unrolled: 1-line block ×8, first 2 shown]
	v_cvt_f64_f32_e32 v[44:45], v115
	v_fma_f64 v[32:33], -v[32:33], v[46:47], v[58:59]
	v_fmac_f64_e32 v[10:11], v[30:31], v[46:47]
	v_fma_f64 v[28:29], -v[68:69], v[46:47], v[28:29]
	v_fmac_f64_e32 v[12:13], v[62:63], v[46:47]
	;; [unrolled: 2-line block ×4, first 2 shown]
	s_wait_loadcnt 0x0
	v_fmac_f64_e32 v[32:33], v[34:35], v[48:49]
	v_fmac_f64_e32 v[10:11], v[44:45], v[48:49]
	;; [unrolled: 1-line block ×8, first 2 shown]
	v_fma_f64 v[30:31], -v[44:45], v[50:51], v[32:33]
	v_fmac_f64_e32 v[10:11], v[34:35], v[50:51]
	v_fma_f64 v[32:33], -v[60:61], v[50:51], v[28:29]
	v_fmac_f64_e32 v[12:13], v[56:57], v[50:51]
	;; [unrolled: 2-line block ×4, first 2 shown]
	s_and_not1_b32 exec_lo, exec_lo, s7
	s_cbranch_execnz .LBB179_21
; %bb.22:
	s_or_b32 exec_lo, exec_lo, s7
.LBB179_23:
	s_delay_alu instid0(SALU_CYCLE_1)
	s_or_b32 exec_lo, exec_lo, s6
.LBB179_24:
	s_delay_alu instid0(SALU_CYCLE_1)
	s_or_b32 exec_lo, exec_lo, s3
	s_cbranch_execz .LBB179_26
	s_branch .LBB179_37
.LBB179_25:
                                        ; implicit-def: $vgpr10_vgpr11
                                        ; implicit-def: $vgpr30_vgpr31
                                        ; implicit-def: $vgpr12_vgpr13
                                        ; implicit-def: $vgpr32_vgpr33
                                        ; implicit-def: $vgpr14_vgpr15
                                        ; implicit-def: $vgpr34_vgpr35
                                        ; implicit-def: $vgpr16_vgpr17
                                        ; implicit-def: $vgpr28_vgpr29
.LBB179_26:
	v_mov_b64_e32 v[10:11], 0
	v_mov_b64_e32 v[30:31], 0
	;; [unrolled: 1-line block ×8, first 2 shown]
	s_and_saveexec_b32 s3, s2
	s_cbranch_execz .LBB179_36
; %bb.27:
	v_dual_mov_b32 v11, v1 :: v_dual_bitop2_b32 v10, 64, v0 bitop3:0x54
	v_sub_nc_u64_e32 v[12:13], v[18:19], v[0:1]
	v_not_b32_e32 v15, v37
	v_not_b32_e32 v14, v36
	v_mov_b64_e32 v[28:29], 0
	v_sub_nc_u64_e32 v[10:11], v[10:11], v[18:19]
	v_mov_b64_e32 v[16:17], 0
	v_mov_b64_e32 v[34:35], 0
	v_add_nc_u64_e32 v[12:13], v[12:13], v[14:15]
	v_mov_b64_e32 v[14:15], 0
	v_mov_b64_e32 v[32:33], 0
	;; [unrolled: 1-line block ×3, first 2 shown]
	v_add_nc_u64_e32 v[10:11], v[10:11], v[36:37]
	v_mov_b32_e32 v39, 0
	s_mov_b32 s2, exec_lo
	s_delay_alu instid0(VALU_DEP_2) | instskip(NEXT) | instid1(VALU_DEP_1)
	v_max_i64 v[10:11], v[10:11], v[22:23]
	v_add_nc_u64_e32 v[36:37], v[12:13], v[10:11]
	v_mov_b64_e32 v[12:13], 0
	v_mov_b64_e32 v[10:11], 0
	s_delay_alu instid0(VALU_DEP_3) | instskip(NEXT) | instid1(VALU_DEP_1)
	v_and_b32_e32 v38, 0xc0, v36
	v_cmpx_ne_u64_e32 0xc0, v[38:39]
	s_cbranch_execz .LBB179_31
; %bb.28:
	v_lshrrev_b32_e32 v1, 6, v36
	v_mov_b64_e32 v[10:11], 0
	v_mov_b64_e32 v[30:31], 0
	;; [unrolled: 1-line block ×4, first 2 shown]
	v_add_nc_u32_e32 v1, 1, v1
	v_mov_b64_e32 v[14:15], 0
	v_mov_b64_e32 v[34:35], 0
	;; [unrolled: 1-line block ×4, first 2 shown]
	v_and_b32_e32 v38, 3, v1
	v_lshl_add_u64 v[40:41], v[20:21], 3, s[8:9]
	s_mov_b32 s6, 0
	s_delay_alu instid0(VALU_DEP_2)
	v_sub_nc_u64_e32 v[38:39], 0, v[38:39]
.LBB179_29:                             ; =>This Inner Loop Header: Depth=1
	global_load_b64 v[50:51], v[40:41], off
	s_clause 0x1
	global_load_b128 v[42:45], v[24:25], off
	global_load_b128 v[46:49], v[24:25], off offset:16
	v_add_nc_u64_e32 v[38:39], 1, v[38:39]
	v_add_nc_u64_e32 v[20:21], 64, v[20:21]
	s_wait_xcnt 0x2
	v_add_nc_u64_e32 v[40:41], 0x200, v[40:41]
	s_delay_alu instid0(VALU_DEP_3)
	v_cmp_eq_u64_e32 vcc_lo, 0, v[38:39]
	s_or_b32 s6, vcc_lo, s6
	s_wait_loadcnt 0x2
	v_sub_nc_u64_e32 v[50:51], v[50:51], v[18:19]
	s_wait_loadcnt 0x1
	v_cvt_f64_f32_e32 v[92:93], v44
	v_cvt_f64_f32_e32 v[44:45], v45
	s_wait_loadcnt 0x0
	v_cvt_f64_f32_e32 v[94:95], v46
	v_cvt_f64_f32_e32 v[46:47], v47
	;; [unrolled: 1-line block ×4, first 2 shown]
	v_lshlrev_b64_e32 v[50:51], 6, v[50:51]
	s_wait_kmcnt 0x0
	s_delay_alu instid0(VALU_DEP_1)
	v_add_nc_u64_e32 v[90:91], s[4:5], v[50:51]
	global_load_b128 v[50:53], v[90:91], off
	s_clause 0x1
	global_load_b128 v[54:57], v[24:25], off offset:32
	global_load_b128 v[58:61], v[24:25], off offset:48
	global_load_b128 v[62:65], v[90:91], off offset:16
	s_clause 0x1
	global_load_b128 v[66:69], v[24:25], off offset:64
	global_load_b128 v[70:73], v[24:25], off offset:80
	global_load_b128 v[74:77], v[90:91], off offset:32
	;; [unrolled: 4-line block ×3, first 2 shown]
	s_wait_xcnt 0x0
	v_cvt_f64_f32_e32 v[90:91], v42
	v_cvt_f64_f32_e32 v[42:43], v43
	v_add_nc_u64_e32 v[24:25], 0x2000, v[24:25]
	s_wait_loadcnt 0x9
	s_delay_alu instid0(VALU_DEP_3) | instskip(NEXT) | instid1(VALU_DEP_3)
	v_fmac_f64_e32 v[30:31], v[90:91], v[50:51]
	v_fmac_f64_e32 v[10:11], v[42:43], v[50:51]
	;; [unrolled: 1-line block ×8, first 2 shown]
	s_wait_loadcnt 0x8
	v_cvt_f64_f32_e32 v[50:51], v54
	v_cvt_f64_f32_e32 v[54:55], v55
	;; [unrolled: 1-line block ×4, first 2 shown]
	s_wait_loadcnt 0x7
	v_cvt_f64_f32_e32 v[100:101], v58
	v_cvt_f64_f32_e32 v[58:59], v59
	;; [unrolled: 1-line block ×4, first 2 shown]
	v_fma_f64 v[30:31], -v[42:43], v[52:53], v[30:31]
	v_fmac_f64_e32 v[10:11], v[90:91], v[52:53]
	v_fma_f64 v[32:33], -v[44:45], v[52:53], v[32:33]
	v_fmac_f64_e32 v[12:13], v[92:93], v[52:53]
	;; [unrolled: 2-line block ×4, first 2 shown]
	s_wait_loadcnt 0x5
	v_cvt_f64_f32_e32 v[42:43], v66
	v_cvt_f64_f32_e32 v[44:45], v67
	;; [unrolled: 1-line block ×4, first 2 shown]
	s_wait_loadcnt 0x4
	v_cvt_f64_f32_e32 v[52:53], v70
	v_cvt_f64_f32_e32 v[66:67], v72
	;; [unrolled: 1-line block ×3, first 2 shown]
	s_wait_loadcnt 0x1
	v_cvt_f64_f32_e32 v[72:73], v85
	v_fmac_f64_e32 v[30:31], v[50:51], v[62:63]
	v_fmac_f64_e32 v[10:11], v[54:55], v[62:63]
	;; [unrolled: 1-line block ×8, first 2 shown]
	v_cvt_f64_f32_e32 v[62:63], v71
	v_cvt_f64_f32_e32 v[70:71], v84
	v_fma_f64 v[30:31], -v[54:55], v[64:65], v[30:31]
	v_fmac_f64_e32 v[10:11], v[50:51], v[64:65]
	v_fma_f64 v[32:33], -v[56:57], v[64:65], v[32:33]
	v_fmac_f64_e32 v[12:13], v[98:99], v[64:65]
	v_fma_f64 v[34:35], -v[58:59], v[64:65], v[34:35]
	v_fmac_f64_e32 v[14:15], v[100:101], v[64:65]
	v_fma_f64 v[28:29], -v[60:61], v[64:65], v[28:29]
	v_fmac_f64_e32 v[16:17], v[102:103], v[64:65]
	v_cvt_f64_f32_e32 v[50:51], v78
	v_cvt_f64_f32_e32 v[54:55], v79
	;; [unrolled: 1-line block ×6, first 2 shown]
	v_fmac_f64_e32 v[30:31], v[42:43], v[74:75]
	v_fmac_f64_e32 v[10:11], v[44:45], v[74:75]
	;; [unrolled: 1-line block ×8, first 2 shown]
	v_fma_f64 v[30:31], -v[44:45], v[76:77], v[30:31]
	v_fmac_f64_e32 v[10:11], v[42:43], v[76:77]
	v_fma_f64 v[32:33], -v[48:49], v[76:77], v[32:33]
	v_fmac_f64_e32 v[12:13], v[46:47], v[76:77]
	;; [unrolled: 2-line block ×4, first 2 shown]
	s_wait_loadcnt 0x0
	v_fmac_f64_e32 v[30:31], v[50:51], v[86:87]
	v_fmac_f64_e32 v[10:11], v[54:55], v[86:87]
	;; [unrolled: 1-line block ×8, first 2 shown]
	v_fma_f64 v[30:31], -v[54:55], v[88:89], v[30:31]
	v_fmac_f64_e32 v[10:11], v[50:51], v[88:89]
	v_fma_f64 v[32:33], -v[58:59], v[88:89], v[32:33]
	v_fmac_f64_e32 v[12:13], v[56:57], v[88:89]
	;; [unrolled: 2-line block ×4, first 2 shown]
	s_and_not1_b32 exec_lo, exec_lo, s6
	s_cbranch_execnz .LBB179_29
; %bb.30:
	s_or_b32 exec_lo, exec_lo, s6
.LBB179_31:
	s_delay_alu instid0(SALU_CYCLE_1) | instskip(NEXT) | instid1(SALU_CYCLE_1)
	s_or_b32 exec_lo, exec_lo, s2
	s_mov_b32 s2, exec_lo
	v_cmpx_lt_u64_e32 0xbf, v[36:37]
	s_cbranch_execz .LBB179_35
; %bb.32:
	v_lshl_add_u64 v[36:37], v[20:21], 3, s[8:9]
	s_mov_b32 s6, 0
	s_delay_alu instid0(VALU_DEP_1)
	v_add_nc_u64_e32 v[36:37], 0x400, v[36:37]
.LBB179_33:                             ; =>This Inner Loop Header: Depth=1
	s_clause 0x1
	global_load_b64 v[46:47], v[36:37], off offset:-1024
	global_load_b64 v[94:95], v[36:37], off offset:-512
	s_clause 0x1
	global_load_b128 v[38:41], v[24:25], off
	global_load_b128 v[42:45], v[24:25], off offset:16
	s_clause 0x1
	global_load_b64 v[110:111], v[36:37], off
	global_load_b64 v[112:113], v[36:37], off offset:512
	v_add_nc_u64_e32 v[20:21], 0x100, v[20:21]
	s_wait_xcnt 0x0
	v_add_nc_u64_e32 v[36:37], 0x800, v[36:37]
	s_delay_alu instid0(VALU_DEP_2)
	v_cmp_ge_i64_e32 vcc_lo, v[20:21], v[22:23]
	s_or_b32 s6, vcc_lo, s6
	s_wait_loadcnt 0x5
	v_sub_nc_u64_e32 v[46:47], v[46:47], v[18:19]
	s_wait_loadcnt 0x4
	v_sub_nc_u64_e32 v[94:95], v[94:95], v[18:19]
	s_wait_loadcnt 0x3
	v_cvt_f64_f32_e32 v[116:117], v38
	v_cvt_f64_f32_e32 v[118:119], v39
	;; [unrolled: 1-line block ×4, first 2 shown]
	s_wait_loadcnt 0x2
	v_cvt_f64_f32_e32 v[124:125], v42
	v_lshlrev_b64_e32 v[46:47], 6, v[46:47]
	v_lshlrev_b64_e32 v[94:95], 6, v[94:95]
	v_cvt_f64_f32_e32 v[126:127], v43
	v_cvt_f64_f32_e32 v[128:129], v44
	;; [unrolled: 1-line block ×3, first 2 shown]
	s_wait_kmcnt 0x0
	v_add_nc_u64_e32 v[96:97], s[4:5], v[46:47]
	v_add_nc_u64_e32 v[114:115], s[4:5], v[94:95]
	global_load_b128 v[46:49], v[96:97], off
	s_clause 0x1
	global_load_b128 v[50:53], v[24:25], off offset:32
	global_load_b128 v[54:57], v[24:25], off offset:48
	global_load_b128 v[58:61], v[96:97], off offset:16
	s_clause 0x1
	global_load_b128 v[62:65], v[24:25], off offset:64
	global_load_b128 v[66:69], v[24:25], off offset:80
	global_load_b128 v[70:73], v[96:97], off offset:32
	;; [unrolled: 4-line block ×3, first 2 shown]
	s_clause 0x1
	global_load_b128 v[86:89], v[24:25], off offset:8192
	global_load_b128 v[90:93], v[24:25], off offset:8208
	global_load_b128 v[94:97], v[114:115], off
	s_clause 0x1
	global_load_b128 v[98:101], v[24:25], off offset:8224
	global_load_b128 v[102:105], v[24:25], off offset:8240
	;; [unrolled: 1-line block ×3, first 2 shown]
	s_clause 0x1
	global_load_b128 v[42:45], v[24:25], off offset:8256
	global_load_b128 v[106:109], v[24:25], off offset:8272
	s_wait_loadcnt 0x11
	v_fmac_f64_e32 v[30:31], v[116:117], v[46:47]
	v_fmac_f64_e32 v[10:11], v[118:119], v[46:47]
	;; [unrolled: 1-line block ×8, first 2 shown]
	s_wait_loadcnt 0x10
	v_cvt_f64_f32_e32 v[132:133], v50
	v_cvt_f64_f32_e32 v[50:51], v51
	;; [unrolled: 1-line block ×4, first 2 shown]
	s_wait_loadcnt 0xf
	v_cvt_f64_f32_e32 v[136:137], v54
	v_cvt_f64_f32_e32 v[54:55], v55
	;; [unrolled: 1-line block ×4, first 2 shown]
	s_wait_loadcnt 0x0
	v_cvt_f64_f32_e32 v[140:141], v108
	v_cvt_f64_f32_e32 v[108:109], v109
	v_fma_f64 v[118:119], -v[118:119], v[48:49], v[30:31]
	v_fmac_f64_e32 v[10:11], v[116:117], v[48:49]
	v_fma_f64 v[116:117], -v[122:123], v[48:49], v[32:33]
	v_fmac_f64_e32 v[12:13], v[120:121], v[48:49]
	v_fma_f64 v[120:121], -v[126:127], v[48:49], v[34:35]
	v_fmac_f64_e32 v[14:15], v[124:125], v[48:49]
	v_fma_f64 v[122:123], -v[130:131], v[48:49], v[28:29]
	v_fmac_f64_e32 v[16:17], v[128:129], v[48:49]
	global_load_b128 v[28:31], v[114:115], off offset:32
	s_clause 0x1
	global_load_b128 v[32:35], v[24:25], off offset:8288
	global_load_b128 v[46:49], v[24:25], off offset:8304
	v_cvt_f64_f32_e32 v[124:125], v62
	v_cvt_f64_f32_e32 v[62:63], v63
	;; [unrolled: 1-line block ×8, first 2 shown]
	v_fmac_f64_e32 v[118:119], v[132:133], v[58:59]
	v_fmac_f64_e32 v[10:11], v[50:51], v[58:59]
	;; [unrolled: 1-line block ×8, first 2 shown]
	v_fma_f64 v[118:119], -v[50:51], v[60:61], v[118:119]
	v_fmac_f64_e32 v[10:11], v[132:133], v[60:61]
	v_fma_f64 v[116:117], -v[52:53], v[60:61], v[116:117]
	v_fmac_f64_e32 v[12:13], v[134:135], v[60:61]
	;; [unrolled: 2-line block ×4, first 2 shown]
	global_load_b128 v[50:53], v[114:115], off offset:48
	s_clause 0x1
	global_load_b128 v[54:57], v[24:25], off offset:16384
	global_load_b128 v[58:61], v[24:25], off offset:16400
	s_wait_xcnt 0x2
	v_cvt_f64_f32_e32 v[114:115], v74
	v_cvt_f64_f32_e32 v[74:75], v75
	;; [unrolled: 1-line block ×10, first 2 shown]
	v_fmac_f64_e32 v[118:119], v[124:125], v[70:71]
	v_fmac_f64_e32 v[10:11], v[62:63], v[70:71]
	v_fmac_f64_e32 v[116:117], v[126:127], v[70:71]
	v_fmac_f64_e32 v[12:13], v[64:65], v[70:71]
	v_fmac_f64_e32 v[120:121], v[128:129], v[70:71]
	v_fmac_f64_e32 v[14:15], v[66:67], v[70:71]
	v_fmac_f64_e32 v[122:123], v[130:131], v[70:71]
	v_fmac_f64_e32 v[16:17], v[68:69], v[70:71]
	v_fma_f64 v[118:119], -v[62:63], v[72:73], v[118:119]
	v_fmac_f64_e32 v[10:11], v[124:125], v[72:73]
	v_fma_f64 v[116:117], -v[64:65], v[72:73], v[116:117]
	v_fmac_f64_e32 v[12:13], v[126:127], v[72:73]
	;; [unrolled: 2-line block ×4, first 2 shown]
	v_sub_nc_u64_e32 v[62:63], v[110:111], v[18:19]
	v_cvt_f64_f32_e32 v[124:125], v86
	v_cvt_f64_f32_e32 v[86:87], v87
	v_cvt_f64_f32_e32 v[126:127], v88
	v_cvt_f64_f32_e32 v[88:89], v89
	v_cvt_f64_f32_e32 v[128:129], v90
	v_cvt_f64_f32_e32 v[90:91], v91
	v_lshlrev_b64_e32 v[62:63], 6, v[62:63]
	v_cvt_f64_f32_e32 v[130:131], v92
	v_cvt_f64_f32_e32 v[92:93], v93
	s_delay_alu instid0(VALU_DEP_3)
	v_add_nc_u64_e32 v[110:111], s[4:5], v[62:63]
	global_load_b128 v[62:65], v[110:111], off
	s_clause 0x1
	global_load_b128 v[66:69], v[24:25], off offset:16416
	global_load_b128 v[70:73], v[24:25], off offset:16432
	v_fmac_f64_e32 v[118:119], v[114:115], v[82:83]
	v_fmac_f64_e32 v[10:11], v[74:75], v[82:83]
	;; [unrolled: 1-line block ×8, first 2 shown]
	v_fma_f64 v[118:119], -v[74:75], v[84:85], v[118:119]
	v_fmac_f64_e32 v[10:11], v[114:115], v[84:85]
	v_fma_f64 v[114:115], -v[76:77], v[84:85], v[116:117]
	v_fmac_f64_e32 v[12:13], v[132:133], v[84:85]
	;; [unrolled: 2-line block ×4, first 2 shown]
	global_load_b128 v[74:77], v[110:111], off offset:16
	s_clause 0x1
	global_load_b128 v[78:81], v[24:25], off offset:16448
	global_load_b128 v[82:85], v[24:25], off offset:16464
	v_cvt_f64_f32_e32 v[122:123], v98
	v_cvt_f64_f32_e32 v[98:99], v99
	;; [unrolled: 1-line block ×8, first 2 shown]
	v_fmac_f64_e32 v[118:119], v[124:125], v[94:95]
	v_fmac_f64_e32 v[10:11], v[86:87], v[94:95]
	;; [unrolled: 1-line block ×8, first 2 shown]
	v_fma_f64 v[118:119], -v[86:87], v[96:97], v[118:119]
	v_fmac_f64_e32 v[10:11], v[124:125], v[96:97]
	v_fma_f64 v[114:115], -v[88:89], v[96:97], v[114:115]
	v_fmac_f64_e32 v[12:13], v[126:127], v[96:97]
	;; [unrolled: 2-line block ×4, first 2 shown]
	global_load_b128 v[86:89], v[110:111], off offset:32
	s_clause 0x1
	global_load_b128 v[90:93], v[24:25], off offset:16496
	global_load_b128 v[94:97], v[24:25], off offset:16480
	v_cvt_f64_f32_e32 v[124:125], v42
	v_cvt_f64_f32_e32 v[126:127], v43
	;; [unrolled: 1-line block ×4, first 2 shown]
	v_fmac_f64_e32 v[118:119], v[122:123], v[38:39]
	v_fmac_f64_e32 v[10:11], v[98:99], v[38:39]
	;; [unrolled: 1-line block ×8, first 2 shown]
	v_fma_f64 v[118:119], -v[98:99], v[40:41], v[118:119]
	v_fmac_f64_e32 v[10:11], v[122:123], v[40:41]
	v_fma_f64 v[114:115], -v[100:101], v[40:41], v[114:115]
	v_fmac_f64_e32 v[12:13], v[132:133], v[40:41]
	;; [unrolled: 2-line block ×4, first 2 shown]
	global_load_b128 v[38:41], v[110:111], off offset:48
	s_clause 0x1
	global_load_b128 v[42:45], v[24:25], off offset:24592
	global_load_b128 v[98:101], v[24:25], off offset:24576
	s_wait_loadcnt 0x10
	s_wait_xcnt 0x2
	v_cvt_f64_f32_e32 v[110:111], v32
	v_cvt_f64_f32_e32 v[116:117], v33
	;; [unrolled: 1-line block ×4, first 2 shown]
	s_wait_loadcnt 0xf
	v_cvt_f64_f32_e32 v[132:133], v46
	v_cvt_f64_f32_e32 v[134:135], v47
	;; [unrolled: 1-line block ×4, first 2 shown]
	v_fmac_f64_e32 v[118:119], v[124:125], v[28:29]
	v_fmac_f64_e32 v[10:11], v[126:127], v[28:29]
	;; [unrolled: 1-line block ×8, first 2 shown]
	v_sub_nc_u64_e32 v[28:29], v[112:113], v[18:19]
	s_delay_alu instid0(VALU_DEP_1) | instskip(NEXT) | instid1(VALU_DEP_1)
	v_lshlrev_b64_e32 v[28:29], 6, v[28:29]
	v_add_nc_u64_e32 v[112:113], s[4:5], v[28:29]
	v_fma_f64 v[118:119], -v[126:127], v[30:31], v[118:119]
	v_fmac_f64_e32 v[10:11], v[124:125], v[30:31]
	v_fma_f64 v[114:115], -v[130:131], v[30:31], v[114:115]
	v_fmac_f64_e32 v[12:13], v[128:129], v[30:31]
	;; [unrolled: 2-line block ×4, first 2 shown]
	s_clause 0x1
	global_load_b128 v[28:31], v[112:113], off offset:16
	global_load_b128 v[32:35], v[112:113], off
	s_clause 0x1
	global_load_b128 v[46:49], v[24:25], off offset:24624
	global_load_b128 v[102:105], v[24:25], off offset:24608
	s_wait_loadcnt 0x11
	v_cvt_f64_f32_e32 v[124:125], v54
	v_cvt_f64_f32_e32 v[126:127], v55
	;; [unrolled: 1-line block ×4, first 2 shown]
	s_wait_loadcnt 0x10
	v_cvt_f64_f32_e32 v[138:139], v58
	v_cvt_f64_f32_e32 v[58:59], v59
	;; [unrolled: 1-line block ×4, first 2 shown]
	v_fmac_f64_e32 v[118:119], v[110:111], v[50:51]
	v_fmac_f64_e32 v[10:11], v[116:117], v[50:51]
	;; [unrolled: 1-line block ×8, first 2 shown]
	v_fma_f64 v[116:117], -v[116:117], v[52:53], v[118:119]
	v_fmac_f64_e32 v[10:11], v[110:111], v[52:53]
	v_fma_f64 v[110:111], -v[122:123], v[52:53], v[114:115]
	v_fmac_f64_e32 v[12:13], v[120:121], v[52:53]
	;; [unrolled: 2-line block ×4, first 2 shown]
	s_clause 0x1
	global_load_b128 v[50:53], v[24:25], off offset:24656
	global_load_b128 v[54:57], v[24:25], off offset:24640
	s_wait_loadcnt 0x10
	v_cvt_f64_f32_e32 v[114:115], v66
	v_cvt_f64_f32_e32 v[118:119], v67
	;; [unrolled: 1-line block ×3, first 2 shown]
	v_fmac_f64_e32 v[116:117], v[124:125], v[62:63]
	v_fmac_f64_e32 v[10:11], v[126:127], v[62:63]
	;; [unrolled: 1-line block ×8, first 2 shown]
	v_cvt_f64_f32_e32 v[122:123], v69
	s_wait_loadcnt 0xf
	v_cvt_f64_f32_e32 v[132:133], v70
	v_cvt_f64_f32_e32 v[134:135], v71
	;; [unrolled: 1-line block ×4, first 2 shown]
	v_fma_f64 v[116:117], -v[126:127], v[64:65], v[116:117]
	v_fmac_f64_e32 v[10:11], v[124:125], v[64:65]
	v_fma_f64 v[110:111], -v[130:131], v[64:65], v[110:111]
	v_fmac_f64_e32 v[12:13], v[128:129], v[64:65]
	;; [unrolled: 2-line block ×4, first 2 shown]
	s_clause 0x1
	global_load_b128 v[58:61], v[112:113], off offset:48
	global_load_b128 v[62:65], v[112:113], off offset:32
	s_clause 0x1
	global_load_b128 v[66:69], v[24:25], off offset:24672
	global_load_b128 v[70:73], v[24:25], off offset:24688
	s_wait_loadcnt 0x11
	s_wait_xcnt 0x2
	v_cvt_f64_f32_e32 v[112:113], v80
	v_cvt_f64_f32_e32 v[80:81], v81
	s_wait_loadcnt 0x10
	v_cvt_f64_f32_e32 v[124:125], v82
	v_cvt_f64_f32_e32 v[82:83], v83
	;; [unrolled: 1-line block ×4, first 2 shown]
	s_wait_xcnt 0x0
	v_add_nc_u64_e32 v[24:25], 0x8000, v[24:25]
	v_fmac_f64_e32 v[116:117], v[114:115], v[74:75]
	v_fmac_f64_e32 v[10:11], v[118:119], v[74:75]
	;; [unrolled: 1-line block ×8, first 2 shown]
	v_cvt_f64_f32_e32 v[74:75], v78
	v_cvt_f64_f32_e32 v[78:79], v79
	v_fma_f64 v[116:117], -v[118:119], v[76:77], v[116:117]
	v_fmac_f64_e32 v[10:11], v[114:115], v[76:77]
	v_fma_f64 v[110:111], -v[122:123], v[76:77], v[110:111]
	v_fmac_f64_e32 v[12:13], v[120:121], v[76:77]
	v_fma_f64 v[106:107], -v[134:135], v[76:77], v[106:107]
	v_fmac_f64_e32 v[14:15], v[132:133], v[76:77]
	v_fma_f64 v[108:109], -v[142:143], v[76:77], v[108:109]
	v_fmac_f64_e32 v[16:17], v[136:137], v[76:77]
	s_wait_loadcnt 0xe
	v_cvt_f64_f32_e32 v[114:115], v90
	s_wait_loadcnt 0xd
	v_cvt_f64_f32_e32 v[76:77], v94
	v_cvt_f64_f32_e32 v[90:91], v91
	;; [unrolled: 1-line block ×4, first 2 shown]
	v_fmac_f64_e32 v[116:117], v[74:75], v[86:87]
	v_fmac_f64_e32 v[10:11], v[78:79], v[86:87]
	;; [unrolled: 1-line block ×8, first 2 shown]
	v_cvt_f64_f32_e32 v[86:87], v95
	v_cvt_f64_f32_e32 v[94:95], v96
	;; [unrolled: 1-line block ×3, first 2 shown]
	v_fma_f64 v[78:79], -v[78:79], v[88:89], v[116:117]
	v_fmac_f64_e32 v[10:11], v[74:75], v[88:89]
	v_fma_f64 v[74:75], -v[80:81], v[88:89], v[110:111]
	v_fmac_f64_e32 v[12:13], v[112:113], v[88:89]
	;; [unrolled: 2-line block ×4, first 2 shown]
	s_wait_loadcnt 0xb
	v_cvt_f64_f32_e32 v[106:107], v44
	s_wait_loadcnt 0xa
	v_cvt_f64_f32_e32 v[84:85], v99
	v_cvt_f64_f32_e32 v[88:89], v100
	;; [unrolled: 1-line block ×3, first 2 shown]
	v_fmac_f64_e32 v[78:79], v[76:77], v[38:39]
	v_fmac_f64_e32 v[10:11], v[86:87], v[38:39]
	;; [unrolled: 1-line block ×8, first 2 shown]
	v_cvt_f64_f32_e32 v[38:39], v98
	v_cvt_f64_f32_e32 v[98:99], v101
	;; [unrolled: 1-line block ×4, first 2 shown]
	v_fma_f64 v[78:79], -v[86:87], v[40:41], v[78:79]
	v_fmac_f64_e32 v[10:11], v[76:77], v[40:41]
	v_fma_f64 v[74:75], -v[96:97], v[40:41], v[74:75]
	v_fmac_f64_e32 v[12:13], v[94:95], v[40:41]
	;; [unrolled: 2-line block ×4, first 2 shown]
	s_wait_loadcnt 0x7
	v_cvt_f64_f32_e32 v[90:91], v46
	s_wait_loadcnt 0x6
	v_cvt_f64_f32_e32 v[40:41], v103
	v_cvt_f64_f32_e32 v[82:83], v104
	v_cvt_f64_f32_e32 v[86:87], v105
	v_cvt_f64_f32_e32 v[46:47], v47
	v_cvt_f64_f32_e32 v[92:93], v48
	v_cvt_f64_f32_e32 v[48:49], v49
	v_fmac_f64_e32 v[78:79], v[38:39], v[32:33]
	v_fmac_f64_e32 v[10:11], v[84:85], v[32:33]
	;; [unrolled: 1-line block ×8, first 2 shown]
	v_cvt_f64_f32_e32 v[32:33], v102
	v_fma_f64 v[78:79], -v[84:85], v[34:35], v[78:79]
	v_fmac_f64_e32 v[10:11], v[38:39], v[34:35]
	v_fma_f64 v[38:39], -v[98:99], v[34:35], v[74:75]
	v_fmac_f64_e32 v[12:13], v[88:89], v[34:35]
	;; [unrolled: 2-line block ×4, first 2 shown]
	s_wait_loadcnt 0x4
	v_cvt_f64_f32_e32 v[34:35], v55
	v_cvt_f64_f32_e32 v[74:75], v50
	v_cvt_f64_f32_e32 v[50:51], v51
	v_cvt_f64_f32_e32 v[76:77], v52
	v_cvt_f64_f32_e32 v[52:53], v53
	v_fmac_f64_e32 v[78:79], v[32:33], v[28:29]
	v_fmac_f64_e32 v[10:11], v[40:41], v[28:29]
	;; [unrolled: 1-line block ×8, first 2 shown]
	v_cvt_f64_f32_e32 v[28:29], v54
	v_cvt_f64_f32_e32 v[54:55], v56
	;; [unrolled: 1-line block ×3, first 2 shown]
	v_fma_f64 v[40:41], -v[40:41], v[30:31], v[78:79]
	v_fmac_f64_e32 v[10:11], v[32:33], v[30:31]
	v_fma_f64 v[32:33], -v[86:87], v[30:31], v[38:39]
	v_fmac_f64_e32 v[12:13], v[82:83], v[30:31]
	;; [unrolled: 2-line block ×4, first 2 shown]
	s_wait_loadcnt 0x1
	v_cvt_f64_f32_e32 v[44:45], v66
	v_cvt_f64_f32_e32 v[30:31], v67
	;; [unrolled: 1-line block ×4, first 2 shown]
	s_wait_loadcnt 0x0
	v_cvt_f64_f32_e32 v[66:67], v71
	v_cvt_f64_f32_e32 v[68:69], v72
	v_fmac_f64_e32 v[40:41], v[28:29], v[62:63]
	v_fmac_f64_e32 v[10:11], v[34:35], v[62:63]
	;; [unrolled: 1-line block ×8, first 2 shown]
	v_cvt_f64_f32_e32 v[62:63], v70
	v_cvt_f64_f32_e32 v[70:71], v73
	v_fma_f64 v[34:35], -v[34:35], v[64:65], v[40:41]
	v_fmac_f64_e32 v[10:11], v[28:29], v[64:65]
	v_fma_f64 v[28:29], -v[56:57], v[64:65], v[32:33]
	v_fmac_f64_e32 v[12:13], v[54:55], v[64:65]
	v_fma_f64 v[38:39], -v[50:51], v[64:65], v[38:39]
	v_fmac_f64_e32 v[14:15], v[74:75], v[64:65]
	v_fma_f64 v[40:41], -v[52:53], v[64:65], v[42:43]
	v_fmac_f64_e32 v[16:17], v[76:77], v[64:65]
	v_fmac_f64_e32 v[34:35], v[44:45], v[58:59]
	v_fmac_f64_e32 v[10:11], v[30:31], v[58:59]
	v_fmac_f64_e32 v[28:29], v[46:47], v[58:59]
	v_fmac_f64_e32 v[12:13], v[48:49], v[58:59]
	v_fmac_f64_e32 v[38:39], v[62:63], v[58:59]
	v_fmac_f64_e32 v[14:15], v[66:67], v[58:59]
	v_fmac_f64_e32 v[40:41], v[68:69], v[58:59]
	v_fmac_f64_e32 v[16:17], v[70:71], v[58:59]
	v_fma_f64 v[30:31], -v[30:31], v[60:61], v[34:35]
	v_fmac_f64_e32 v[10:11], v[44:45], v[60:61]
	v_fma_f64 v[32:33], -v[48:49], v[60:61], v[28:29]
	v_fmac_f64_e32 v[12:13], v[46:47], v[60:61]
	;; [unrolled: 2-line block ×4, first 2 shown]
	s_and_not1_b32 exec_lo, exec_lo, s6
	s_cbranch_execnz .LBB179_33
; %bb.34:
	s_or_b32 exec_lo, exec_lo, s6
.LBB179_35:
	s_delay_alu instid0(SALU_CYCLE_1)
	s_or_b32 exec_lo, exec_lo, s2
.LBB179_36:
	s_delay_alu instid0(SALU_CYCLE_1)
	s_or_b32 exec_lo, exec_lo, s3
.LBB179_37:
	v_mbcnt_lo_u32_b32 v1, -1, 0
	s_delay_alu instid0(VALU_DEP_1) | instskip(NEXT) | instid1(VALU_DEP_1)
	v_or_b32_e32 v18, 32, v1
	v_cmp_gt_i32_e32 vcc_lo, 32, v18
	v_cndmask_b32_e32 v18, v1, v18, vcc_lo
	s_delay_alu instid0(VALU_DEP_1)
	v_lshlrev_b32_e32 v43, 2, v18
	ds_bpermute_b32 v24, v43, v12
	ds_bpermute_b32 v25, v43, v13
	s_wait_dscnt 0x0
	v_add_f64_e32 v[12:13], v[12:13], v[24:25]
	ds_bpermute_b32 v18, v43, v30
	ds_bpermute_b32 v19, v43, v31
	;; [unrolled: 1-line block ×14, first 2 shown]
	s_wait_dscnt 0xc
	v_add_f64_e32 v[18:19], v[30:31], v[18:19]
	s_wait_dscnt 0xa
	v_add_f64_e32 v[10:11], v[10:11], v[20:21]
	;; [unrolled: 2-line block ×5, first 2 shown]
	v_xor_b32_e32 v28, 16, v1
	s_delay_alu instid0(VALU_DEP_1) | instskip(SKIP_3) | instid1(VALU_DEP_1)
	v_cmp_gt_i32_e32 vcc_lo, 32, v28
	s_wait_dscnt 0x2
	v_dual_add_f64 v[14:15], v[14:15], v[38:39] :: v_dual_cndmask_b32 v28, v1, v28, vcc_lo
	s_wait_dscnt 0x0
	v_dual_add_f64 v[16:17], v[16:17], v[42:43] :: v_dual_lshlrev_b32 v43, 2, v28
	ds_bpermute_b32 v34, v43, v12
	ds_bpermute_b32 v35, v43, v13
	;; [unrolled: 1-line block ×15, first 2 shown]
	s_wait_dscnt 0xb
	v_add_f64_e32 v[18:19], v[18:19], v[28:29]
	ds_bpermute_b32 v43, v43, v17
	s_wait_dscnt 0xa
	v_dual_add_f64 v[10:11], v[10:11], v[30:31] :: v_dual_bitop2_b32 v28, 8, v1 bitop3:0x14
	s_wait_dscnt 0x8
	v_add_f64_e32 v[20:21], v[20:21], v[32:33]
	s_wait_dscnt 0x6
	v_add_f64_e32 v[22:23], v[22:23], v[36:37]
	v_cmp_gt_i32_e32 vcc_lo, 32, v28
	s_wait_dscnt 0x4
	v_add_f64_e32 v[24:25], v[24:25], v[40:41]
	v_cndmask_b32_e32 v28, v1, v28, vcc_lo
	v_add_f64_e32 v[12:13], v[12:13], v[34:35]
	s_wait_dscnt 0x2
	v_add_f64_e32 v[14:15], v[14:15], v[38:39]
	s_wait_dscnt 0x0
	v_dual_add_f64 v[16:17], v[16:17], v[42:43] :: v_dual_lshlrev_b32 v43, 2, v28
	ds_bpermute_b32 v28, v43, v18
	ds_bpermute_b32 v29, v43, v19
	;; [unrolled: 1-line block ×14, first 2 shown]
	s_wait_dscnt 0xc
	v_add_f64_e32 v[18:19], v[18:19], v[28:29]
	v_xor_b32_e32 v28, 4, v1
	ds_bpermute_b32 v42, v43, v16
	ds_bpermute_b32 v43, v43, v17
	s_wait_dscnt 0xa
	v_add_f64_e32 v[20:21], v[20:21], v[32:33]
	s_wait_dscnt 0x8
	v_add_f64_e32 v[22:23], v[22:23], v[36:37]
	v_cmp_gt_i32_e32 vcc_lo, 32, v28
	v_add_f64_e32 v[10:11], v[10:11], v[30:31]
	s_wait_dscnt 0x6
	v_add_f64_e32 v[24:25], v[24:25], v[40:41]
	v_cndmask_b32_e32 v28, v1, v28, vcc_lo
	s_wait_dscnt 0x4
	v_add_f64_e32 v[12:13], v[12:13], v[34:35]
	s_wait_dscnt 0x2
	v_add_f64_e32 v[14:15], v[14:15], v[38:39]
	s_wait_dscnt 0x0
	v_dual_add_f64 v[16:17], v[16:17], v[42:43] :: v_dual_lshlrev_b32 v43, 2, v28
	ds_bpermute_b32 v28, v43, v18
	ds_bpermute_b32 v29, v43, v19
	;; [unrolled: 1-line block ×12, first 2 shown]
	s_wait_dscnt 0xa
	v_add_f64_e32 v[18:19], v[18:19], v[28:29]
	s_wait_dscnt 0x8
	v_add_f64_e32 v[20:21], v[20:21], v[32:33]
	;; [unrolled: 2-line block ×3, first 2 shown]
	s_wait_dscnt 0x4
	v_dual_add_f64 v[28:29], v[10:11], v[30:31] :: v_dual_bitop2_b32 v10, 2, v1 bitop3:0x14
	ds_bpermute_b32 v38, v43, v14
	ds_bpermute_b32 v39, v43, v15
	s_wait_dscnt 0x4
	v_add_f64_e32 v[36:37], v[24:25], v[40:41]
	v_cmp_gt_i32_e32 vcc_lo, 32, v10
	s_wait_dscnt 0x2
	v_add_f64_e32 v[32:33], v[12:13], v[34:35]
	v_cndmask_b32_e32 v10, v1, v10, vcc_lo
	s_delay_alu instid0(VALU_DEP_1)
	v_lshlrev_b32_e32 v24, 2, v10
	s_wait_dscnt 0x0
	v_add_f64_e32 v[34:35], v[14:15], v[38:39]
	ds_bpermute_b32 v10, v24, v18
	ds_bpermute_b32 v11, v24, v19
	;; [unrolled: 1-line block ×10, first 2 shown]
	s_wait_dscnt 0x8
	v_add_f64_e32 v[10:11], v[18:19], v[10:11]
	s_wait_dscnt 0x2
	v_add_f64_e32 v[30:31], v[28:29], v[12:13]
	v_add_f64_e32 v[12:13], v[20:21], v[14:15]
	v_add_f64_e32 v[14:15], v[22:23], v[40:41]
	v_xor_b32_e32 v22, 1, v1
	ds_bpermute_b32 v42, v43, v16
	ds_bpermute_b32 v43, v43, v17
	v_cmp_gt_i32_e32 vcc_lo, 32, v22
	v_cndmask_b32_e32 v1, v1, v22, vcc_lo
	v_cmp_eq_u32_e32 vcc_lo, 63, v0
	s_delay_alu instid0(VALU_DEP_2)
	v_lshlrev_b32_e32 v1, 2, v1
	ds_bpermute_b32 v22, v1, v10
	s_wait_dscnt 0x1
	v_add_f64_e32 v[38:39], v[16:17], v[42:43]
	ds_bpermute_b32 v16, v24, v32
	ds_bpermute_b32 v17, v24, v33
	;; [unrolled: 1-line block ×7, first 2 shown]
	s_wait_dscnt 0x3
	v_add_f64_e32 v[20:21], v[34:35], v[42:43]
	ds_bpermute_b32 v42, v1, v30
	ds_bpermute_b32 v43, v1, v31
	;; [unrolled: 1-line block ×4, first 2 shown]
	v_add_f64_e32 v[24:25], v[32:33], v[16:17]
	v_add_f64_e32 v[16:17], v[36:37], v[44:45]
	ds_bpermute_b32 v32, v1, v14
	ds_bpermute_b32 v33, v1, v15
	s_wait_dscnt 0x2
	v_add_f64_e32 v[18:19], v[38:39], v[46:47]
	ds_bpermute_b32 v38, v1, v20
	ds_bpermute_b32 v39, v1, v21
	;; [unrolled: 1-line block ×8, first 2 shown]
	s_and_b32 exec_lo, exec_lo, vcc_lo
	s_cbranch_execz .LBB179_8
; %bb.38:
	v_add_f64_e32 v[0:1], v[30:31], v[42:43]
	s_wait_dscnt 0x4
	v_add_f64_e32 v[30:31], v[24:25], v[40:41]
	v_add_f64_e32 v[38:39], v[20:21], v[38:39]
	s_wait_dscnt 0x0
	v_add_f64_e32 v[36:37], v[18:19], v[36:37]
	v_add_f64_e32 v[40:41], v[10:11], v[22:23]
	;; [unrolled: 1-line block ×5, first 2 shown]
	v_cmp_eq_f64_e32 vcc_lo, 0, v[2:3]
	v_cmp_eq_f64_e64 s2, 0, v[4:5]
	s_load_b64 s[0:1], s[0:1], 0x68
	v_mul_f64_e64 v[22:23], v[0:1], -v[8:9]
	v_mul_f64_e32 v[24:25], v[6:7], v[0:1]
	v_mul_f64_e64 v[18:19], v[30:31], -v[8:9]
	v_mul_f64_e32 v[20:21], v[6:7], v[30:31]
	;; [unrolled: 2-line block ×4, first 2 shown]
	v_lshlrev_b64_e32 v[0:1], 6, v[26:27]
	s_and_b32 s2, vcc_lo, s2
	v_fmac_f64_e32 v[22:23], v[6:7], v[40:41]
	v_fmac_f64_e32 v[24:25], v[8:9], v[40:41]
	;; [unrolled: 1-line block ×8, first 2 shown]
	s_and_saveexec_b32 s3, s2
	s_delay_alu instid0(SALU_CYCLE_1)
	s_xor_b32 s2, exec_lo, s3
	s_cbranch_execz .LBB179_40
; %bb.39:
	s_wait_kmcnt 0x0
	v_add_nc_u64_e32 v[0:1], s[0:1], v[0:1]
                                        ; implicit-def: $vgpr4_vgpr5
	s_clause 0x3
	global_store_b128 v[0:1], v[22:25], off
	global_store_b128 v[0:1], v[18:21], off offset:16
	global_store_b128 v[0:1], v[14:17], off offset:32
	;; [unrolled: 1-line block ×3, first 2 shown]
                                        ; implicit-def: $vgpr22_vgpr23
                                        ; implicit-def: $vgpr0_vgpr1
                                        ; implicit-def: $vgpr18_vgpr19
                                        ; implicit-def: $vgpr14_vgpr15
                                        ; implicit-def: $vgpr10_vgpr11
.LBB179_40:
	s_wait_xcnt 0x0
	s_and_not1_saveexec_b32 s2, s2
	s_cbranch_execz .LBB179_8
; %bb.41:
	s_wait_kmcnt 0x0
	v_add_nc_u64_e32 v[0:1], s[0:1], v[0:1]
	s_clause 0x3
	global_load_b128 v[6:9], v[0:1], off
	global_load_b128 v[26:29], v[0:1], off offset:16
	global_load_b128 v[30:33], v[0:1], off offset:32
	;; [unrolled: 1-line block ×3, first 2 shown]
	s_wait_loadcnt 0x3
	v_fmac_f64_e32 v[22:23], v[2:3], v[6:7]
	v_fmac_f64_e32 v[24:25], v[4:5], v[6:7]
	s_wait_loadcnt 0x2
	v_fmac_f64_e32 v[18:19], v[2:3], v[26:27]
	v_fmac_f64_e32 v[20:21], v[4:5], v[26:27]
	;; [unrolled: 3-line block ×4, first 2 shown]
	v_fma_f64 v[22:23], -v[4:5], v[8:9], v[22:23]
	v_fmac_f64_e32 v[24:25], v[2:3], v[8:9]
	v_fma_f64 v[18:19], -v[4:5], v[28:29], v[18:19]
	v_fmac_f64_e32 v[20:21], v[2:3], v[28:29]
	;; [unrolled: 2-line block ×4, first 2 shown]
	s_clause 0x3
	global_store_b128 v[0:1], v[22:25], off
	global_store_b128 v[0:1], v[18:21], off offset:16
	global_store_b128 v[0:1], v[14:17], off offset:32
	;; [unrolled: 1-line block ×3, first 2 shown]
	s_sendmsg sendmsg(MSG_DEALLOC_VGPRS)
	s_endpgm
	.section	.rodata,"a",@progbits
	.p2align	6, 0x0
	.amdhsa_kernel _ZN9rocsparseL18bsrxmvn_4x4_kernelILj128ELj64E21rocsparse_complex_numIdEllS1_IfES2_S2_EEvT3_20rocsparse_direction_NS_24const_host_device_scalarIT1_EES4_PKS4_PKT2_SD_SA_PKT4_PKT5_S8_PT6_21rocsparse_index_base_b
		.amdhsa_group_segment_fixed_size 0
		.amdhsa_private_segment_fixed_size 0
		.amdhsa_kernarg_size 120
		.amdhsa_user_sgpr_count 2
		.amdhsa_user_sgpr_dispatch_ptr 0
		.amdhsa_user_sgpr_queue_ptr 0
		.amdhsa_user_sgpr_kernarg_segment_ptr 1
		.amdhsa_user_sgpr_dispatch_id 0
		.amdhsa_user_sgpr_kernarg_preload_length 0
		.amdhsa_user_sgpr_kernarg_preload_offset 0
		.amdhsa_user_sgpr_private_segment_size 0
		.amdhsa_wavefront_size32 1
		.amdhsa_uses_dynamic_stack 0
		.amdhsa_enable_private_segment 0
		.amdhsa_system_sgpr_workgroup_id_x 1
		.amdhsa_system_sgpr_workgroup_id_y 0
		.amdhsa_system_sgpr_workgroup_id_z 0
		.amdhsa_system_sgpr_workgroup_info 0
		.amdhsa_system_vgpr_workitem_id 0
		.amdhsa_next_free_vgpr 152
		.amdhsa_next_free_sgpr 12
		.amdhsa_named_barrier_count 0
		.amdhsa_reserve_vcc 1
		.amdhsa_float_round_mode_32 0
		.amdhsa_float_round_mode_16_64 0
		.amdhsa_float_denorm_mode_32 3
		.amdhsa_float_denorm_mode_16_64 3
		.amdhsa_fp16_overflow 0
		.amdhsa_memory_ordered 1
		.amdhsa_forward_progress 1
		.amdhsa_inst_pref_size 77
		.amdhsa_round_robin_scheduling 0
		.amdhsa_exception_fp_ieee_invalid_op 0
		.amdhsa_exception_fp_denorm_src 0
		.amdhsa_exception_fp_ieee_div_zero 0
		.amdhsa_exception_fp_ieee_overflow 0
		.amdhsa_exception_fp_ieee_underflow 0
		.amdhsa_exception_fp_ieee_inexact 0
		.amdhsa_exception_int_div_zero 0
	.end_amdhsa_kernel
	.section	.text._ZN9rocsparseL18bsrxmvn_4x4_kernelILj128ELj64E21rocsparse_complex_numIdEllS1_IfES2_S2_EEvT3_20rocsparse_direction_NS_24const_host_device_scalarIT1_EES4_PKS4_PKT2_SD_SA_PKT4_PKT5_S8_PT6_21rocsparse_index_base_b,"axG",@progbits,_ZN9rocsparseL18bsrxmvn_4x4_kernelILj128ELj64E21rocsparse_complex_numIdEllS1_IfES2_S2_EEvT3_20rocsparse_direction_NS_24const_host_device_scalarIT1_EES4_PKS4_PKT2_SD_SA_PKT4_PKT5_S8_PT6_21rocsparse_index_base_b,comdat
.Lfunc_end179:
	.size	_ZN9rocsparseL18bsrxmvn_4x4_kernelILj128ELj64E21rocsparse_complex_numIdEllS1_IfES2_S2_EEvT3_20rocsparse_direction_NS_24const_host_device_scalarIT1_EES4_PKS4_PKT2_SD_SA_PKT4_PKT5_S8_PT6_21rocsparse_index_base_b, .Lfunc_end179-_ZN9rocsparseL18bsrxmvn_4x4_kernelILj128ELj64E21rocsparse_complex_numIdEllS1_IfES2_S2_EEvT3_20rocsparse_direction_NS_24const_host_device_scalarIT1_EES4_PKS4_PKT2_SD_SA_PKT4_PKT5_S8_PT6_21rocsparse_index_base_b
                                        ; -- End function
	.set _ZN9rocsparseL18bsrxmvn_4x4_kernelILj128ELj64E21rocsparse_complex_numIdEllS1_IfES2_S2_EEvT3_20rocsparse_direction_NS_24const_host_device_scalarIT1_EES4_PKS4_PKT2_SD_SA_PKT4_PKT5_S8_PT6_21rocsparse_index_base_b.num_vgpr, 152
	.set _ZN9rocsparseL18bsrxmvn_4x4_kernelILj128ELj64E21rocsparse_complex_numIdEllS1_IfES2_S2_EEvT3_20rocsparse_direction_NS_24const_host_device_scalarIT1_EES4_PKS4_PKT2_SD_SA_PKT4_PKT5_S8_PT6_21rocsparse_index_base_b.num_agpr, 0
	.set _ZN9rocsparseL18bsrxmvn_4x4_kernelILj128ELj64E21rocsparse_complex_numIdEllS1_IfES2_S2_EEvT3_20rocsparse_direction_NS_24const_host_device_scalarIT1_EES4_PKS4_PKT2_SD_SA_PKT4_PKT5_S8_PT6_21rocsparse_index_base_b.numbered_sgpr, 12
	.set _ZN9rocsparseL18bsrxmvn_4x4_kernelILj128ELj64E21rocsparse_complex_numIdEllS1_IfES2_S2_EEvT3_20rocsparse_direction_NS_24const_host_device_scalarIT1_EES4_PKS4_PKT2_SD_SA_PKT4_PKT5_S8_PT6_21rocsparse_index_base_b.num_named_barrier, 0
	.set _ZN9rocsparseL18bsrxmvn_4x4_kernelILj128ELj64E21rocsparse_complex_numIdEllS1_IfES2_S2_EEvT3_20rocsparse_direction_NS_24const_host_device_scalarIT1_EES4_PKS4_PKT2_SD_SA_PKT4_PKT5_S8_PT6_21rocsparse_index_base_b.private_seg_size, 0
	.set _ZN9rocsparseL18bsrxmvn_4x4_kernelILj128ELj64E21rocsparse_complex_numIdEllS1_IfES2_S2_EEvT3_20rocsparse_direction_NS_24const_host_device_scalarIT1_EES4_PKS4_PKT2_SD_SA_PKT4_PKT5_S8_PT6_21rocsparse_index_base_b.uses_vcc, 1
	.set _ZN9rocsparseL18bsrxmvn_4x4_kernelILj128ELj64E21rocsparse_complex_numIdEllS1_IfES2_S2_EEvT3_20rocsparse_direction_NS_24const_host_device_scalarIT1_EES4_PKS4_PKT2_SD_SA_PKT4_PKT5_S8_PT6_21rocsparse_index_base_b.uses_flat_scratch, 0
	.set _ZN9rocsparseL18bsrxmvn_4x4_kernelILj128ELj64E21rocsparse_complex_numIdEllS1_IfES2_S2_EEvT3_20rocsparse_direction_NS_24const_host_device_scalarIT1_EES4_PKS4_PKT2_SD_SA_PKT4_PKT5_S8_PT6_21rocsparse_index_base_b.has_dyn_sized_stack, 0
	.set _ZN9rocsparseL18bsrxmvn_4x4_kernelILj128ELj64E21rocsparse_complex_numIdEllS1_IfES2_S2_EEvT3_20rocsparse_direction_NS_24const_host_device_scalarIT1_EES4_PKS4_PKT2_SD_SA_PKT4_PKT5_S8_PT6_21rocsparse_index_base_b.has_recursion, 0
	.set _ZN9rocsparseL18bsrxmvn_4x4_kernelILj128ELj64E21rocsparse_complex_numIdEllS1_IfES2_S2_EEvT3_20rocsparse_direction_NS_24const_host_device_scalarIT1_EES4_PKS4_PKT2_SD_SA_PKT4_PKT5_S8_PT6_21rocsparse_index_base_b.has_indirect_call, 0
	.section	.AMDGPU.csdata,"",@progbits
; Kernel info:
; codeLenInByte = 9784
; TotalNumSgprs: 14
; NumVgprs: 152
; ScratchSize: 0
; MemoryBound: 0
; FloatMode: 240
; IeeeMode: 1
; LDSByteSize: 0 bytes/workgroup (compile time only)
; SGPRBlocks: 0
; VGPRBlocks: 9
; NumSGPRsForWavesPerEU: 14
; NumVGPRsForWavesPerEU: 152
; NamedBarCnt: 0
; Occupancy: 6
; WaveLimiterHint : 1
; COMPUTE_PGM_RSRC2:SCRATCH_EN: 0
; COMPUTE_PGM_RSRC2:USER_SGPR: 2
; COMPUTE_PGM_RSRC2:TRAP_HANDLER: 0
; COMPUTE_PGM_RSRC2:TGID_X_EN: 1
; COMPUTE_PGM_RSRC2:TGID_Y_EN: 0
; COMPUTE_PGM_RSRC2:TGID_Z_EN: 0
; COMPUTE_PGM_RSRC2:TIDIG_COMP_CNT: 0
	.section	.AMDGPU.gpr_maximums,"",@progbits
	.set amdgpu.max_num_vgpr, 0
	.set amdgpu.max_num_agpr, 0
	.set amdgpu.max_num_sgpr, 0
	.section	.AMDGPU.csdata,"",@progbits
	.type	__hip_cuid_e32569b83654977c,@object ; @__hip_cuid_e32569b83654977c
	.section	.bss,"aw",@nobits
	.globl	__hip_cuid_e32569b83654977c
__hip_cuid_e32569b83654977c:
	.byte	0                               ; 0x0
	.size	__hip_cuid_e32569b83654977c, 1

	.ident	"AMD clang version 22.0.0git (https://github.com/RadeonOpenCompute/llvm-project roc-7.2.4 26084 f58b06dce1f9c15707c5f808fd002e18c2accf7e)"
	.section	".note.GNU-stack","",@progbits
	.addrsig
	.addrsig_sym __hip_cuid_e32569b83654977c
	.amdgpu_metadata
---
amdhsa.kernels:
  - .args:
      - .offset:         0
        .size:           4
        .value_kind:     by_value
      - .offset:         4
        .size:           4
        .value_kind:     by_value
      - .offset:         8
        .size:           8
        .value_kind:     by_value
      - .offset:         16
        .size:           4
        .value_kind:     by_value
      - .actual_access:  read_only
        .address_space:  global
        .offset:         24
        .size:           8
        .value_kind:     global_buffer
      - .actual_access:  read_only
        .address_space:  global
        .offset:         32
        .size:           8
        .value_kind:     global_buffer
      - .actual_access:  read_only
        .address_space:  global
        .offset:         40
        .size:           8
        .value_kind:     global_buffer
      - .actual_access:  read_only
        .address_space:  global
        .offset:         48
        .size:           8
        .value_kind:     global_buffer
      - .actual_access:  read_only
        .address_space:  global
        .offset:         56
        .size:           8
        .value_kind:     global_buffer
      - .actual_access:  read_only
        .address_space:  global
        .offset:         64
        .size:           8
        .value_kind:     global_buffer
      - .offset:         72
        .size:           8
        .value_kind:     by_value
      - .address_space:  global
        .offset:         80
        .size:           8
        .value_kind:     global_buffer
      - .offset:         88
        .size:           4
        .value_kind:     by_value
      - .offset:         92
        .size:           1
        .value_kind:     by_value
    .group_segment_fixed_size: 0
    .kernarg_segment_align: 8
    .kernarg_segment_size: 96
    .language:       OpenCL C
    .language_version:
      - 2
      - 0
    .max_flat_workgroup_size: 128
    .name:           _ZN9rocsparseL18bsrxmvn_4x4_kernelILj128ELj4EfiifffEEvT3_20rocsparse_direction_NS_24const_host_device_scalarIT1_EES1_PKS1_PKT2_SA_S7_PKT4_PKT5_S5_PT6_21rocsparse_index_base_b
    .private_segment_fixed_size: 0
    .sgpr_count:     20
    .sgpr_spill_count: 0
    .symbol:         _ZN9rocsparseL18bsrxmvn_4x4_kernelILj128ELj4EfiifffEEvT3_20rocsparse_direction_NS_24const_host_device_scalarIT1_EES1_PKS1_PKT2_SA_S7_PKT4_PKT5_S5_PT6_21rocsparse_index_base_b.kd
    .uniform_work_group_size: 1
    .uses_dynamic_stack: false
    .vgpr_count:     73
    .vgpr_spill_count: 0
    .wavefront_size: 32
  - .args:
      - .offset:         0
        .size:           4
        .value_kind:     by_value
      - .offset:         4
        .size:           4
        .value_kind:     by_value
      - .offset:         8
        .size:           8
        .value_kind:     by_value
      - .offset:         16
        .size:           4
        .value_kind:     by_value
      - .actual_access:  read_only
        .address_space:  global
        .offset:         24
        .size:           8
        .value_kind:     global_buffer
      - .actual_access:  read_only
        .address_space:  global
        .offset:         32
        .size:           8
        .value_kind:     global_buffer
      - .actual_access:  read_only
        .address_space:  global
        .offset:         40
        .size:           8
        .value_kind:     global_buffer
      - .actual_access:  read_only
        .address_space:  global
        .offset:         48
        .size:           8
        .value_kind:     global_buffer
      - .actual_access:  read_only
        .address_space:  global
        .offset:         56
        .size:           8
        .value_kind:     global_buffer
      - .actual_access:  read_only
        .address_space:  global
        .offset:         64
        .size:           8
        .value_kind:     global_buffer
      - .offset:         72
        .size:           8
        .value_kind:     by_value
      - .address_space:  global
        .offset:         80
        .size:           8
        .value_kind:     global_buffer
      - .offset:         88
        .size:           4
        .value_kind:     by_value
      - .offset:         92
        .size:           1
        .value_kind:     by_value
    .group_segment_fixed_size: 0
    .kernarg_segment_align: 8
    .kernarg_segment_size: 96
    .language:       OpenCL C
    .language_version:
      - 2
      - 0
    .max_flat_workgroup_size: 128
    .name:           _ZN9rocsparseL18bsrxmvn_4x4_kernelILj128ELj8EfiifffEEvT3_20rocsparse_direction_NS_24const_host_device_scalarIT1_EES1_PKS1_PKT2_SA_S7_PKT4_PKT5_S5_PT6_21rocsparse_index_base_b
    .private_segment_fixed_size: 0
    .sgpr_count:     20
    .sgpr_spill_count: 0
    .symbol:         _ZN9rocsparseL18bsrxmvn_4x4_kernelILj128ELj8EfiifffEEvT3_20rocsparse_direction_NS_24const_host_device_scalarIT1_EES1_PKS1_PKT2_SA_S7_PKT4_PKT5_S5_PT6_21rocsparse_index_base_b.kd
    .uniform_work_group_size: 1
    .uses_dynamic_stack: false
    .vgpr_count:     73
    .vgpr_spill_count: 0
    .wavefront_size: 32
  - .args:
      - .offset:         0
        .size:           4
        .value_kind:     by_value
      - .offset:         4
        .size:           4
        .value_kind:     by_value
      - .offset:         8
        .size:           8
        .value_kind:     by_value
      - .offset:         16
        .size:           4
        .value_kind:     by_value
      - .actual_access:  read_only
        .address_space:  global
        .offset:         24
        .size:           8
        .value_kind:     global_buffer
      - .actual_access:  read_only
        .address_space:  global
        .offset:         32
        .size:           8
        .value_kind:     global_buffer
      - .actual_access:  read_only
        .address_space:  global
        .offset:         40
        .size:           8
        .value_kind:     global_buffer
      - .actual_access:  read_only
        .address_space:  global
        .offset:         48
        .size:           8
        .value_kind:     global_buffer
      - .actual_access:  read_only
        .address_space:  global
        .offset:         56
        .size:           8
        .value_kind:     global_buffer
      - .actual_access:  read_only
        .address_space:  global
        .offset:         64
        .size:           8
        .value_kind:     global_buffer
      - .offset:         72
        .size:           8
        .value_kind:     by_value
      - .address_space:  global
        .offset:         80
        .size:           8
        .value_kind:     global_buffer
      - .offset:         88
        .size:           4
        .value_kind:     by_value
      - .offset:         92
        .size:           1
        .value_kind:     by_value
    .group_segment_fixed_size: 0
    .kernarg_segment_align: 8
    .kernarg_segment_size: 96
    .language:       OpenCL C
    .language_version:
      - 2
      - 0
    .max_flat_workgroup_size: 128
    .name:           _ZN9rocsparseL18bsrxmvn_4x4_kernelILj128ELj16EfiifffEEvT3_20rocsparse_direction_NS_24const_host_device_scalarIT1_EES1_PKS1_PKT2_SA_S7_PKT4_PKT5_S5_PT6_21rocsparse_index_base_b
    .private_segment_fixed_size: 0
    .sgpr_count:     20
    .sgpr_spill_count: 0
    .symbol:         _ZN9rocsparseL18bsrxmvn_4x4_kernelILj128ELj16EfiifffEEvT3_20rocsparse_direction_NS_24const_host_device_scalarIT1_EES1_PKS1_PKT2_SA_S7_PKT4_PKT5_S5_PT6_21rocsparse_index_base_b.kd
    .uniform_work_group_size: 1
    .uses_dynamic_stack: false
    .vgpr_count:     73
    .vgpr_spill_count: 0
    .wavefront_size: 32
  - .args:
      - .offset:         0
        .size:           4
        .value_kind:     by_value
      - .offset:         4
        .size:           4
        .value_kind:     by_value
      - .offset:         8
        .size:           8
        .value_kind:     by_value
      - .offset:         16
        .size:           4
        .value_kind:     by_value
      - .actual_access:  read_only
        .address_space:  global
        .offset:         24
        .size:           8
        .value_kind:     global_buffer
      - .actual_access:  read_only
        .address_space:  global
        .offset:         32
        .size:           8
        .value_kind:     global_buffer
      - .actual_access:  read_only
        .address_space:  global
        .offset:         40
        .size:           8
        .value_kind:     global_buffer
      - .actual_access:  read_only
        .address_space:  global
        .offset:         48
        .size:           8
        .value_kind:     global_buffer
      - .actual_access:  read_only
        .address_space:  global
        .offset:         56
        .size:           8
        .value_kind:     global_buffer
      - .actual_access:  read_only
        .address_space:  global
        .offset:         64
        .size:           8
        .value_kind:     global_buffer
      - .offset:         72
        .size:           8
        .value_kind:     by_value
      - .address_space:  global
        .offset:         80
        .size:           8
        .value_kind:     global_buffer
      - .offset:         88
        .size:           4
        .value_kind:     by_value
      - .offset:         92
        .size:           1
        .value_kind:     by_value
    .group_segment_fixed_size: 0
    .kernarg_segment_align: 8
    .kernarg_segment_size: 96
    .language:       OpenCL C
    .language_version:
      - 2
      - 0
    .max_flat_workgroup_size: 128
    .name:           _ZN9rocsparseL18bsrxmvn_4x4_kernelILj128ELj32EfiifffEEvT3_20rocsparse_direction_NS_24const_host_device_scalarIT1_EES1_PKS1_PKT2_SA_S7_PKT4_PKT5_S5_PT6_21rocsparse_index_base_b
    .private_segment_fixed_size: 0
    .sgpr_count:     20
    .sgpr_spill_count: 0
    .symbol:         _ZN9rocsparseL18bsrxmvn_4x4_kernelILj128ELj32EfiifffEEvT3_20rocsparse_direction_NS_24const_host_device_scalarIT1_EES1_PKS1_PKT2_SA_S7_PKT4_PKT5_S5_PT6_21rocsparse_index_base_b.kd
    .uniform_work_group_size: 1
    .uses_dynamic_stack: false
    .vgpr_count:     73
    .vgpr_spill_count: 0
    .wavefront_size: 32
  - .args:
      - .offset:         0
        .size:           4
        .value_kind:     by_value
      - .offset:         4
        .size:           4
        .value_kind:     by_value
      - .offset:         8
        .size:           8
        .value_kind:     by_value
      - .offset:         16
        .size:           4
        .value_kind:     by_value
      - .actual_access:  read_only
        .address_space:  global
        .offset:         24
        .size:           8
        .value_kind:     global_buffer
      - .actual_access:  read_only
        .address_space:  global
        .offset:         32
        .size:           8
        .value_kind:     global_buffer
      - .actual_access:  read_only
        .address_space:  global
        .offset:         40
        .size:           8
        .value_kind:     global_buffer
      - .actual_access:  read_only
        .address_space:  global
        .offset:         48
        .size:           8
        .value_kind:     global_buffer
      - .actual_access:  read_only
        .address_space:  global
        .offset:         56
        .size:           8
        .value_kind:     global_buffer
      - .actual_access:  read_only
        .address_space:  global
        .offset:         64
        .size:           8
        .value_kind:     global_buffer
      - .offset:         72
        .size:           8
        .value_kind:     by_value
      - .address_space:  global
        .offset:         80
        .size:           8
        .value_kind:     global_buffer
      - .offset:         88
        .size:           4
        .value_kind:     by_value
      - .offset:         92
        .size:           1
        .value_kind:     by_value
    .group_segment_fixed_size: 0
    .kernarg_segment_align: 8
    .kernarg_segment_size: 96
    .language:       OpenCL C
    .language_version:
      - 2
      - 0
    .max_flat_workgroup_size: 128
    .name:           _ZN9rocsparseL18bsrxmvn_4x4_kernelILj128ELj64EfiifffEEvT3_20rocsparse_direction_NS_24const_host_device_scalarIT1_EES1_PKS1_PKT2_SA_S7_PKT4_PKT5_S5_PT6_21rocsparse_index_base_b
    .private_segment_fixed_size: 0
    .sgpr_count:     20
    .sgpr_spill_count: 0
    .symbol:         _ZN9rocsparseL18bsrxmvn_4x4_kernelILj128ELj64EfiifffEEvT3_20rocsparse_direction_NS_24const_host_device_scalarIT1_EES1_PKS1_PKT2_SA_S7_PKT4_PKT5_S5_PT6_21rocsparse_index_base_b.kd
    .uniform_work_group_size: 1
    .uses_dynamic_stack: false
    .vgpr_count:     73
    .vgpr_spill_count: 0
    .wavefront_size: 32
  - .args:
      - .offset:         0
        .size:           4
        .value_kind:     by_value
      - .offset:         4
        .size:           4
        .value_kind:     by_value
      - .offset:         8
        .size:           8
        .value_kind:     by_value
      - .offset:         16
        .size:           4
        .value_kind:     by_value
      - .actual_access:  read_only
        .address_space:  global
        .offset:         24
        .size:           8
        .value_kind:     global_buffer
      - .actual_access:  read_only
        .address_space:  global
        .offset:         32
        .size:           8
        .value_kind:     global_buffer
      - .actual_access:  read_only
        .address_space:  global
        .offset:         40
        .size:           8
        .value_kind:     global_buffer
      - .actual_access:  read_only
        .address_space:  global
        .offset:         48
        .size:           8
        .value_kind:     global_buffer
      - .actual_access:  read_only
        .address_space:  global
        .offset:         56
        .size:           8
        .value_kind:     global_buffer
      - .actual_access:  read_only
        .address_space:  global
        .offset:         64
        .size:           8
        .value_kind:     global_buffer
      - .offset:         72
        .size:           8
        .value_kind:     by_value
      - .address_space:  global
        .offset:         80
        .size:           8
        .value_kind:     global_buffer
      - .offset:         88
        .size:           4
        .value_kind:     by_value
      - .offset:         92
        .size:           1
        .value_kind:     by_value
    .group_segment_fixed_size: 0
    .kernarg_segment_align: 8
    .kernarg_segment_size: 96
    .language:       OpenCL C
    .language_version:
      - 2
      - 0
    .max_flat_workgroup_size: 128
    .name:           _ZN9rocsparseL18bsrxmvn_4x4_kernelILj128ELj4EdiidddEEvT3_20rocsparse_direction_NS_24const_host_device_scalarIT1_EES1_PKS1_PKT2_SA_S7_PKT4_PKT5_S5_PT6_21rocsparse_index_base_b
    .private_segment_fixed_size: 0
    .sgpr_count:     16
    .sgpr_spill_count: 0
    .symbol:         _ZN9rocsparseL18bsrxmvn_4x4_kernelILj128ELj4EdiidddEEvT3_20rocsparse_direction_NS_24const_host_device_scalarIT1_EES1_PKS1_PKT2_SA_S7_PKT4_PKT5_S5_PT6_21rocsparse_index_base_b.kd
    .uniform_work_group_size: 1
    .uses_dynamic_stack: false
    .vgpr_count:     136
    .vgpr_spill_count: 0
    .wavefront_size: 32
  - .args:
      - .offset:         0
        .size:           4
        .value_kind:     by_value
      - .offset:         4
        .size:           4
        .value_kind:     by_value
      - .offset:         8
        .size:           8
        .value_kind:     by_value
      - .offset:         16
        .size:           4
        .value_kind:     by_value
      - .actual_access:  read_only
        .address_space:  global
        .offset:         24
        .size:           8
        .value_kind:     global_buffer
      - .actual_access:  read_only
        .address_space:  global
        .offset:         32
        .size:           8
        .value_kind:     global_buffer
      - .actual_access:  read_only
        .address_space:  global
        .offset:         40
        .size:           8
        .value_kind:     global_buffer
      - .actual_access:  read_only
        .address_space:  global
        .offset:         48
        .size:           8
        .value_kind:     global_buffer
      - .actual_access:  read_only
        .address_space:  global
        .offset:         56
        .size:           8
        .value_kind:     global_buffer
      - .actual_access:  read_only
        .address_space:  global
        .offset:         64
        .size:           8
        .value_kind:     global_buffer
      - .offset:         72
        .size:           8
        .value_kind:     by_value
      - .address_space:  global
        .offset:         80
        .size:           8
        .value_kind:     global_buffer
      - .offset:         88
        .size:           4
        .value_kind:     by_value
      - .offset:         92
        .size:           1
        .value_kind:     by_value
    .group_segment_fixed_size: 0
    .kernarg_segment_align: 8
    .kernarg_segment_size: 96
    .language:       OpenCL C
    .language_version:
      - 2
      - 0
    .max_flat_workgroup_size: 128
    .name:           _ZN9rocsparseL18bsrxmvn_4x4_kernelILj128ELj8EdiidddEEvT3_20rocsparse_direction_NS_24const_host_device_scalarIT1_EES1_PKS1_PKT2_SA_S7_PKT4_PKT5_S5_PT6_21rocsparse_index_base_b
    .private_segment_fixed_size: 0
    .sgpr_count:     16
    .sgpr_spill_count: 0
    .symbol:         _ZN9rocsparseL18bsrxmvn_4x4_kernelILj128ELj8EdiidddEEvT3_20rocsparse_direction_NS_24const_host_device_scalarIT1_EES1_PKS1_PKT2_SA_S7_PKT4_PKT5_S5_PT6_21rocsparse_index_base_b.kd
    .uniform_work_group_size: 1
    .uses_dynamic_stack: false
    .vgpr_count:     136
    .vgpr_spill_count: 0
    .wavefront_size: 32
  - .args:
      - .offset:         0
        .size:           4
        .value_kind:     by_value
      - .offset:         4
        .size:           4
        .value_kind:     by_value
      - .offset:         8
        .size:           8
        .value_kind:     by_value
      - .offset:         16
        .size:           4
        .value_kind:     by_value
      - .actual_access:  read_only
        .address_space:  global
        .offset:         24
        .size:           8
        .value_kind:     global_buffer
      - .actual_access:  read_only
        .address_space:  global
        .offset:         32
        .size:           8
        .value_kind:     global_buffer
      - .actual_access:  read_only
        .address_space:  global
        .offset:         40
        .size:           8
        .value_kind:     global_buffer
      - .actual_access:  read_only
        .address_space:  global
        .offset:         48
        .size:           8
        .value_kind:     global_buffer
      - .actual_access:  read_only
        .address_space:  global
        .offset:         56
        .size:           8
        .value_kind:     global_buffer
      - .actual_access:  read_only
        .address_space:  global
        .offset:         64
        .size:           8
        .value_kind:     global_buffer
      - .offset:         72
        .size:           8
        .value_kind:     by_value
      - .address_space:  global
        .offset:         80
        .size:           8
        .value_kind:     global_buffer
      - .offset:         88
        .size:           4
        .value_kind:     by_value
      - .offset:         92
        .size:           1
        .value_kind:     by_value
    .group_segment_fixed_size: 0
    .kernarg_segment_align: 8
    .kernarg_segment_size: 96
    .language:       OpenCL C
    .language_version:
      - 2
      - 0
    .max_flat_workgroup_size: 128
    .name:           _ZN9rocsparseL18bsrxmvn_4x4_kernelILj128ELj16EdiidddEEvT3_20rocsparse_direction_NS_24const_host_device_scalarIT1_EES1_PKS1_PKT2_SA_S7_PKT4_PKT5_S5_PT6_21rocsparse_index_base_b
    .private_segment_fixed_size: 0
    .sgpr_count:     16
    .sgpr_spill_count: 0
    .symbol:         _ZN9rocsparseL18bsrxmvn_4x4_kernelILj128ELj16EdiidddEEvT3_20rocsparse_direction_NS_24const_host_device_scalarIT1_EES1_PKS1_PKT2_SA_S7_PKT4_PKT5_S5_PT6_21rocsparse_index_base_b.kd
    .uniform_work_group_size: 1
    .uses_dynamic_stack: false
    .vgpr_count:     136
    .vgpr_spill_count: 0
    .wavefront_size: 32
  - .args:
      - .offset:         0
        .size:           4
        .value_kind:     by_value
      - .offset:         4
        .size:           4
        .value_kind:     by_value
      - .offset:         8
        .size:           8
        .value_kind:     by_value
      - .offset:         16
        .size:           4
        .value_kind:     by_value
      - .actual_access:  read_only
        .address_space:  global
        .offset:         24
        .size:           8
        .value_kind:     global_buffer
      - .actual_access:  read_only
        .address_space:  global
        .offset:         32
        .size:           8
        .value_kind:     global_buffer
      - .actual_access:  read_only
        .address_space:  global
        .offset:         40
        .size:           8
        .value_kind:     global_buffer
      - .actual_access:  read_only
        .address_space:  global
        .offset:         48
        .size:           8
        .value_kind:     global_buffer
      - .actual_access:  read_only
        .address_space:  global
        .offset:         56
        .size:           8
        .value_kind:     global_buffer
      - .actual_access:  read_only
        .address_space:  global
        .offset:         64
        .size:           8
        .value_kind:     global_buffer
      - .offset:         72
        .size:           8
        .value_kind:     by_value
      - .address_space:  global
        .offset:         80
        .size:           8
        .value_kind:     global_buffer
      - .offset:         88
        .size:           4
        .value_kind:     by_value
      - .offset:         92
        .size:           1
        .value_kind:     by_value
    .group_segment_fixed_size: 0
    .kernarg_segment_align: 8
    .kernarg_segment_size: 96
    .language:       OpenCL C
    .language_version:
      - 2
      - 0
    .max_flat_workgroup_size: 128
    .name:           _ZN9rocsparseL18bsrxmvn_4x4_kernelILj128ELj32EdiidddEEvT3_20rocsparse_direction_NS_24const_host_device_scalarIT1_EES1_PKS1_PKT2_SA_S7_PKT4_PKT5_S5_PT6_21rocsparse_index_base_b
    .private_segment_fixed_size: 0
    .sgpr_count:     16
    .sgpr_spill_count: 0
    .symbol:         _ZN9rocsparseL18bsrxmvn_4x4_kernelILj128ELj32EdiidddEEvT3_20rocsparse_direction_NS_24const_host_device_scalarIT1_EES1_PKS1_PKT2_SA_S7_PKT4_PKT5_S5_PT6_21rocsparse_index_base_b.kd
    .uniform_work_group_size: 1
    .uses_dynamic_stack: false
    .vgpr_count:     136
    .vgpr_spill_count: 0
    .wavefront_size: 32
  - .args:
      - .offset:         0
        .size:           4
        .value_kind:     by_value
      - .offset:         4
        .size:           4
        .value_kind:     by_value
      - .offset:         8
        .size:           8
        .value_kind:     by_value
      - .offset:         16
        .size:           4
        .value_kind:     by_value
      - .actual_access:  read_only
        .address_space:  global
        .offset:         24
        .size:           8
        .value_kind:     global_buffer
      - .actual_access:  read_only
        .address_space:  global
        .offset:         32
        .size:           8
        .value_kind:     global_buffer
      - .actual_access:  read_only
        .address_space:  global
        .offset:         40
        .size:           8
        .value_kind:     global_buffer
      - .actual_access:  read_only
        .address_space:  global
        .offset:         48
        .size:           8
        .value_kind:     global_buffer
      - .actual_access:  read_only
        .address_space:  global
        .offset:         56
        .size:           8
        .value_kind:     global_buffer
      - .actual_access:  read_only
        .address_space:  global
        .offset:         64
        .size:           8
        .value_kind:     global_buffer
      - .offset:         72
        .size:           8
        .value_kind:     by_value
      - .address_space:  global
        .offset:         80
        .size:           8
        .value_kind:     global_buffer
      - .offset:         88
        .size:           4
        .value_kind:     by_value
      - .offset:         92
        .size:           1
        .value_kind:     by_value
    .group_segment_fixed_size: 0
    .kernarg_segment_align: 8
    .kernarg_segment_size: 96
    .language:       OpenCL C
    .language_version:
      - 2
      - 0
    .max_flat_workgroup_size: 128
    .name:           _ZN9rocsparseL18bsrxmvn_4x4_kernelILj128ELj64EdiidddEEvT3_20rocsparse_direction_NS_24const_host_device_scalarIT1_EES1_PKS1_PKT2_SA_S7_PKT4_PKT5_S5_PT6_21rocsparse_index_base_b
    .private_segment_fixed_size: 0
    .sgpr_count:     16
    .sgpr_spill_count: 0
    .symbol:         _ZN9rocsparseL18bsrxmvn_4x4_kernelILj128ELj64EdiidddEEvT3_20rocsparse_direction_NS_24const_host_device_scalarIT1_EES1_PKS1_PKT2_SA_S7_PKT4_PKT5_S5_PT6_21rocsparse_index_base_b.kd
    .uniform_work_group_size: 1
    .uses_dynamic_stack: false
    .vgpr_count:     136
    .vgpr_spill_count: 0
    .wavefront_size: 32
  - .args:
      - .offset:         0
        .size:           4
        .value_kind:     by_value
      - .offset:         4
        .size:           4
        .value_kind:     by_value
      - .offset:         8
        .size:           8
        .value_kind:     by_value
      - .offset:         16
        .size:           4
        .value_kind:     by_value
      - .actual_access:  read_only
        .address_space:  global
        .offset:         24
        .size:           8
        .value_kind:     global_buffer
      - .actual_access:  read_only
        .address_space:  global
        .offset:         32
        .size:           8
        .value_kind:     global_buffer
      - .actual_access:  read_only
        .address_space:  global
        .offset:         40
        .size:           8
        .value_kind:     global_buffer
      - .actual_access:  read_only
        .address_space:  global
        .offset:         48
        .size:           8
        .value_kind:     global_buffer
      - .actual_access:  read_only
        .address_space:  global
        .offset:         56
        .size:           8
        .value_kind:     global_buffer
      - .actual_access:  read_only
        .address_space:  global
        .offset:         64
        .size:           8
        .value_kind:     global_buffer
      - .offset:         72
        .size:           8
        .value_kind:     by_value
      - .address_space:  global
        .offset:         80
        .size:           8
        .value_kind:     global_buffer
      - .offset:         88
        .size:           4
        .value_kind:     by_value
      - .offset:         92
        .size:           1
        .value_kind:     by_value
    .group_segment_fixed_size: 0
    .kernarg_segment_align: 8
    .kernarg_segment_size: 96
    .language:       OpenCL C
    .language_version:
      - 2
      - 0
    .max_flat_workgroup_size: 128
    .name:           _ZN9rocsparseL18bsrxmvn_4x4_kernelILj128ELj4E21rocsparse_complex_numIfEiiS2_S2_S2_EEvT3_20rocsparse_direction_NS_24const_host_device_scalarIT1_EES3_PKS3_PKT2_SC_S9_PKT4_PKT5_S7_PT6_21rocsparse_index_base_b
    .private_segment_fixed_size: 0
    .sgpr_count:     18
    .sgpr_spill_count: 0
    .symbol:         _ZN9rocsparseL18bsrxmvn_4x4_kernelILj128ELj4E21rocsparse_complex_numIfEiiS2_S2_S2_EEvT3_20rocsparse_direction_NS_24const_host_device_scalarIT1_EES3_PKS3_PKT2_SC_S9_PKT4_PKT5_S7_PT6_21rocsparse_index_base_b.kd
    .uniform_work_group_size: 1
    .uses_dynamic_stack: false
    .vgpr_count:     139
    .vgpr_spill_count: 0
    .wavefront_size: 32
  - .args:
      - .offset:         0
        .size:           4
        .value_kind:     by_value
      - .offset:         4
        .size:           4
        .value_kind:     by_value
      - .offset:         8
        .size:           8
        .value_kind:     by_value
      - .offset:         16
        .size:           4
        .value_kind:     by_value
      - .actual_access:  read_only
        .address_space:  global
        .offset:         24
        .size:           8
        .value_kind:     global_buffer
      - .actual_access:  read_only
        .address_space:  global
        .offset:         32
        .size:           8
        .value_kind:     global_buffer
      - .actual_access:  read_only
        .address_space:  global
        .offset:         40
        .size:           8
        .value_kind:     global_buffer
      - .actual_access:  read_only
        .address_space:  global
        .offset:         48
        .size:           8
        .value_kind:     global_buffer
      - .actual_access:  read_only
        .address_space:  global
        .offset:         56
        .size:           8
        .value_kind:     global_buffer
      - .actual_access:  read_only
        .address_space:  global
        .offset:         64
        .size:           8
        .value_kind:     global_buffer
      - .offset:         72
        .size:           8
        .value_kind:     by_value
      - .address_space:  global
        .offset:         80
        .size:           8
        .value_kind:     global_buffer
      - .offset:         88
        .size:           4
        .value_kind:     by_value
      - .offset:         92
        .size:           1
        .value_kind:     by_value
    .group_segment_fixed_size: 0
    .kernarg_segment_align: 8
    .kernarg_segment_size: 96
    .language:       OpenCL C
    .language_version:
      - 2
      - 0
    .max_flat_workgroup_size: 128
    .name:           _ZN9rocsparseL18bsrxmvn_4x4_kernelILj128ELj8E21rocsparse_complex_numIfEiiS2_S2_S2_EEvT3_20rocsparse_direction_NS_24const_host_device_scalarIT1_EES3_PKS3_PKT2_SC_S9_PKT4_PKT5_S7_PT6_21rocsparse_index_base_b
    .private_segment_fixed_size: 0
    .sgpr_count:     18
    .sgpr_spill_count: 0
    .symbol:         _ZN9rocsparseL18bsrxmvn_4x4_kernelILj128ELj8E21rocsparse_complex_numIfEiiS2_S2_S2_EEvT3_20rocsparse_direction_NS_24const_host_device_scalarIT1_EES3_PKS3_PKT2_SC_S9_PKT4_PKT5_S7_PT6_21rocsparse_index_base_b.kd
    .uniform_work_group_size: 1
    .uses_dynamic_stack: false
    .vgpr_count:     139
    .vgpr_spill_count: 0
    .wavefront_size: 32
  - .args:
      - .offset:         0
        .size:           4
        .value_kind:     by_value
      - .offset:         4
        .size:           4
        .value_kind:     by_value
      - .offset:         8
        .size:           8
        .value_kind:     by_value
      - .offset:         16
        .size:           4
        .value_kind:     by_value
      - .actual_access:  read_only
        .address_space:  global
        .offset:         24
        .size:           8
        .value_kind:     global_buffer
      - .actual_access:  read_only
        .address_space:  global
        .offset:         32
        .size:           8
        .value_kind:     global_buffer
      - .actual_access:  read_only
        .address_space:  global
        .offset:         40
        .size:           8
        .value_kind:     global_buffer
      - .actual_access:  read_only
        .address_space:  global
        .offset:         48
        .size:           8
        .value_kind:     global_buffer
      - .actual_access:  read_only
        .address_space:  global
        .offset:         56
        .size:           8
        .value_kind:     global_buffer
      - .actual_access:  read_only
        .address_space:  global
        .offset:         64
        .size:           8
        .value_kind:     global_buffer
      - .offset:         72
        .size:           8
        .value_kind:     by_value
      - .address_space:  global
        .offset:         80
        .size:           8
        .value_kind:     global_buffer
      - .offset:         88
        .size:           4
        .value_kind:     by_value
      - .offset:         92
        .size:           1
        .value_kind:     by_value
    .group_segment_fixed_size: 0
    .kernarg_segment_align: 8
    .kernarg_segment_size: 96
    .language:       OpenCL C
    .language_version:
      - 2
      - 0
    .max_flat_workgroup_size: 128
    .name:           _ZN9rocsparseL18bsrxmvn_4x4_kernelILj128ELj16E21rocsparse_complex_numIfEiiS2_S2_S2_EEvT3_20rocsparse_direction_NS_24const_host_device_scalarIT1_EES3_PKS3_PKT2_SC_S9_PKT4_PKT5_S7_PT6_21rocsparse_index_base_b
    .private_segment_fixed_size: 0
    .sgpr_count:     18
    .sgpr_spill_count: 0
    .symbol:         _ZN9rocsparseL18bsrxmvn_4x4_kernelILj128ELj16E21rocsparse_complex_numIfEiiS2_S2_S2_EEvT3_20rocsparse_direction_NS_24const_host_device_scalarIT1_EES3_PKS3_PKT2_SC_S9_PKT4_PKT5_S7_PT6_21rocsparse_index_base_b.kd
    .uniform_work_group_size: 1
    .uses_dynamic_stack: false
    .vgpr_count:     139
    .vgpr_spill_count: 0
    .wavefront_size: 32
  - .args:
      - .offset:         0
        .size:           4
        .value_kind:     by_value
      - .offset:         4
        .size:           4
        .value_kind:     by_value
      - .offset:         8
        .size:           8
        .value_kind:     by_value
      - .offset:         16
        .size:           4
        .value_kind:     by_value
      - .actual_access:  read_only
        .address_space:  global
        .offset:         24
        .size:           8
        .value_kind:     global_buffer
      - .actual_access:  read_only
        .address_space:  global
        .offset:         32
        .size:           8
        .value_kind:     global_buffer
      - .actual_access:  read_only
        .address_space:  global
        .offset:         40
        .size:           8
        .value_kind:     global_buffer
      - .actual_access:  read_only
        .address_space:  global
        .offset:         48
        .size:           8
        .value_kind:     global_buffer
      - .actual_access:  read_only
        .address_space:  global
        .offset:         56
        .size:           8
        .value_kind:     global_buffer
      - .actual_access:  read_only
        .address_space:  global
        .offset:         64
        .size:           8
        .value_kind:     global_buffer
      - .offset:         72
        .size:           8
        .value_kind:     by_value
      - .address_space:  global
        .offset:         80
        .size:           8
        .value_kind:     global_buffer
      - .offset:         88
        .size:           4
        .value_kind:     by_value
      - .offset:         92
        .size:           1
        .value_kind:     by_value
    .group_segment_fixed_size: 0
    .kernarg_segment_align: 8
    .kernarg_segment_size: 96
    .language:       OpenCL C
    .language_version:
      - 2
      - 0
    .max_flat_workgroup_size: 128
    .name:           _ZN9rocsparseL18bsrxmvn_4x4_kernelILj128ELj32E21rocsparse_complex_numIfEiiS2_S2_S2_EEvT3_20rocsparse_direction_NS_24const_host_device_scalarIT1_EES3_PKS3_PKT2_SC_S9_PKT4_PKT5_S7_PT6_21rocsparse_index_base_b
    .private_segment_fixed_size: 0
    .sgpr_count:     18
    .sgpr_spill_count: 0
    .symbol:         _ZN9rocsparseL18bsrxmvn_4x4_kernelILj128ELj32E21rocsparse_complex_numIfEiiS2_S2_S2_EEvT3_20rocsparse_direction_NS_24const_host_device_scalarIT1_EES3_PKS3_PKT2_SC_S9_PKT4_PKT5_S7_PT6_21rocsparse_index_base_b.kd
    .uniform_work_group_size: 1
    .uses_dynamic_stack: false
    .vgpr_count:     139
    .vgpr_spill_count: 0
    .wavefront_size: 32
  - .args:
      - .offset:         0
        .size:           4
        .value_kind:     by_value
      - .offset:         4
        .size:           4
        .value_kind:     by_value
      - .offset:         8
        .size:           8
        .value_kind:     by_value
      - .offset:         16
        .size:           4
        .value_kind:     by_value
      - .actual_access:  read_only
        .address_space:  global
        .offset:         24
        .size:           8
        .value_kind:     global_buffer
      - .actual_access:  read_only
        .address_space:  global
        .offset:         32
        .size:           8
        .value_kind:     global_buffer
      - .actual_access:  read_only
        .address_space:  global
        .offset:         40
        .size:           8
        .value_kind:     global_buffer
      - .actual_access:  read_only
        .address_space:  global
        .offset:         48
        .size:           8
        .value_kind:     global_buffer
      - .actual_access:  read_only
        .address_space:  global
        .offset:         56
        .size:           8
        .value_kind:     global_buffer
      - .actual_access:  read_only
        .address_space:  global
        .offset:         64
        .size:           8
        .value_kind:     global_buffer
      - .offset:         72
        .size:           8
        .value_kind:     by_value
      - .address_space:  global
        .offset:         80
        .size:           8
        .value_kind:     global_buffer
      - .offset:         88
        .size:           4
        .value_kind:     by_value
      - .offset:         92
        .size:           1
        .value_kind:     by_value
    .group_segment_fixed_size: 0
    .kernarg_segment_align: 8
    .kernarg_segment_size: 96
    .language:       OpenCL C
    .language_version:
      - 2
      - 0
    .max_flat_workgroup_size: 128
    .name:           _ZN9rocsparseL18bsrxmvn_4x4_kernelILj128ELj64E21rocsparse_complex_numIfEiiS2_S2_S2_EEvT3_20rocsparse_direction_NS_24const_host_device_scalarIT1_EES3_PKS3_PKT2_SC_S9_PKT4_PKT5_S7_PT6_21rocsparse_index_base_b
    .private_segment_fixed_size: 0
    .sgpr_count:     18
    .sgpr_spill_count: 0
    .symbol:         _ZN9rocsparseL18bsrxmvn_4x4_kernelILj128ELj64E21rocsparse_complex_numIfEiiS2_S2_S2_EEvT3_20rocsparse_direction_NS_24const_host_device_scalarIT1_EES3_PKS3_PKT2_SC_S9_PKT4_PKT5_S7_PT6_21rocsparse_index_base_b.kd
    .uniform_work_group_size: 1
    .uses_dynamic_stack: false
    .vgpr_count:     139
    .vgpr_spill_count: 0
    .wavefront_size: 32
  - .args:
      - .offset:         0
        .size:           4
        .value_kind:     by_value
      - .offset:         4
        .size:           4
        .value_kind:     by_value
      - .offset:         8
        .size:           16
        .value_kind:     by_value
      - .offset:         24
        .size:           4
        .value_kind:     by_value
      - .actual_access:  read_only
        .address_space:  global
        .offset:         32
        .size:           8
        .value_kind:     global_buffer
      - .actual_access:  read_only
        .address_space:  global
        .offset:         40
        .size:           8
        .value_kind:     global_buffer
      - .actual_access:  read_only
        .address_space:  global
        .offset:         48
        .size:           8
        .value_kind:     global_buffer
      - .actual_access:  read_only
        .address_space:  global
        .offset:         56
        .size:           8
        .value_kind:     global_buffer
      - .actual_access:  read_only
        .address_space:  global
        .offset:         64
        .size:           8
        .value_kind:     global_buffer
      - .actual_access:  read_only
        .address_space:  global
        .offset:         72
        .size:           8
        .value_kind:     global_buffer
      - .offset:         80
        .size:           16
        .value_kind:     by_value
      - .address_space:  global
        .offset:         96
        .size:           8
        .value_kind:     global_buffer
      - .offset:         104
        .size:           4
        .value_kind:     by_value
      - .offset:         108
        .size:           1
        .value_kind:     by_value
    .group_segment_fixed_size: 0
    .kernarg_segment_align: 8
    .kernarg_segment_size: 112
    .language:       OpenCL C
    .language_version:
      - 2
      - 0
    .max_flat_workgroup_size: 128
    .name:           _ZN9rocsparseL18bsrxmvn_4x4_kernelILj128ELj4E21rocsparse_complex_numIdEiiS2_S2_S2_EEvT3_20rocsparse_direction_NS_24const_host_device_scalarIT1_EES3_PKS3_PKT2_SC_S9_PKT4_PKT5_S7_PT6_21rocsparse_index_base_b
    .private_segment_fixed_size: 0
    .sgpr_count:     16
    .sgpr_spill_count: 0
    .symbol:         _ZN9rocsparseL18bsrxmvn_4x4_kernelILj128ELj4E21rocsparse_complex_numIdEiiS2_S2_S2_EEvT3_20rocsparse_direction_NS_24const_host_device_scalarIT1_EES3_PKS3_PKT2_SC_S9_PKT4_PKT5_S7_PT6_21rocsparse_index_base_b.kd
    .uniform_work_group_size: 1
    .uses_dynamic_stack: false
    .vgpr_count:     158
    .vgpr_spill_count: 0
    .wavefront_size: 32
  - .args:
      - .offset:         0
        .size:           4
        .value_kind:     by_value
      - .offset:         4
        .size:           4
        .value_kind:     by_value
      - .offset:         8
        .size:           16
        .value_kind:     by_value
      - .offset:         24
        .size:           4
        .value_kind:     by_value
      - .actual_access:  read_only
        .address_space:  global
        .offset:         32
        .size:           8
        .value_kind:     global_buffer
      - .actual_access:  read_only
        .address_space:  global
        .offset:         40
        .size:           8
        .value_kind:     global_buffer
      - .actual_access:  read_only
        .address_space:  global
        .offset:         48
        .size:           8
        .value_kind:     global_buffer
      - .actual_access:  read_only
        .address_space:  global
        .offset:         56
        .size:           8
        .value_kind:     global_buffer
      - .actual_access:  read_only
        .address_space:  global
        .offset:         64
        .size:           8
        .value_kind:     global_buffer
      - .actual_access:  read_only
        .address_space:  global
        .offset:         72
        .size:           8
        .value_kind:     global_buffer
      - .offset:         80
        .size:           16
        .value_kind:     by_value
      - .address_space:  global
        .offset:         96
        .size:           8
        .value_kind:     global_buffer
      - .offset:         104
        .size:           4
        .value_kind:     by_value
      - .offset:         108
        .size:           1
        .value_kind:     by_value
    .group_segment_fixed_size: 0
    .kernarg_segment_align: 8
    .kernarg_segment_size: 112
    .language:       OpenCL C
    .language_version:
      - 2
      - 0
    .max_flat_workgroup_size: 128
    .name:           _ZN9rocsparseL18bsrxmvn_4x4_kernelILj128ELj8E21rocsparse_complex_numIdEiiS2_S2_S2_EEvT3_20rocsparse_direction_NS_24const_host_device_scalarIT1_EES3_PKS3_PKT2_SC_S9_PKT4_PKT5_S7_PT6_21rocsparse_index_base_b
    .private_segment_fixed_size: 0
    .sgpr_count:     16
    .sgpr_spill_count: 0
    .symbol:         _ZN9rocsparseL18bsrxmvn_4x4_kernelILj128ELj8E21rocsparse_complex_numIdEiiS2_S2_S2_EEvT3_20rocsparse_direction_NS_24const_host_device_scalarIT1_EES3_PKS3_PKT2_SC_S9_PKT4_PKT5_S7_PT6_21rocsparse_index_base_b.kd
    .uniform_work_group_size: 1
    .uses_dynamic_stack: false
    .vgpr_count:     158
    .vgpr_spill_count: 0
    .wavefront_size: 32
  - .args:
      - .offset:         0
        .size:           4
        .value_kind:     by_value
      - .offset:         4
        .size:           4
        .value_kind:     by_value
      - .offset:         8
        .size:           16
        .value_kind:     by_value
      - .offset:         24
        .size:           4
        .value_kind:     by_value
      - .actual_access:  read_only
        .address_space:  global
        .offset:         32
        .size:           8
        .value_kind:     global_buffer
      - .actual_access:  read_only
        .address_space:  global
        .offset:         40
        .size:           8
        .value_kind:     global_buffer
      - .actual_access:  read_only
        .address_space:  global
        .offset:         48
        .size:           8
        .value_kind:     global_buffer
      - .actual_access:  read_only
        .address_space:  global
        .offset:         56
        .size:           8
        .value_kind:     global_buffer
      - .actual_access:  read_only
        .address_space:  global
        .offset:         64
        .size:           8
        .value_kind:     global_buffer
      - .actual_access:  read_only
        .address_space:  global
        .offset:         72
        .size:           8
        .value_kind:     global_buffer
      - .offset:         80
        .size:           16
        .value_kind:     by_value
      - .address_space:  global
        .offset:         96
        .size:           8
        .value_kind:     global_buffer
      - .offset:         104
        .size:           4
        .value_kind:     by_value
      - .offset:         108
        .size:           1
        .value_kind:     by_value
    .group_segment_fixed_size: 0
    .kernarg_segment_align: 8
    .kernarg_segment_size: 112
    .language:       OpenCL C
    .language_version:
      - 2
      - 0
    .max_flat_workgroup_size: 128
    .name:           _ZN9rocsparseL18bsrxmvn_4x4_kernelILj128ELj16E21rocsparse_complex_numIdEiiS2_S2_S2_EEvT3_20rocsparse_direction_NS_24const_host_device_scalarIT1_EES3_PKS3_PKT2_SC_S9_PKT4_PKT5_S7_PT6_21rocsparse_index_base_b
    .private_segment_fixed_size: 0
    .sgpr_count:     16
    .sgpr_spill_count: 0
    .symbol:         _ZN9rocsparseL18bsrxmvn_4x4_kernelILj128ELj16E21rocsparse_complex_numIdEiiS2_S2_S2_EEvT3_20rocsparse_direction_NS_24const_host_device_scalarIT1_EES3_PKS3_PKT2_SC_S9_PKT4_PKT5_S7_PT6_21rocsparse_index_base_b.kd
    .uniform_work_group_size: 1
    .uses_dynamic_stack: false
    .vgpr_count:     158
    .vgpr_spill_count: 0
    .wavefront_size: 32
  - .args:
      - .offset:         0
        .size:           4
        .value_kind:     by_value
      - .offset:         4
        .size:           4
        .value_kind:     by_value
      - .offset:         8
        .size:           16
        .value_kind:     by_value
      - .offset:         24
        .size:           4
        .value_kind:     by_value
      - .actual_access:  read_only
        .address_space:  global
        .offset:         32
        .size:           8
        .value_kind:     global_buffer
      - .actual_access:  read_only
        .address_space:  global
        .offset:         40
        .size:           8
        .value_kind:     global_buffer
      - .actual_access:  read_only
        .address_space:  global
        .offset:         48
        .size:           8
        .value_kind:     global_buffer
      - .actual_access:  read_only
        .address_space:  global
        .offset:         56
        .size:           8
        .value_kind:     global_buffer
      - .actual_access:  read_only
        .address_space:  global
        .offset:         64
        .size:           8
        .value_kind:     global_buffer
      - .actual_access:  read_only
        .address_space:  global
        .offset:         72
        .size:           8
        .value_kind:     global_buffer
      - .offset:         80
        .size:           16
        .value_kind:     by_value
      - .address_space:  global
        .offset:         96
        .size:           8
        .value_kind:     global_buffer
      - .offset:         104
        .size:           4
        .value_kind:     by_value
      - .offset:         108
        .size:           1
        .value_kind:     by_value
    .group_segment_fixed_size: 0
    .kernarg_segment_align: 8
    .kernarg_segment_size: 112
    .language:       OpenCL C
    .language_version:
      - 2
      - 0
    .max_flat_workgroup_size: 128
    .name:           _ZN9rocsparseL18bsrxmvn_4x4_kernelILj128ELj32E21rocsparse_complex_numIdEiiS2_S2_S2_EEvT3_20rocsparse_direction_NS_24const_host_device_scalarIT1_EES3_PKS3_PKT2_SC_S9_PKT4_PKT5_S7_PT6_21rocsparse_index_base_b
    .private_segment_fixed_size: 0
    .sgpr_count:     16
    .sgpr_spill_count: 0
    .symbol:         _ZN9rocsparseL18bsrxmvn_4x4_kernelILj128ELj32E21rocsparse_complex_numIdEiiS2_S2_S2_EEvT3_20rocsparse_direction_NS_24const_host_device_scalarIT1_EES3_PKS3_PKT2_SC_S9_PKT4_PKT5_S7_PT6_21rocsparse_index_base_b.kd
    .uniform_work_group_size: 1
    .uses_dynamic_stack: false
    .vgpr_count:     158
    .vgpr_spill_count: 0
    .wavefront_size: 32
  - .args:
      - .offset:         0
        .size:           4
        .value_kind:     by_value
      - .offset:         4
        .size:           4
        .value_kind:     by_value
      - .offset:         8
        .size:           16
        .value_kind:     by_value
      - .offset:         24
        .size:           4
        .value_kind:     by_value
      - .actual_access:  read_only
        .address_space:  global
        .offset:         32
        .size:           8
        .value_kind:     global_buffer
      - .actual_access:  read_only
        .address_space:  global
        .offset:         40
        .size:           8
        .value_kind:     global_buffer
      - .actual_access:  read_only
        .address_space:  global
        .offset:         48
        .size:           8
        .value_kind:     global_buffer
      - .actual_access:  read_only
        .address_space:  global
        .offset:         56
        .size:           8
        .value_kind:     global_buffer
      - .actual_access:  read_only
        .address_space:  global
        .offset:         64
        .size:           8
        .value_kind:     global_buffer
      - .actual_access:  read_only
        .address_space:  global
        .offset:         72
        .size:           8
        .value_kind:     global_buffer
      - .offset:         80
        .size:           16
        .value_kind:     by_value
      - .address_space:  global
        .offset:         96
        .size:           8
        .value_kind:     global_buffer
      - .offset:         104
        .size:           4
        .value_kind:     by_value
      - .offset:         108
        .size:           1
        .value_kind:     by_value
    .group_segment_fixed_size: 0
    .kernarg_segment_align: 8
    .kernarg_segment_size: 112
    .language:       OpenCL C
    .language_version:
      - 2
      - 0
    .max_flat_workgroup_size: 128
    .name:           _ZN9rocsparseL18bsrxmvn_4x4_kernelILj128ELj64E21rocsparse_complex_numIdEiiS2_S2_S2_EEvT3_20rocsparse_direction_NS_24const_host_device_scalarIT1_EES3_PKS3_PKT2_SC_S9_PKT4_PKT5_S7_PT6_21rocsparse_index_base_b
    .private_segment_fixed_size: 0
    .sgpr_count:     16
    .sgpr_spill_count: 0
    .symbol:         _ZN9rocsparseL18bsrxmvn_4x4_kernelILj128ELj64E21rocsparse_complex_numIdEiiS2_S2_S2_EEvT3_20rocsparse_direction_NS_24const_host_device_scalarIT1_EES3_PKS3_PKT2_SC_S9_PKT4_PKT5_S7_PT6_21rocsparse_index_base_b.kd
    .uniform_work_group_size: 1
    .uses_dynamic_stack: false
    .vgpr_count:     158
    .vgpr_spill_count: 0
    .wavefront_size: 32
  - .args:
      - .offset:         0
        .size:           4
        .value_kind:     by_value
      - .offset:         4
        .size:           4
        .value_kind:     by_value
      - .offset:         8
        .size:           8
        .value_kind:     by_value
      - .offset:         16
        .size:           4
        .value_kind:     by_value
      - .actual_access:  read_only
        .address_space:  global
        .offset:         24
        .size:           8
        .value_kind:     global_buffer
      - .actual_access:  read_only
        .address_space:  global
        .offset:         32
        .size:           8
        .value_kind:     global_buffer
      - .actual_access:  read_only
        .address_space:  global
        .offset:         40
        .size:           8
        .value_kind:     global_buffer
      - .actual_access:  read_only
        .address_space:  global
        .offset:         48
        .size:           8
        .value_kind:     global_buffer
      - .actual_access:  read_only
        .address_space:  global
        .offset:         56
        .size:           8
        .value_kind:     global_buffer
      - .actual_access:  read_only
        .address_space:  global
        .offset:         64
        .size:           8
        .value_kind:     global_buffer
      - .offset:         72
        .size:           8
        .value_kind:     by_value
      - .address_space:  global
        .offset:         80
        .size:           8
        .value_kind:     global_buffer
      - .offset:         88
        .size:           4
        .value_kind:     by_value
      - .offset:         92
        .size:           1
        .value_kind:     by_value
    .group_segment_fixed_size: 0
    .kernarg_segment_align: 8
    .kernarg_segment_size: 96
    .language:       OpenCL C
    .language_version:
      - 2
      - 0
    .max_flat_workgroup_size: 128
    .name:           _ZN9rocsparseL18bsrxmvn_4x4_kernelILj128ELj4EflifffEEvT3_20rocsparse_direction_NS_24const_host_device_scalarIT1_EES1_PKS1_PKT2_SA_S7_PKT4_PKT5_S5_PT6_21rocsparse_index_base_b
    .private_segment_fixed_size: 0
    .sgpr_count:     20
    .sgpr_spill_count: 0
    .symbol:         _ZN9rocsparseL18bsrxmvn_4x4_kernelILj128ELj4EflifffEEvT3_20rocsparse_direction_NS_24const_host_device_scalarIT1_EES1_PKS1_PKT2_SA_S7_PKT4_PKT5_S5_PT6_21rocsparse_index_base_b.kd
    .uniform_work_group_size: 1
    .uses_dynamic_stack: false
    .vgpr_count:     86
    .vgpr_spill_count: 0
    .wavefront_size: 32
  - .args:
      - .offset:         0
        .size:           4
        .value_kind:     by_value
      - .offset:         4
        .size:           4
        .value_kind:     by_value
      - .offset:         8
        .size:           8
        .value_kind:     by_value
      - .offset:         16
        .size:           4
        .value_kind:     by_value
      - .actual_access:  read_only
        .address_space:  global
        .offset:         24
        .size:           8
        .value_kind:     global_buffer
      - .actual_access:  read_only
        .address_space:  global
        .offset:         32
        .size:           8
        .value_kind:     global_buffer
      - .actual_access:  read_only
        .address_space:  global
        .offset:         40
        .size:           8
        .value_kind:     global_buffer
      - .actual_access:  read_only
        .address_space:  global
        .offset:         48
        .size:           8
        .value_kind:     global_buffer
      - .actual_access:  read_only
        .address_space:  global
        .offset:         56
        .size:           8
        .value_kind:     global_buffer
      - .actual_access:  read_only
        .address_space:  global
        .offset:         64
        .size:           8
        .value_kind:     global_buffer
      - .offset:         72
        .size:           8
        .value_kind:     by_value
      - .address_space:  global
        .offset:         80
        .size:           8
        .value_kind:     global_buffer
      - .offset:         88
        .size:           4
        .value_kind:     by_value
      - .offset:         92
        .size:           1
        .value_kind:     by_value
    .group_segment_fixed_size: 0
    .kernarg_segment_align: 8
    .kernarg_segment_size: 96
    .language:       OpenCL C
    .language_version:
      - 2
      - 0
    .max_flat_workgroup_size: 128
    .name:           _ZN9rocsparseL18bsrxmvn_4x4_kernelILj128ELj8EflifffEEvT3_20rocsparse_direction_NS_24const_host_device_scalarIT1_EES1_PKS1_PKT2_SA_S7_PKT4_PKT5_S5_PT6_21rocsparse_index_base_b
    .private_segment_fixed_size: 0
    .sgpr_count:     20
    .sgpr_spill_count: 0
    .symbol:         _ZN9rocsparseL18bsrxmvn_4x4_kernelILj128ELj8EflifffEEvT3_20rocsparse_direction_NS_24const_host_device_scalarIT1_EES1_PKS1_PKT2_SA_S7_PKT4_PKT5_S5_PT6_21rocsparse_index_base_b.kd
    .uniform_work_group_size: 1
    .uses_dynamic_stack: false
    .vgpr_count:     86
    .vgpr_spill_count: 0
    .wavefront_size: 32
  - .args:
      - .offset:         0
        .size:           4
        .value_kind:     by_value
      - .offset:         4
        .size:           4
        .value_kind:     by_value
      - .offset:         8
        .size:           8
        .value_kind:     by_value
      - .offset:         16
        .size:           4
        .value_kind:     by_value
      - .actual_access:  read_only
        .address_space:  global
        .offset:         24
        .size:           8
        .value_kind:     global_buffer
      - .actual_access:  read_only
        .address_space:  global
        .offset:         32
        .size:           8
        .value_kind:     global_buffer
      - .actual_access:  read_only
        .address_space:  global
        .offset:         40
        .size:           8
        .value_kind:     global_buffer
      - .actual_access:  read_only
        .address_space:  global
        .offset:         48
        .size:           8
        .value_kind:     global_buffer
      - .actual_access:  read_only
        .address_space:  global
        .offset:         56
        .size:           8
        .value_kind:     global_buffer
      - .actual_access:  read_only
        .address_space:  global
        .offset:         64
        .size:           8
        .value_kind:     global_buffer
      - .offset:         72
        .size:           8
        .value_kind:     by_value
      - .address_space:  global
        .offset:         80
        .size:           8
        .value_kind:     global_buffer
      - .offset:         88
        .size:           4
        .value_kind:     by_value
      - .offset:         92
        .size:           1
        .value_kind:     by_value
    .group_segment_fixed_size: 0
    .kernarg_segment_align: 8
    .kernarg_segment_size: 96
    .language:       OpenCL C
    .language_version:
      - 2
      - 0
    .max_flat_workgroup_size: 128
    .name:           _ZN9rocsparseL18bsrxmvn_4x4_kernelILj128ELj16EflifffEEvT3_20rocsparse_direction_NS_24const_host_device_scalarIT1_EES1_PKS1_PKT2_SA_S7_PKT4_PKT5_S5_PT6_21rocsparse_index_base_b
    .private_segment_fixed_size: 0
    .sgpr_count:     20
    .sgpr_spill_count: 0
    .symbol:         _ZN9rocsparseL18bsrxmvn_4x4_kernelILj128ELj16EflifffEEvT3_20rocsparse_direction_NS_24const_host_device_scalarIT1_EES1_PKS1_PKT2_SA_S7_PKT4_PKT5_S5_PT6_21rocsparse_index_base_b.kd
    .uniform_work_group_size: 1
    .uses_dynamic_stack: false
    .vgpr_count:     86
    .vgpr_spill_count: 0
    .wavefront_size: 32
  - .args:
      - .offset:         0
        .size:           4
        .value_kind:     by_value
      - .offset:         4
        .size:           4
        .value_kind:     by_value
      - .offset:         8
        .size:           8
        .value_kind:     by_value
      - .offset:         16
        .size:           4
        .value_kind:     by_value
      - .actual_access:  read_only
        .address_space:  global
        .offset:         24
        .size:           8
        .value_kind:     global_buffer
      - .actual_access:  read_only
        .address_space:  global
        .offset:         32
        .size:           8
        .value_kind:     global_buffer
      - .actual_access:  read_only
        .address_space:  global
        .offset:         40
        .size:           8
        .value_kind:     global_buffer
      - .actual_access:  read_only
        .address_space:  global
        .offset:         48
        .size:           8
        .value_kind:     global_buffer
      - .actual_access:  read_only
        .address_space:  global
        .offset:         56
        .size:           8
        .value_kind:     global_buffer
      - .actual_access:  read_only
        .address_space:  global
        .offset:         64
        .size:           8
        .value_kind:     global_buffer
      - .offset:         72
        .size:           8
        .value_kind:     by_value
      - .address_space:  global
        .offset:         80
        .size:           8
        .value_kind:     global_buffer
      - .offset:         88
        .size:           4
        .value_kind:     by_value
      - .offset:         92
        .size:           1
        .value_kind:     by_value
    .group_segment_fixed_size: 0
    .kernarg_segment_align: 8
    .kernarg_segment_size: 96
    .language:       OpenCL C
    .language_version:
      - 2
      - 0
    .max_flat_workgroup_size: 128
    .name:           _ZN9rocsparseL18bsrxmvn_4x4_kernelILj128ELj32EflifffEEvT3_20rocsparse_direction_NS_24const_host_device_scalarIT1_EES1_PKS1_PKT2_SA_S7_PKT4_PKT5_S5_PT6_21rocsparse_index_base_b
    .private_segment_fixed_size: 0
    .sgpr_count:     20
    .sgpr_spill_count: 0
    .symbol:         _ZN9rocsparseL18bsrxmvn_4x4_kernelILj128ELj32EflifffEEvT3_20rocsparse_direction_NS_24const_host_device_scalarIT1_EES1_PKS1_PKT2_SA_S7_PKT4_PKT5_S5_PT6_21rocsparse_index_base_b.kd
    .uniform_work_group_size: 1
    .uses_dynamic_stack: false
    .vgpr_count:     86
    .vgpr_spill_count: 0
    .wavefront_size: 32
  - .args:
      - .offset:         0
        .size:           4
        .value_kind:     by_value
      - .offset:         4
        .size:           4
        .value_kind:     by_value
      - .offset:         8
        .size:           8
        .value_kind:     by_value
      - .offset:         16
        .size:           4
        .value_kind:     by_value
      - .actual_access:  read_only
        .address_space:  global
        .offset:         24
        .size:           8
        .value_kind:     global_buffer
      - .actual_access:  read_only
        .address_space:  global
        .offset:         32
        .size:           8
        .value_kind:     global_buffer
      - .actual_access:  read_only
        .address_space:  global
        .offset:         40
        .size:           8
        .value_kind:     global_buffer
      - .actual_access:  read_only
        .address_space:  global
        .offset:         48
        .size:           8
        .value_kind:     global_buffer
      - .actual_access:  read_only
        .address_space:  global
        .offset:         56
        .size:           8
        .value_kind:     global_buffer
      - .actual_access:  read_only
        .address_space:  global
        .offset:         64
        .size:           8
        .value_kind:     global_buffer
      - .offset:         72
        .size:           8
        .value_kind:     by_value
      - .address_space:  global
        .offset:         80
        .size:           8
        .value_kind:     global_buffer
      - .offset:         88
        .size:           4
        .value_kind:     by_value
      - .offset:         92
        .size:           1
        .value_kind:     by_value
    .group_segment_fixed_size: 0
    .kernarg_segment_align: 8
    .kernarg_segment_size: 96
    .language:       OpenCL C
    .language_version:
      - 2
      - 0
    .max_flat_workgroup_size: 128
    .name:           _ZN9rocsparseL18bsrxmvn_4x4_kernelILj128ELj64EflifffEEvT3_20rocsparse_direction_NS_24const_host_device_scalarIT1_EES1_PKS1_PKT2_SA_S7_PKT4_PKT5_S5_PT6_21rocsparse_index_base_b
    .private_segment_fixed_size: 0
    .sgpr_count:     20
    .sgpr_spill_count: 0
    .symbol:         _ZN9rocsparseL18bsrxmvn_4x4_kernelILj128ELj64EflifffEEvT3_20rocsparse_direction_NS_24const_host_device_scalarIT1_EES1_PKS1_PKT2_SA_S7_PKT4_PKT5_S5_PT6_21rocsparse_index_base_b.kd
    .uniform_work_group_size: 1
    .uses_dynamic_stack: false
    .vgpr_count:     86
    .vgpr_spill_count: 0
    .wavefront_size: 32
  - .args:
      - .offset:         0
        .size:           4
        .value_kind:     by_value
      - .offset:         4
        .size:           4
        .value_kind:     by_value
      - .offset:         8
        .size:           8
        .value_kind:     by_value
      - .offset:         16
        .size:           4
        .value_kind:     by_value
      - .actual_access:  read_only
        .address_space:  global
        .offset:         24
        .size:           8
        .value_kind:     global_buffer
      - .actual_access:  read_only
        .address_space:  global
        .offset:         32
        .size:           8
        .value_kind:     global_buffer
      - .actual_access:  read_only
        .address_space:  global
        .offset:         40
        .size:           8
        .value_kind:     global_buffer
      - .actual_access:  read_only
        .address_space:  global
        .offset:         48
        .size:           8
        .value_kind:     global_buffer
      - .actual_access:  read_only
        .address_space:  global
        .offset:         56
        .size:           8
        .value_kind:     global_buffer
      - .actual_access:  read_only
        .address_space:  global
        .offset:         64
        .size:           8
        .value_kind:     global_buffer
      - .offset:         72
        .size:           8
        .value_kind:     by_value
      - .address_space:  global
        .offset:         80
        .size:           8
        .value_kind:     global_buffer
      - .offset:         88
        .size:           4
        .value_kind:     by_value
      - .offset:         92
        .size:           1
        .value_kind:     by_value
    .group_segment_fixed_size: 0
    .kernarg_segment_align: 8
    .kernarg_segment_size: 96
    .language:       OpenCL C
    .language_version:
      - 2
      - 0
    .max_flat_workgroup_size: 128
    .name:           _ZN9rocsparseL18bsrxmvn_4x4_kernelILj128ELj4EdlidddEEvT3_20rocsparse_direction_NS_24const_host_device_scalarIT1_EES1_PKS1_PKT2_SA_S7_PKT4_PKT5_S5_PT6_21rocsparse_index_base_b
    .private_segment_fixed_size: 0
    .sgpr_count:     16
    .sgpr_spill_count: 0
    .symbol:         _ZN9rocsparseL18bsrxmvn_4x4_kernelILj128ELj4EdlidddEEvT3_20rocsparse_direction_NS_24const_host_device_scalarIT1_EES1_PKS1_PKT2_SA_S7_PKT4_PKT5_S5_PT6_21rocsparse_index_base_b.kd
    .uniform_work_group_size: 1
    .uses_dynamic_stack: false
    .vgpr_count:     140
    .vgpr_spill_count: 0
    .wavefront_size: 32
  - .args:
      - .offset:         0
        .size:           4
        .value_kind:     by_value
      - .offset:         4
        .size:           4
        .value_kind:     by_value
      - .offset:         8
        .size:           8
        .value_kind:     by_value
      - .offset:         16
        .size:           4
        .value_kind:     by_value
      - .actual_access:  read_only
        .address_space:  global
        .offset:         24
        .size:           8
        .value_kind:     global_buffer
      - .actual_access:  read_only
        .address_space:  global
        .offset:         32
        .size:           8
        .value_kind:     global_buffer
      - .actual_access:  read_only
        .address_space:  global
        .offset:         40
        .size:           8
        .value_kind:     global_buffer
      - .actual_access:  read_only
        .address_space:  global
        .offset:         48
        .size:           8
        .value_kind:     global_buffer
      - .actual_access:  read_only
        .address_space:  global
        .offset:         56
        .size:           8
        .value_kind:     global_buffer
      - .actual_access:  read_only
        .address_space:  global
        .offset:         64
        .size:           8
        .value_kind:     global_buffer
      - .offset:         72
        .size:           8
        .value_kind:     by_value
      - .address_space:  global
        .offset:         80
        .size:           8
        .value_kind:     global_buffer
      - .offset:         88
        .size:           4
        .value_kind:     by_value
      - .offset:         92
        .size:           1
        .value_kind:     by_value
    .group_segment_fixed_size: 0
    .kernarg_segment_align: 8
    .kernarg_segment_size: 96
    .language:       OpenCL C
    .language_version:
      - 2
      - 0
    .max_flat_workgroup_size: 128
    .name:           _ZN9rocsparseL18bsrxmvn_4x4_kernelILj128ELj8EdlidddEEvT3_20rocsparse_direction_NS_24const_host_device_scalarIT1_EES1_PKS1_PKT2_SA_S7_PKT4_PKT5_S5_PT6_21rocsparse_index_base_b
    .private_segment_fixed_size: 0
    .sgpr_count:     16
    .sgpr_spill_count: 0
    .symbol:         _ZN9rocsparseL18bsrxmvn_4x4_kernelILj128ELj8EdlidddEEvT3_20rocsparse_direction_NS_24const_host_device_scalarIT1_EES1_PKS1_PKT2_SA_S7_PKT4_PKT5_S5_PT6_21rocsparse_index_base_b.kd
    .uniform_work_group_size: 1
    .uses_dynamic_stack: false
    .vgpr_count:     140
    .vgpr_spill_count: 0
    .wavefront_size: 32
  - .args:
      - .offset:         0
        .size:           4
        .value_kind:     by_value
      - .offset:         4
        .size:           4
        .value_kind:     by_value
      - .offset:         8
        .size:           8
        .value_kind:     by_value
      - .offset:         16
        .size:           4
        .value_kind:     by_value
      - .actual_access:  read_only
        .address_space:  global
        .offset:         24
        .size:           8
        .value_kind:     global_buffer
      - .actual_access:  read_only
        .address_space:  global
        .offset:         32
        .size:           8
        .value_kind:     global_buffer
      - .actual_access:  read_only
        .address_space:  global
        .offset:         40
        .size:           8
        .value_kind:     global_buffer
      - .actual_access:  read_only
        .address_space:  global
        .offset:         48
        .size:           8
        .value_kind:     global_buffer
      - .actual_access:  read_only
        .address_space:  global
        .offset:         56
        .size:           8
        .value_kind:     global_buffer
      - .actual_access:  read_only
        .address_space:  global
        .offset:         64
        .size:           8
        .value_kind:     global_buffer
      - .offset:         72
        .size:           8
        .value_kind:     by_value
      - .address_space:  global
        .offset:         80
        .size:           8
        .value_kind:     global_buffer
      - .offset:         88
        .size:           4
        .value_kind:     by_value
      - .offset:         92
        .size:           1
        .value_kind:     by_value
    .group_segment_fixed_size: 0
    .kernarg_segment_align: 8
    .kernarg_segment_size: 96
    .language:       OpenCL C
    .language_version:
      - 2
      - 0
    .max_flat_workgroup_size: 128
    .name:           _ZN9rocsparseL18bsrxmvn_4x4_kernelILj128ELj16EdlidddEEvT3_20rocsparse_direction_NS_24const_host_device_scalarIT1_EES1_PKS1_PKT2_SA_S7_PKT4_PKT5_S5_PT6_21rocsparse_index_base_b
    .private_segment_fixed_size: 0
    .sgpr_count:     16
    .sgpr_spill_count: 0
    .symbol:         _ZN9rocsparseL18bsrxmvn_4x4_kernelILj128ELj16EdlidddEEvT3_20rocsparse_direction_NS_24const_host_device_scalarIT1_EES1_PKS1_PKT2_SA_S7_PKT4_PKT5_S5_PT6_21rocsparse_index_base_b.kd
    .uniform_work_group_size: 1
    .uses_dynamic_stack: false
    .vgpr_count:     140
    .vgpr_spill_count: 0
    .wavefront_size: 32
  - .args:
      - .offset:         0
        .size:           4
        .value_kind:     by_value
      - .offset:         4
        .size:           4
        .value_kind:     by_value
      - .offset:         8
        .size:           8
        .value_kind:     by_value
      - .offset:         16
        .size:           4
        .value_kind:     by_value
      - .actual_access:  read_only
        .address_space:  global
        .offset:         24
        .size:           8
        .value_kind:     global_buffer
      - .actual_access:  read_only
        .address_space:  global
        .offset:         32
        .size:           8
        .value_kind:     global_buffer
      - .actual_access:  read_only
        .address_space:  global
        .offset:         40
        .size:           8
        .value_kind:     global_buffer
      - .actual_access:  read_only
        .address_space:  global
        .offset:         48
        .size:           8
        .value_kind:     global_buffer
      - .actual_access:  read_only
        .address_space:  global
        .offset:         56
        .size:           8
        .value_kind:     global_buffer
      - .actual_access:  read_only
        .address_space:  global
        .offset:         64
        .size:           8
        .value_kind:     global_buffer
      - .offset:         72
        .size:           8
        .value_kind:     by_value
      - .address_space:  global
        .offset:         80
        .size:           8
        .value_kind:     global_buffer
      - .offset:         88
        .size:           4
        .value_kind:     by_value
      - .offset:         92
        .size:           1
        .value_kind:     by_value
    .group_segment_fixed_size: 0
    .kernarg_segment_align: 8
    .kernarg_segment_size: 96
    .language:       OpenCL C
    .language_version:
      - 2
      - 0
    .max_flat_workgroup_size: 128
    .name:           _ZN9rocsparseL18bsrxmvn_4x4_kernelILj128ELj32EdlidddEEvT3_20rocsparse_direction_NS_24const_host_device_scalarIT1_EES1_PKS1_PKT2_SA_S7_PKT4_PKT5_S5_PT6_21rocsparse_index_base_b
    .private_segment_fixed_size: 0
    .sgpr_count:     16
    .sgpr_spill_count: 0
    .symbol:         _ZN9rocsparseL18bsrxmvn_4x4_kernelILj128ELj32EdlidddEEvT3_20rocsparse_direction_NS_24const_host_device_scalarIT1_EES1_PKS1_PKT2_SA_S7_PKT4_PKT5_S5_PT6_21rocsparse_index_base_b.kd
    .uniform_work_group_size: 1
    .uses_dynamic_stack: false
    .vgpr_count:     140
    .vgpr_spill_count: 0
    .wavefront_size: 32
  - .args:
      - .offset:         0
        .size:           4
        .value_kind:     by_value
      - .offset:         4
        .size:           4
        .value_kind:     by_value
      - .offset:         8
        .size:           8
        .value_kind:     by_value
      - .offset:         16
        .size:           4
        .value_kind:     by_value
      - .actual_access:  read_only
        .address_space:  global
        .offset:         24
        .size:           8
        .value_kind:     global_buffer
      - .actual_access:  read_only
        .address_space:  global
        .offset:         32
        .size:           8
        .value_kind:     global_buffer
      - .actual_access:  read_only
        .address_space:  global
        .offset:         40
        .size:           8
        .value_kind:     global_buffer
      - .actual_access:  read_only
        .address_space:  global
        .offset:         48
        .size:           8
        .value_kind:     global_buffer
      - .actual_access:  read_only
        .address_space:  global
        .offset:         56
        .size:           8
        .value_kind:     global_buffer
      - .actual_access:  read_only
        .address_space:  global
        .offset:         64
        .size:           8
        .value_kind:     global_buffer
      - .offset:         72
        .size:           8
        .value_kind:     by_value
      - .address_space:  global
        .offset:         80
        .size:           8
        .value_kind:     global_buffer
      - .offset:         88
        .size:           4
        .value_kind:     by_value
      - .offset:         92
        .size:           1
        .value_kind:     by_value
    .group_segment_fixed_size: 0
    .kernarg_segment_align: 8
    .kernarg_segment_size: 96
    .language:       OpenCL C
    .language_version:
      - 2
      - 0
    .max_flat_workgroup_size: 128
    .name:           _ZN9rocsparseL18bsrxmvn_4x4_kernelILj128ELj64EdlidddEEvT3_20rocsparse_direction_NS_24const_host_device_scalarIT1_EES1_PKS1_PKT2_SA_S7_PKT4_PKT5_S5_PT6_21rocsparse_index_base_b
    .private_segment_fixed_size: 0
    .sgpr_count:     16
    .sgpr_spill_count: 0
    .symbol:         _ZN9rocsparseL18bsrxmvn_4x4_kernelILj128ELj64EdlidddEEvT3_20rocsparse_direction_NS_24const_host_device_scalarIT1_EES1_PKS1_PKT2_SA_S7_PKT4_PKT5_S5_PT6_21rocsparse_index_base_b.kd
    .uniform_work_group_size: 1
    .uses_dynamic_stack: false
    .vgpr_count:     140
    .vgpr_spill_count: 0
    .wavefront_size: 32
  - .args:
      - .offset:         0
        .size:           4
        .value_kind:     by_value
      - .offset:         4
        .size:           4
        .value_kind:     by_value
      - .offset:         8
        .size:           8
        .value_kind:     by_value
      - .offset:         16
        .size:           4
        .value_kind:     by_value
      - .actual_access:  read_only
        .address_space:  global
        .offset:         24
        .size:           8
        .value_kind:     global_buffer
      - .actual_access:  read_only
        .address_space:  global
        .offset:         32
        .size:           8
        .value_kind:     global_buffer
      - .actual_access:  read_only
        .address_space:  global
        .offset:         40
        .size:           8
        .value_kind:     global_buffer
      - .actual_access:  read_only
        .address_space:  global
        .offset:         48
        .size:           8
        .value_kind:     global_buffer
      - .actual_access:  read_only
        .address_space:  global
        .offset:         56
        .size:           8
        .value_kind:     global_buffer
      - .actual_access:  read_only
        .address_space:  global
        .offset:         64
        .size:           8
        .value_kind:     global_buffer
      - .offset:         72
        .size:           8
        .value_kind:     by_value
      - .address_space:  global
        .offset:         80
        .size:           8
        .value_kind:     global_buffer
      - .offset:         88
        .size:           4
        .value_kind:     by_value
      - .offset:         92
        .size:           1
        .value_kind:     by_value
    .group_segment_fixed_size: 0
    .kernarg_segment_align: 8
    .kernarg_segment_size: 96
    .language:       OpenCL C
    .language_version:
      - 2
      - 0
    .max_flat_workgroup_size: 128
    .name:           _ZN9rocsparseL18bsrxmvn_4x4_kernelILj128ELj4E21rocsparse_complex_numIfEliS2_S2_S2_EEvT3_20rocsparse_direction_NS_24const_host_device_scalarIT1_EES3_PKS3_PKT2_SC_S9_PKT4_PKT5_S7_PT6_21rocsparse_index_base_b
    .private_segment_fixed_size: 0
    .sgpr_count:     18
    .sgpr_spill_count: 0
    .symbol:         _ZN9rocsparseL18bsrxmvn_4x4_kernelILj128ELj4E21rocsparse_complex_numIfEliS2_S2_S2_EEvT3_20rocsparse_direction_NS_24const_host_device_scalarIT1_EES3_PKS3_PKT2_SC_S9_PKT4_PKT5_S7_PT6_21rocsparse_index_base_b.kd
    .uniform_work_group_size: 1
    .uses_dynamic_stack: false
    .vgpr_count:     143
    .vgpr_spill_count: 0
    .wavefront_size: 32
  - .args:
      - .offset:         0
        .size:           4
        .value_kind:     by_value
      - .offset:         4
        .size:           4
        .value_kind:     by_value
      - .offset:         8
        .size:           8
        .value_kind:     by_value
      - .offset:         16
        .size:           4
        .value_kind:     by_value
      - .actual_access:  read_only
        .address_space:  global
        .offset:         24
        .size:           8
        .value_kind:     global_buffer
      - .actual_access:  read_only
        .address_space:  global
        .offset:         32
        .size:           8
        .value_kind:     global_buffer
      - .actual_access:  read_only
        .address_space:  global
        .offset:         40
        .size:           8
        .value_kind:     global_buffer
      - .actual_access:  read_only
        .address_space:  global
        .offset:         48
        .size:           8
        .value_kind:     global_buffer
      - .actual_access:  read_only
        .address_space:  global
        .offset:         56
        .size:           8
        .value_kind:     global_buffer
      - .actual_access:  read_only
        .address_space:  global
        .offset:         64
        .size:           8
        .value_kind:     global_buffer
      - .offset:         72
        .size:           8
        .value_kind:     by_value
      - .address_space:  global
        .offset:         80
        .size:           8
        .value_kind:     global_buffer
      - .offset:         88
        .size:           4
        .value_kind:     by_value
      - .offset:         92
        .size:           1
        .value_kind:     by_value
    .group_segment_fixed_size: 0
    .kernarg_segment_align: 8
    .kernarg_segment_size: 96
    .language:       OpenCL C
    .language_version:
      - 2
      - 0
    .max_flat_workgroup_size: 128
    .name:           _ZN9rocsparseL18bsrxmvn_4x4_kernelILj128ELj8E21rocsparse_complex_numIfEliS2_S2_S2_EEvT3_20rocsparse_direction_NS_24const_host_device_scalarIT1_EES3_PKS3_PKT2_SC_S9_PKT4_PKT5_S7_PT6_21rocsparse_index_base_b
    .private_segment_fixed_size: 0
    .sgpr_count:     18
    .sgpr_spill_count: 0
    .symbol:         _ZN9rocsparseL18bsrxmvn_4x4_kernelILj128ELj8E21rocsparse_complex_numIfEliS2_S2_S2_EEvT3_20rocsparse_direction_NS_24const_host_device_scalarIT1_EES3_PKS3_PKT2_SC_S9_PKT4_PKT5_S7_PT6_21rocsparse_index_base_b.kd
    .uniform_work_group_size: 1
    .uses_dynamic_stack: false
    .vgpr_count:     143
    .vgpr_spill_count: 0
    .wavefront_size: 32
  - .args:
      - .offset:         0
        .size:           4
        .value_kind:     by_value
      - .offset:         4
        .size:           4
        .value_kind:     by_value
      - .offset:         8
        .size:           8
        .value_kind:     by_value
      - .offset:         16
        .size:           4
        .value_kind:     by_value
      - .actual_access:  read_only
        .address_space:  global
        .offset:         24
        .size:           8
        .value_kind:     global_buffer
      - .actual_access:  read_only
        .address_space:  global
        .offset:         32
        .size:           8
        .value_kind:     global_buffer
      - .actual_access:  read_only
        .address_space:  global
        .offset:         40
        .size:           8
        .value_kind:     global_buffer
      - .actual_access:  read_only
        .address_space:  global
        .offset:         48
        .size:           8
        .value_kind:     global_buffer
      - .actual_access:  read_only
        .address_space:  global
        .offset:         56
        .size:           8
        .value_kind:     global_buffer
      - .actual_access:  read_only
        .address_space:  global
        .offset:         64
        .size:           8
        .value_kind:     global_buffer
      - .offset:         72
        .size:           8
        .value_kind:     by_value
      - .address_space:  global
        .offset:         80
        .size:           8
        .value_kind:     global_buffer
      - .offset:         88
        .size:           4
        .value_kind:     by_value
      - .offset:         92
        .size:           1
        .value_kind:     by_value
    .group_segment_fixed_size: 0
    .kernarg_segment_align: 8
    .kernarg_segment_size: 96
    .language:       OpenCL C
    .language_version:
      - 2
      - 0
    .max_flat_workgroup_size: 128
    .name:           _ZN9rocsparseL18bsrxmvn_4x4_kernelILj128ELj16E21rocsparse_complex_numIfEliS2_S2_S2_EEvT3_20rocsparse_direction_NS_24const_host_device_scalarIT1_EES3_PKS3_PKT2_SC_S9_PKT4_PKT5_S7_PT6_21rocsparse_index_base_b
    .private_segment_fixed_size: 0
    .sgpr_count:     18
    .sgpr_spill_count: 0
    .symbol:         _ZN9rocsparseL18bsrxmvn_4x4_kernelILj128ELj16E21rocsparse_complex_numIfEliS2_S2_S2_EEvT3_20rocsparse_direction_NS_24const_host_device_scalarIT1_EES3_PKS3_PKT2_SC_S9_PKT4_PKT5_S7_PT6_21rocsparse_index_base_b.kd
    .uniform_work_group_size: 1
    .uses_dynamic_stack: false
    .vgpr_count:     143
    .vgpr_spill_count: 0
    .wavefront_size: 32
  - .args:
      - .offset:         0
        .size:           4
        .value_kind:     by_value
      - .offset:         4
        .size:           4
        .value_kind:     by_value
      - .offset:         8
        .size:           8
        .value_kind:     by_value
      - .offset:         16
        .size:           4
        .value_kind:     by_value
      - .actual_access:  read_only
        .address_space:  global
        .offset:         24
        .size:           8
        .value_kind:     global_buffer
      - .actual_access:  read_only
        .address_space:  global
        .offset:         32
        .size:           8
        .value_kind:     global_buffer
      - .actual_access:  read_only
        .address_space:  global
        .offset:         40
        .size:           8
        .value_kind:     global_buffer
      - .actual_access:  read_only
        .address_space:  global
        .offset:         48
        .size:           8
        .value_kind:     global_buffer
      - .actual_access:  read_only
        .address_space:  global
        .offset:         56
        .size:           8
        .value_kind:     global_buffer
      - .actual_access:  read_only
        .address_space:  global
        .offset:         64
        .size:           8
        .value_kind:     global_buffer
      - .offset:         72
        .size:           8
        .value_kind:     by_value
      - .address_space:  global
        .offset:         80
        .size:           8
        .value_kind:     global_buffer
      - .offset:         88
        .size:           4
        .value_kind:     by_value
      - .offset:         92
        .size:           1
        .value_kind:     by_value
    .group_segment_fixed_size: 0
    .kernarg_segment_align: 8
    .kernarg_segment_size: 96
    .language:       OpenCL C
    .language_version:
      - 2
      - 0
    .max_flat_workgroup_size: 128
    .name:           _ZN9rocsparseL18bsrxmvn_4x4_kernelILj128ELj32E21rocsparse_complex_numIfEliS2_S2_S2_EEvT3_20rocsparse_direction_NS_24const_host_device_scalarIT1_EES3_PKS3_PKT2_SC_S9_PKT4_PKT5_S7_PT6_21rocsparse_index_base_b
    .private_segment_fixed_size: 0
    .sgpr_count:     18
    .sgpr_spill_count: 0
    .symbol:         _ZN9rocsparseL18bsrxmvn_4x4_kernelILj128ELj32E21rocsparse_complex_numIfEliS2_S2_S2_EEvT3_20rocsparse_direction_NS_24const_host_device_scalarIT1_EES3_PKS3_PKT2_SC_S9_PKT4_PKT5_S7_PT6_21rocsparse_index_base_b.kd
    .uniform_work_group_size: 1
    .uses_dynamic_stack: false
    .vgpr_count:     143
    .vgpr_spill_count: 0
    .wavefront_size: 32
  - .args:
      - .offset:         0
        .size:           4
        .value_kind:     by_value
      - .offset:         4
        .size:           4
        .value_kind:     by_value
      - .offset:         8
        .size:           8
        .value_kind:     by_value
      - .offset:         16
        .size:           4
        .value_kind:     by_value
      - .actual_access:  read_only
        .address_space:  global
        .offset:         24
        .size:           8
        .value_kind:     global_buffer
      - .actual_access:  read_only
        .address_space:  global
        .offset:         32
        .size:           8
        .value_kind:     global_buffer
      - .actual_access:  read_only
        .address_space:  global
        .offset:         40
        .size:           8
        .value_kind:     global_buffer
      - .actual_access:  read_only
        .address_space:  global
        .offset:         48
        .size:           8
        .value_kind:     global_buffer
      - .actual_access:  read_only
        .address_space:  global
        .offset:         56
        .size:           8
        .value_kind:     global_buffer
      - .actual_access:  read_only
        .address_space:  global
        .offset:         64
        .size:           8
        .value_kind:     global_buffer
      - .offset:         72
        .size:           8
        .value_kind:     by_value
      - .address_space:  global
        .offset:         80
        .size:           8
        .value_kind:     global_buffer
      - .offset:         88
        .size:           4
        .value_kind:     by_value
      - .offset:         92
        .size:           1
        .value_kind:     by_value
    .group_segment_fixed_size: 0
    .kernarg_segment_align: 8
    .kernarg_segment_size: 96
    .language:       OpenCL C
    .language_version:
      - 2
      - 0
    .max_flat_workgroup_size: 128
    .name:           _ZN9rocsparseL18bsrxmvn_4x4_kernelILj128ELj64E21rocsparse_complex_numIfEliS2_S2_S2_EEvT3_20rocsparse_direction_NS_24const_host_device_scalarIT1_EES3_PKS3_PKT2_SC_S9_PKT4_PKT5_S7_PT6_21rocsparse_index_base_b
    .private_segment_fixed_size: 0
    .sgpr_count:     18
    .sgpr_spill_count: 0
    .symbol:         _ZN9rocsparseL18bsrxmvn_4x4_kernelILj128ELj64E21rocsparse_complex_numIfEliS2_S2_S2_EEvT3_20rocsparse_direction_NS_24const_host_device_scalarIT1_EES3_PKS3_PKT2_SC_S9_PKT4_PKT5_S7_PT6_21rocsparse_index_base_b.kd
    .uniform_work_group_size: 1
    .uses_dynamic_stack: false
    .vgpr_count:     143
    .vgpr_spill_count: 0
    .wavefront_size: 32
  - .args:
      - .offset:         0
        .size:           4
        .value_kind:     by_value
      - .offset:         4
        .size:           4
        .value_kind:     by_value
      - .offset:         8
        .size:           16
        .value_kind:     by_value
      - .offset:         24
        .size:           4
        .value_kind:     by_value
      - .actual_access:  read_only
        .address_space:  global
        .offset:         32
        .size:           8
        .value_kind:     global_buffer
      - .actual_access:  read_only
        .address_space:  global
        .offset:         40
        .size:           8
        .value_kind:     global_buffer
      - .actual_access:  read_only
        .address_space:  global
        .offset:         48
        .size:           8
        .value_kind:     global_buffer
      - .actual_access:  read_only
        .address_space:  global
        .offset:         56
        .size:           8
        .value_kind:     global_buffer
      - .actual_access:  read_only
        .address_space:  global
        .offset:         64
        .size:           8
        .value_kind:     global_buffer
      - .actual_access:  read_only
        .address_space:  global
        .offset:         72
        .size:           8
        .value_kind:     global_buffer
      - .offset:         80
        .size:           16
        .value_kind:     by_value
      - .address_space:  global
        .offset:         96
        .size:           8
        .value_kind:     global_buffer
      - .offset:         104
        .size:           4
        .value_kind:     by_value
      - .offset:         108
        .size:           1
        .value_kind:     by_value
    .group_segment_fixed_size: 0
    .kernarg_segment_align: 8
    .kernarg_segment_size: 112
    .language:       OpenCL C
    .language_version:
      - 2
      - 0
    .max_flat_workgroup_size: 128
    .name:           _ZN9rocsparseL18bsrxmvn_4x4_kernelILj128ELj4E21rocsparse_complex_numIdEliS2_S2_S2_EEvT3_20rocsparse_direction_NS_24const_host_device_scalarIT1_EES3_PKS3_PKT2_SC_S9_PKT4_PKT5_S7_PT6_21rocsparse_index_base_b
    .private_segment_fixed_size: 0
    .sgpr_count:     16
    .sgpr_spill_count: 0
    .symbol:         _ZN9rocsparseL18bsrxmvn_4x4_kernelILj128ELj4E21rocsparse_complex_numIdEliS2_S2_S2_EEvT3_20rocsparse_direction_NS_24const_host_device_scalarIT1_EES3_PKS3_PKT2_SC_S9_PKT4_PKT5_S7_PT6_21rocsparse_index_base_b.kd
    .uniform_work_group_size: 1
    .uses_dynamic_stack: false
    .vgpr_count:     177
    .vgpr_spill_count: 0
    .wavefront_size: 32
  - .args:
      - .offset:         0
        .size:           4
        .value_kind:     by_value
      - .offset:         4
        .size:           4
        .value_kind:     by_value
      - .offset:         8
        .size:           16
        .value_kind:     by_value
      - .offset:         24
        .size:           4
        .value_kind:     by_value
      - .actual_access:  read_only
        .address_space:  global
        .offset:         32
        .size:           8
        .value_kind:     global_buffer
      - .actual_access:  read_only
        .address_space:  global
        .offset:         40
        .size:           8
        .value_kind:     global_buffer
      - .actual_access:  read_only
        .address_space:  global
        .offset:         48
        .size:           8
        .value_kind:     global_buffer
      - .actual_access:  read_only
        .address_space:  global
        .offset:         56
        .size:           8
        .value_kind:     global_buffer
      - .actual_access:  read_only
        .address_space:  global
        .offset:         64
        .size:           8
        .value_kind:     global_buffer
      - .actual_access:  read_only
        .address_space:  global
        .offset:         72
        .size:           8
        .value_kind:     global_buffer
      - .offset:         80
        .size:           16
        .value_kind:     by_value
      - .address_space:  global
        .offset:         96
        .size:           8
        .value_kind:     global_buffer
      - .offset:         104
        .size:           4
        .value_kind:     by_value
      - .offset:         108
        .size:           1
        .value_kind:     by_value
    .group_segment_fixed_size: 0
    .kernarg_segment_align: 8
    .kernarg_segment_size: 112
    .language:       OpenCL C
    .language_version:
      - 2
      - 0
    .max_flat_workgroup_size: 128
    .name:           _ZN9rocsparseL18bsrxmvn_4x4_kernelILj128ELj8E21rocsparse_complex_numIdEliS2_S2_S2_EEvT3_20rocsparse_direction_NS_24const_host_device_scalarIT1_EES3_PKS3_PKT2_SC_S9_PKT4_PKT5_S7_PT6_21rocsparse_index_base_b
    .private_segment_fixed_size: 0
    .sgpr_count:     16
    .sgpr_spill_count: 0
    .symbol:         _ZN9rocsparseL18bsrxmvn_4x4_kernelILj128ELj8E21rocsparse_complex_numIdEliS2_S2_S2_EEvT3_20rocsparse_direction_NS_24const_host_device_scalarIT1_EES3_PKS3_PKT2_SC_S9_PKT4_PKT5_S7_PT6_21rocsparse_index_base_b.kd
    .uniform_work_group_size: 1
    .uses_dynamic_stack: false
    .vgpr_count:     177
    .vgpr_spill_count: 0
    .wavefront_size: 32
  - .args:
      - .offset:         0
        .size:           4
        .value_kind:     by_value
      - .offset:         4
        .size:           4
        .value_kind:     by_value
      - .offset:         8
        .size:           16
        .value_kind:     by_value
      - .offset:         24
        .size:           4
        .value_kind:     by_value
      - .actual_access:  read_only
        .address_space:  global
        .offset:         32
        .size:           8
        .value_kind:     global_buffer
      - .actual_access:  read_only
        .address_space:  global
        .offset:         40
        .size:           8
        .value_kind:     global_buffer
      - .actual_access:  read_only
        .address_space:  global
        .offset:         48
        .size:           8
        .value_kind:     global_buffer
      - .actual_access:  read_only
        .address_space:  global
        .offset:         56
        .size:           8
        .value_kind:     global_buffer
      - .actual_access:  read_only
        .address_space:  global
        .offset:         64
        .size:           8
        .value_kind:     global_buffer
      - .actual_access:  read_only
        .address_space:  global
        .offset:         72
        .size:           8
        .value_kind:     global_buffer
      - .offset:         80
        .size:           16
        .value_kind:     by_value
      - .address_space:  global
        .offset:         96
        .size:           8
        .value_kind:     global_buffer
      - .offset:         104
        .size:           4
        .value_kind:     by_value
      - .offset:         108
        .size:           1
        .value_kind:     by_value
    .group_segment_fixed_size: 0
    .kernarg_segment_align: 8
    .kernarg_segment_size: 112
    .language:       OpenCL C
    .language_version:
      - 2
      - 0
    .max_flat_workgroup_size: 128
    .name:           _ZN9rocsparseL18bsrxmvn_4x4_kernelILj128ELj16E21rocsparse_complex_numIdEliS2_S2_S2_EEvT3_20rocsparse_direction_NS_24const_host_device_scalarIT1_EES3_PKS3_PKT2_SC_S9_PKT4_PKT5_S7_PT6_21rocsparse_index_base_b
    .private_segment_fixed_size: 0
    .sgpr_count:     16
    .sgpr_spill_count: 0
    .symbol:         _ZN9rocsparseL18bsrxmvn_4x4_kernelILj128ELj16E21rocsparse_complex_numIdEliS2_S2_S2_EEvT3_20rocsparse_direction_NS_24const_host_device_scalarIT1_EES3_PKS3_PKT2_SC_S9_PKT4_PKT5_S7_PT6_21rocsparse_index_base_b.kd
    .uniform_work_group_size: 1
    .uses_dynamic_stack: false
    .vgpr_count:     177
    .vgpr_spill_count: 0
    .wavefront_size: 32
  - .args:
      - .offset:         0
        .size:           4
        .value_kind:     by_value
      - .offset:         4
        .size:           4
        .value_kind:     by_value
      - .offset:         8
        .size:           16
        .value_kind:     by_value
      - .offset:         24
        .size:           4
        .value_kind:     by_value
      - .actual_access:  read_only
        .address_space:  global
        .offset:         32
        .size:           8
        .value_kind:     global_buffer
      - .actual_access:  read_only
        .address_space:  global
        .offset:         40
        .size:           8
        .value_kind:     global_buffer
      - .actual_access:  read_only
        .address_space:  global
        .offset:         48
        .size:           8
        .value_kind:     global_buffer
      - .actual_access:  read_only
        .address_space:  global
        .offset:         56
        .size:           8
        .value_kind:     global_buffer
      - .actual_access:  read_only
        .address_space:  global
        .offset:         64
        .size:           8
        .value_kind:     global_buffer
      - .actual_access:  read_only
        .address_space:  global
        .offset:         72
        .size:           8
        .value_kind:     global_buffer
      - .offset:         80
        .size:           16
        .value_kind:     by_value
      - .address_space:  global
        .offset:         96
        .size:           8
        .value_kind:     global_buffer
      - .offset:         104
        .size:           4
        .value_kind:     by_value
      - .offset:         108
        .size:           1
        .value_kind:     by_value
    .group_segment_fixed_size: 0
    .kernarg_segment_align: 8
    .kernarg_segment_size: 112
    .language:       OpenCL C
    .language_version:
      - 2
      - 0
    .max_flat_workgroup_size: 128
    .name:           _ZN9rocsparseL18bsrxmvn_4x4_kernelILj128ELj32E21rocsparse_complex_numIdEliS2_S2_S2_EEvT3_20rocsparse_direction_NS_24const_host_device_scalarIT1_EES3_PKS3_PKT2_SC_S9_PKT4_PKT5_S7_PT6_21rocsparse_index_base_b
    .private_segment_fixed_size: 0
    .sgpr_count:     16
    .sgpr_spill_count: 0
    .symbol:         _ZN9rocsparseL18bsrxmvn_4x4_kernelILj128ELj32E21rocsparse_complex_numIdEliS2_S2_S2_EEvT3_20rocsparse_direction_NS_24const_host_device_scalarIT1_EES3_PKS3_PKT2_SC_S9_PKT4_PKT5_S7_PT6_21rocsparse_index_base_b.kd
    .uniform_work_group_size: 1
    .uses_dynamic_stack: false
    .vgpr_count:     177
    .vgpr_spill_count: 0
    .wavefront_size: 32
  - .args:
      - .offset:         0
        .size:           4
        .value_kind:     by_value
      - .offset:         4
        .size:           4
        .value_kind:     by_value
      - .offset:         8
        .size:           16
        .value_kind:     by_value
      - .offset:         24
        .size:           4
        .value_kind:     by_value
      - .actual_access:  read_only
        .address_space:  global
        .offset:         32
        .size:           8
        .value_kind:     global_buffer
      - .actual_access:  read_only
        .address_space:  global
        .offset:         40
        .size:           8
        .value_kind:     global_buffer
      - .actual_access:  read_only
        .address_space:  global
        .offset:         48
        .size:           8
        .value_kind:     global_buffer
      - .actual_access:  read_only
        .address_space:  global
        .offset:         56
        .size:           8
        .value_kind:     global_buffer
      - .actual_access:  read_only
        .address_space:  global
        .offset:         64
        .size:           8
        .value_kind:     global_buffer
      - .actual_access:  read_only
        .address_space:  global
        .offset:         72
        .size:           8
        .value_kind:     global_buffer
      - .offset:         80
        .size:           16
        .value_kind:     by_value
      - .address_space:  global
        .offset:         96
        .size:           8
        .value_kind:     global_buffer
      - .offset:         104
        .size:           4
        .value_kind:     by_value
      - .offset:         108
        .size:           1
        .value_kind:     by_value
    .group_segment_fixed_size: 0
    .kernarg_segment_align: 8
    .kernarg_segment_size: 112
    .language:       OpenCL C
    .language_version:
      - 2
      - 0
    .max_flat_workgroup_size: 128
    .name:           _ZN9rocsparseL18bsrxmvn_4x4_kernelILj128ELj64E21rocsparse_complex_numIdEliS2_S2_S2_EEvT3_20rocsparse_direction_NS_24const_host_device_scalarIT1_EES3_PKS3_PKT2_SC_S9_PKT4_PKT5_S7_PT6_21rocsparse_index_base_b
    .private_segment_fixed_size: 0
    .sgpr_count:     16
    .sgpr_spill_count: 0
    .symbol:         _ZN9rocsparseL18bsrxmvn_4x4_kernelILj128ELj64E21rocsparse_complex_numIdEliS2_S2_S2_EEvT3_20rocsparse_direction_NS_24const_host_device_scalarIT1_EES3_PKS3_PKT2_SC_S9_PKT4_PKT5_S7_PT6_21rocsparse_index_base_b.kd
    .uniform_work_group_size: 1
    .uses_dynamic_stack: false
    .vgpr_count:     177
    .vgpr_spill_count: 0
    .wavefront_size: 32
  - .args:
      - .offset:         0
        .size:           8
        .value_kind:     by_value
      - .offset:         8
        .size:           4
        .value_kind:     by_value
      - .offset:         16
        .size:           8
        .value_kind:     by_value
      - .offset:         24
        .size:           8
        .value_kind:     by_value
      - .actual_access:  read_only
        .address_space:  global
        .offset:         32
        .size:           8
        .value_kind:     global_buffer
      - .actual_access:  read_only
        .address_space:  global
        .offset:         40
        .size:           8
        .value_kind:     global_buffer
      - .actual_access:  read_only
        .address_space:  global
        .offset:         48
        .size:           8
        .value_kind:     global_buffer
      - .actual_access:  read_only
        .address_space:  global
        .offset:         56
        .size:           8
        .value_kind:     global_buffer
      - .actual_access:  read_only
        .address_space:  global
        .offset:         64
        .size:           8
        .value_kind:     global_buffer
      - .actual_access:  read_only
        .address_space:  global
        .offset:         72
        .size:           8
        .value_kind:     global_buffer
      - .offset:         80
        .size:           8
        .value_kind:     by_value
      - .address_space:  global
        .offset:         88
        .size:           8
        .value_kind:     global_buffer
      - .offset:         96
        .size:           4
        .value_kind:     by_value
      - .offset:         100
        .size:           1
        .value_kind:     by_value
    .group_segment_fixed_size: 0
    .kernarg_segment_align: 8
    .kernarg_segment_size: 104
    .language:       OpenCL C
    .language_version:
      - 2
      - 0
    .max_flat_workgroup_size: 128
    .name:           _ZN9rocsparseL18bsrxmvn_4x4_kernelILj128ELj4EfllfffEEvT3_20rocsparse_direction_NS_24const_host_device_scalarIT1_EES1_PKS1_PKT2_SA_S7_PKT4_PKT5_S5_PT6_21rocsparse_index_base_b
    .private_segment_fixed_size: 0
    .sgpr_count:     20
    .sgpr_spill_count: 0
    .symbol:         _ZN9rocsparseL18bsrxmvn_4x4_kernelILj128ELj4EfllfffEEvT3_20rocsparse_direction_NS_24const_host_device_scalarIT1_EES1_PKS1_PKT2_SA_S7_PKT4_PKT5_S5_PT6_21rocsparse_index_base_b.kd
    .uniform_work_group_size: 1
    .uses_dynamic_stack: false
    .vgpr_count:     106
    .vgpr_spill_count: 0
    .wavefront_size: 32
  - .args:
      - .offset:         0
        .size:           8
        .value_kind:     by_value
      - .offset:         8
        .size:           4
        .value_kind:     by_value
      - .offset:         16
        .size:           8
        .value_kind:     by_value
      - .offset:         24
        .size:           8
        .value_kind:     by_value
      - .actual_access:  read_only
        .address_space:  global
        .offset:         32
        .size:           8
        .value_kind:     global_buffer
      - .actual_access:  read_only
        .address_space:  global
        .offset:         40
        .size:           8
        .value_kind:     global_buffer
      - .actual_access:  read_only
        .address_space:  global
        .offset:         48
        .size:           8
        .value_kind:     global_buffer
      - .actual_access:  read_only
        .address_space:  global
        .offset:         56
        .size:           8
        .value_kind:     global_buffer
      - .actual_access:  read_only
        .address_space:  global
        .offset:         64
        .size:           8
        .value_kind:     global_buffer
      - .actual_access:  read_only
        .address_space:  global
        .offset:         72
        .size:           8
        .value_kind:     global_buffer
      - .offset:         80
        .size:           8
        .value_kind:     by_value
      - .address_space:  global
        .offset:         88
        .size:           8
        .value_kind:     global_buffer
      - .offset:         96
        .size:           4
        .value_kind:     by_value
      - .offset:         100
        .size:           1
        .value_kind:     by_value
    .group_segment_fixed_size: 0
    .kernarg_segment_align: 8
    .kernarg_segment_size: 104
    .language:       OpenCL C
    .language_version:
      - 2
      - 0
    .max_flat_workgroup_size: 128
    .name:           _ZN9rocsparseL18bsrxmvn_4x4_kernelILj128ELj8EfllfffEEvT3_20rocsparse_direction_NS_24const_host_device_scalarIT1_EES1_PKS1_PKT2_SA_S7_PKT4_PKT5_S5_PT6_21rocsparse_index_base_b
    .private_segment_fixed_size: 0
    .sgpr_count:     20
    .sgpr_spill_count: 0
    .symbol:         _ZN9rocsparseL18bsrxmvn_4x4_kernelILj128ELj8EfllfffEEvT3_20rocsparse_direction_NS_24const_host_device_scalarIT1_EES1_PKS1_PKT2_SA_S7_PKT4_PKT5_S5_PT6_21rocsparse_index_base_b.kd
    .uniform_work_group_size: 1
    .uses_dynamic_stack: false
    .vgpr_count:     106
    .vgpr_spill_count: 0
    .wavefront_size: 32
  - .args:
      - .offset:         0
        .size:           8
        .value_kind:     by_value
      - .offset:         8
        .size:           4
        .value_kind:     by_value
      - .offset:         16
        .size:           8
        .value_kind:     by_value
      - .offset:         24
        .size:           8
        .value_kind:     by_value
      - .actual_access:  read_only
        .address_space:  global
        .offset:         32
        .size:           8
        .value_kind:     global_buffer
      - .actual_access:  read_only
        .address_space:  global
        .offset:         40
        .size:           8
        .value_kind:     global_buffer
      - .actual_access:  read_only
        .address_space:  global
        .offset:         48
        .size:           8
        .value_kind:     global_buffer
      - .actual_access:  read_only
        .address_space:  global
        .offset:         56
        .size:           8
        .value_kind:     global_buffer
      - .actual_access:  read_only
        .address_space:  global
        .offset:         64
        .size:           8
        .value_kind:     global_buffer
      - .actual_access:  read_only
        .address_space:  global
        .offset:         72
        .size:           8
        .value_kind:     global_buffer
      - .offset:         80
        .size:           8
        .value_kind:     by_value
      - .address_space:  global
        .offset:         88
        .size:           8
        .value_kind:     global_buffer
      - .offset:         96
        .size:           4
        .value_kind:     by_value
      - .offset:         100
        .size:           1
        .value_kind:     by_value
    .group_segment_fixed_size: 0
    .kernarg_segment_align: 8
    .kernarg_segment_size: 104
    .language:       OpenCL C
    .language_version:
      - 2
      - 0
    .max_flat_workgroup_size: 128
    .name:           _ZN9rocsparseL18bsrxmvn_4x4_kernelILj128ELj16EfllfffEEvT3_20rocsparse_direction_NS_24const_host_device_scalarIT1_EES1_PKS1_PKT2_SA_S7_PKT4_PKT5_S5_PT6_21rocsparse_index_base_b
    .private_segment_fixed_size: 0
    .sgpr_count:     20
    .sgpr_spill_count: 0
    .symbol:         _ZN9rocsparseL18bsrxmvn_4x4_kernelILj128ELj16EfllfffEEvT3_20rocsparse_direction_NS_24const_host_device_scalarIT1_EES1_PKS1_PKT2_SA_S7_PKT4_PKT5_S5_PT6_21rocsparse_index_base_b.kd
    .uniform_work_group_size: 1
    .uses_dynamic_stack: false
    .vgpr_count:     106
    .vgpr_spill_count: 0
    .wavefront_size: 32
  - .args:
      - .offset:         0
        .size:           8
        .value_kind:     by_value
      - .offset:         8
        .size:           4
        .value_kind:     by_value
      - .offset:         16
        .size:           8
        .value_kind:     by_value
      - .offset:         24
        .size:           8
        .value_kind:     by_value
      - .actual_access:  read_only
        .address_space:  global
        .offset:         32
        .size:           8
        .value_kind:     global_buffer
      - .actual_access:  read_only
        .address_space:  global
        .offset:         40
        .size:           8
        .value_kind:     global_buffer
      - .actual_access:  read_only
        .address_space:  global
        .offset:         48
        .size:           8
        .value_kind:     global_buffer
      - .actual_access:  read_only
        .address_space:  global
        .offset:         56
        .size:           8
        .value_kind:     global_buffer
      - .actual_access:  read_only
        .address_space:  global
        .offset:         64
        .size:           8
        .value_kind:     global_buffer
      - .actual_access:  read_only
        .address_space:  global
        .offset:         72
        .size:           8
        .value_kind:     global_buffer
      - .offset:         80
        .size:           8
        .value_kind:     by_value
      - .address_space:  global
        .offset:         88
        .size:           8
        .value_kind:     global_buffer
      - .offset:         96
        .size:           4
        .value_kind:     by_value
      - .offset:         100
        .size:           1
        .value_kind:     by_value
    .group_segment_fixed_size: 0
    .kernarg_segment_align: 8
    .kernarg_segment_size: 104
    .language:       OpenCL C
    .language_version:
      - 2
      - 0
    .max_flat_workgroup_size: 128
    .name:           _ZN9rocsparseL18bsrxmvn_4x4_kernelILj128ELj32EfllfffEEvT3_20rocsparse_direction_NS_24const_host_device_scalarIT1_EES1_PKS1_PKT2_SA_S7_PKT4_PKT5_S5_PT6_21rocsparse_index_base_b
    .private_segment_fixed_size: 0
    .sgpr_count:     20
    .sgpr_spill_count: 0
    .symbol:         _ZN9rocsparseL18bsrxmvn_4x4_kernelILj128ELj32EfllfffEEvT3_20rocsparse_direction_NS_24const_host_device_scalarIT1_EES1_PKS1_PKT2_SA_S7_PKT4_PKT5_S5_PT6_21rocsparse_index_base_b.kd
    .uniform_work_group_size: 1
    .uses_dynamic_stack: false
    .vgpr_count:     106
    .vgpr_spill_count: 0
    .wavefront_size: 32
  - .args:
      - .offset:         0
        .size:           8
        .value_kind:     by_value
      - .offset:         8
        .size:           4
        .value_kind:     by_value
      - .offset:         16
        .size:           8
        .value_kind:     by_value
      - .offset:         24
        .size:           8
        .value_kind:     by_value
      - .actual_access:  read_only
        .address_space:  global
        .offset:         32
        .size:           8
        .value_kind:     global_buffer
      - .actual_access:  read_only
        .address_space:  global
        .offset:         40
        .size:           8
        .value_kind:     global_buffer
      - .actual_access:  read_only
        .address_space:  global
        .offset:         48
        .size:           8
        .value_kind:     global_buffer
      - .actual_access:  read_only
        .address_space:  global
        .offset:         56
        .size:           8
        .value_kind:     global_buffer
      - .actual_access:  read_only
        .address_space:  global
        .offset:         64
        .size:           8
        .value_kind:     global_buffer
      - .actual_access:  read_only
        .address_space:  global
        .offset:         72
        .size:           8
        .value_kind:     global_buffer
      - .offset:         80
        .size:           8
        .value_kind:     by_value
      - .address_space:  global
        .offset:         88
        .size:           8
        .value_kind:     global_buffer
      - .offset:         96
        .size:           4
        .value_kind:     by_value
      - .offset:         100
        .size:           1
        .value_kind:     by_value
    .group_segment_fixed_size: 0
    .kernarg_segment_align: 8
    .kernarg_segment_size: 104
    .language:       OpenCL C
    .language_version:
      - 2
      - 0
    .max_flat_workgroup_size: 128
    .name:           _ZN9rocsparseL18bsrxmvn_4x4_kernelILj128ELj64EfllfffEEvT3_20rocsparse_direction_NS_24const_host_device_scalarIT1_EES1_PKS1_PKT2_SA_S7_PKT4_PKT5_S5_PT6_21rocsparse_index_base_b
    .private_segment_fixed_size: 0
    .sgpr_count:     20
    .sgpr_spill_count: 0
    .symbol:         _ZN9rocsparseL18bsrxmvn_4x4_kernelILj128ELj64EfllfffEEvT3_20rocsparse_direction_NS_24const_host_device_scalarIT1_EES1_PKS1_PKT2_SA_S7_PKT4_PKT5_S5_PT6_21rocsparse_index_base_b.kd
    .uniform_work_group_size: 1
    .uses_dynamic_stack: false
    .vgpr_count:     106
    .vgpr_spill_count: 0
    .wavefront_size: 32
  - .args:
      - .offset:         0
        .size:           8
        .value_kind:     by_value
      - .offset:         8
        .size:           4
        .value_kind:     by_value
      - .offset:         16
        .size:           8
        .value_kind:     by_value
      - .offset:         24
        .size:           8
        .value_kind:     by_value
      - .actual_access:  read_only
        .address_space:  global
        .offset:         32
        .size:           8
        .value_kind:     global_buffer
      - .actual_access:  read_only
        .address_space:  global
        .offset:         40
        .size:           8
        .value_kind:     global_buffer
      - .actual_access:  read_only
        .address_space:  global
        .offset:         48
        .size:           8
        .value_kind:     global_buffer
      - .actual_access:  read_only
        .address_space:  global
        .offset:         56
        .size:           8
        .value_kind:     global_buffer
      - .actual_access:  read_only
        .address_space:  global
        .offset:         64
        .size:           8
        .value_kind:     global_buffer
      - .actual_access:  read_only
        .address_space:  global
        .offset:         72
        .size:           8
        .value_kind:     global_buffer
      - .offset:         80
        .size:           8
        .value_kind:     by_value
      - .address_space:  global
        .offset:         88
        .size:           8
        .value_kind:     global_buffer
      - .offset:         96
        .size:           4
        .value_kind:     by_value
      - .offset:         100
        .size:           1
        .value_kind:     by_value
    .group_segment_fixed_size: 0
    .kernarg_segment_align: 8
    .kernarg_segment_size: 104
    .language:       OpenCL C
    .language_version:
      - 2
      - 0
    .max_flat_workgroup_size: 128
    .name:           _ZN9rocsparseL18bsrxmvn_4x4_kernelILj128ELj4EdlldddEEvT3_20rocsparse_direction_NS_24const_host_device_scalarIT1_EES1_PKS1_PKT2_SA_S7_PKT4_PKT5_S5_PT6_21rocsparse_index_base_b
    .private_segment_fixed_size: 0
    .sgpr_count:     14
    .sgpr_spill_count: 0
    .symbol:         _ZN9rocsparseL18bsrxmvn_4x4_kernelILj128ELj4EdlldddEEvT3_20rocsparse_direction_NS_24const_host_device_scalarIT1_EES1_PKS1_PKT2_SA_S7_PKT4_PKT5_S5_PT6_21rocsparse_index_base_b.kd
    .uniform_work_group_size: 1
    .uses_dynamic_stack: false
    .vgpr_count:     140
    .vgpr_spill_count: 0
    .wavefront_size: 32
  - .args:
      - .offset:         0
        .size:           8
        .value_kind:     by_value
      - .offset:         8
        .size:           4
        .value_kind:     by_value
      - .offset:         16
        .size:           8
        .value_kind:     by_value
      - .offset:         24
        .size:           8
        .value_kind:     by_value
      - .actual_access:  read_only
        .address_space:  global
        .offset:         32
        .size:           8
        .value_kind:     global_buffer
      - .actual_access:  read_only
        .address_space:  global
        .offset:         40
        .size:           8
        .value_kind:     global_buffer
      - .actual_access:  read_only
        .address_space:  global
        .offset:         48
        .size:           8
        .value_kind:     global_buffer
      - .actual_access:  read_only
        .address_space:  global
        .offset:         56
        .size:           8
        .value_kind:     global_buffer
      - .actual_access:  read_only
        .address_space:  global
        .offset:         64
        .size:           8
        .value_kind:     global_buffer
      - .actual_access:  read_only
        .address_space:  global
        .offset:         72
        .size:           8
        .value_kind:     global_buffer
      - .offset:         80
        .size:           8
        .value_kind:     by_value
      - .address_space:  global
        .offset:         88
        .size:           8
        .value_kind:     global_buffer
      - .offset:         96
        .size:           4
        .value_kind:     by_value
      - .offset:         100
        .size:           1
        .value_kind:     by_value
    .group_segment_fixed_size: 0
    .kernarg_segment_align: 8
    .kernarg_segment_size: 104
    .language:       OpenCL C
    .language_version:
      - 2
      - 0
    .max_flat_workgroup_size: 128
    .name:           _ZN9rocsparseL18bsrxmvn_4x4_kernelILj128ELj8EdlldddEEvT3_20rocsparse_direction_NS_24const_host_device_scalarIT1_EES1_PKS1_PKT2_SA_S7_PKT4_PKT5_S5_PT6_21rocsparse_index_base_b
    .private_segment_fixed_size: 0
    .sgpr_count:     14
    .sgpr_spill_count: 0
    .symbol:         _ZN9rocsparseL18bsrxmvn_4x4_kernelILj128ELj8EdlldddEEvT3_20rocsparse_direction_NS_24const_host_device_scalarIT1_EES1_PKS1_PKT2_SA_S7_PKT4_PKT5_S5_PT6_21rocsparse_index_base_b.kd
    .uniform_work_group_size: 1
    .uses_dynamic_stack: false
    .vgpr_count:     140
    .vgpr_spill_count: 0
    .wavefront_size: 32
  - .args:
      - .offset:         0
        .size:           8
        .value_kind:     by_value
      - .offset:         8
        .size:           4
        .value_kind:     by_value
      - .offset:         16
        .size:           8
        .value_kind:     by_value
      - .offset:         24
        .size:           8
        .value_kind:     by_value
      - .actual_access:  read_only
        .address_space:  global
        .offset:         32
        .size:           8
        .value_kind:     global_buffer
      - .actual_access:  read_only
        .address_space:  global
        .offset:         40
        .size:           8
        .value_kind:     global_buffer
      - .actual_access:  read_only
        .address_space:  global
        .offset:         48
        .size:           8
        .value_kind:     global_buffer
      - .actual_access:  read_only
        .address_space:  global
        .offset:         56
        .size:           8
        .value_kind:     global_buffer
      - .actual_access:  read_only
        .address_space:  global
        .offset:         64
        .size:           8
        .value_kind:     global_buffer
      - .actual_access:  read_only
        .address_space:  global
        .offset:         72
        .size:           8
        .value_kind:     global_buffer
      - .offset:         80
        .size:           8
        .value_kind:     by_value
      - .address_space:  global
        .offset:         88
        .size:           8
        .value_kind:     global_buffer
      - .offset:         96
        .size:           4
        .value_kind:     by_value
      - .offset:         100
        .size:           1
        .value_kind:     by_value
    .group_segment_fixed_size: 0
    .kernarg_segment_align: 8
    .kernarg_segment_size: 104
    .language:       OpenCL C
    .language_version:
      - 2
      - 0
    .max_flat_workgroup_size: 128
    .name:           _ZN9rocsparseL18bsrxmvn_4x4_kernelILj128ELj16EdlldddEEvT3_20rocsparse_direction_NS_24const_host_device_scalarIT1_EES1_PKS1_PKT2_SA_S7_PKT4_PKT5_S5_PT6_21rocsparse_index_base_b
    .private_segment_fixed_size: 0
    .sgpr_count:     14
    .sgpr_spill_count: 0
    .symbol:         _ZN9rocsparseL18bsrxmvn_4x4_kernelILj128ELj16EdlldddEEvT3_20rocsparse_direction_NS_24const_host_device_scalarIT1_EES1_PKS1_PKT2_SA_S7_PKT4_PKT5_S5_PT6_21rocsparse_index_base_b.kd
    .uniform_work_group_size: 1
    .uses_dynamic_stack: false
    .vgpr_count:     140
    .vgpr_spill_count: 0
    .wavefront_size: 32
  - .args:
      - .offset:         0
        .size:           8
        .value_kind:     by_value
      - .offset:         8
        .size:           4
        .value_kind:     by_value
      - .offset:         16
        .size:           8
        .value_kind:     by_value
      - .offset:         24
        .size:           8
        .value_kind:     by_value
      - .actual_access:  read_only
        .address_space:  global
        .offset:         32
        .size:           8
        .value_kind:     global_buffer
      - .actual_access:  read_only
        .address_space:  global
        .offset:         40
        .size:           8
        .value_kind:     global_buffer
      - .actual_access:  read_only
        .address_space:  global
        .offset:         48
        .size:           8
        .value_kind:     global_buffer
      - .actual_access:  read_only
        .address_space:  global
        .offset:         56
        .size:           8
        .value_kind:     global_buffer
      - .actual_access:  read_only
        .address_space:  global
        .offset:         64
        .size:           8
        .value_kind:     global_buffer
      - .actual_access:  read_only
        .address_space:  global
        .offset:         72
        .size:           8
        .value_kind:     global_buffer
      - .offset:         80
        .size:           8
        .value_kind:     by_value
      - .address_space:  global
        .offset:         88
        .size:           8
        .value_kind:     global_buffer
      - .offset:         96
        .size:           4
        .value_kind:     by_value
      - .offset:         100
        .size:           1
        .value_kind:     by_value
    .group_segment_fixed_size: 0
    .kernarg_segment_align: 8
    .kernarg_segment_size: 104
    .language:       OpenCL C
    .language_version:
      - 2
      - 0
    .max_flat_workgroup_size: 128
    .name:           _ZN9rocsparseL18bsrxmvn_4x4_kernelILj128ELj32EdlldddEEvT3_20rocsparse_direction_NS_24const_host_device_scalarIT1_EES1_PKS1_PKT2_SA_S7_PKT4_PKT5_S5_PT6_21rocsparse_index_base_b
    .private_segment_fixed_size: 0
    .sgpr_count:     14
    .sgpr_spill_count: 0
    .symbol:         _ZN9rocsparseL18bsrxmvn_4x4_kernelILj128ELj32EdlldddEEvT3_20rocsparse_direction_NS_24const_host_device_scalarIT1_EES1_PKS1_PKT2_SA_S7_PKT4_PKT5_S5_PT6_21rocsparse_index_base_b.kd
    .uniform_work_group_size: 1
    .uses_dynamic_stack: false
    .vgpr_count:     140
    .vgpr_spill_count: 0
    .wavefront_size: 32
  - .args:
      - .offset:         0
        .size:           8
        .value_kind:     by_value
      - .offset:         8
        .size:           4
        .value_kind:     by_value
      - .offset:         16
        .size:           8
        .value_kind:     by_value
      - .offset:         24
        .size:           8
        .value_kind:     by_value
      - .actual_access:  read_only
        .address_space:  global
        .offset:         32
        .size:           8
        .value_kind:     global_buffer
      - .actual_access:  read_only
        .address_space:  global
        .offset:         40
        .size:           8
        .value_kind:     global_buffer
      - .actual_access:  read_only
        .address_space:  global
        .offset:         48
        .size:           8
        .value_kind:     global_buffer
      - .actual_access:  read_only
        .address_space:  global
        .offset:         56
        .size:           8
        .value_kind:     global_buffer
      - .actual_access:  read_only
        .address_space:  global
        .offset:         64
        .size:           8
        .value_kind:     global_buffer
      - .actual_access:  read_only
        .address_space:  global
        .offset:         72
        .size:           8
        .value_kind:     global_buffer
      - .offset:         80
        .size:           8
        .value_kind:     by_value
      - .address_space:  global
        .offset:         88
        .size:           8
        .value_kind:     global_buffer
      - .offset:         96
        .size:           4
        .value_kind:     by_value
      - .offset:         100
        .size:           1
        .value_kind:     by_value
    .group_segment_fixed_size: 0
    .kernarg_segment_align: 8
    .kernarg_segment_size: 104
    .language:       OpenCL C
    .language_version:
      - 2
      - 0
    .max_flat_workgroup_size: 128
    .name:           _ZN9rocsparseL18bsrxmvn_4x4_kernelILj128ELj64EdlldddEEvT3_20rocsparse_direction_NS_24const_host_device_scalarIT1_EES1_PKS1_PKT2_SA_S7_PKT4_PKT5_S5_PT6_21rocsparse_index_base_b
    .private_segment_fixed_size: 0
    .sgpr_count:     14
    .sgpr_spill_count: 0
    .symbol:         _ZN9rocsparseL18bsrxmvn_4x4_kernelILj128ELj64EdlldddEEvT3_20rocsparse_direction_NS_24const_host_device_scalarIT1_EES1_PKS1_PKT2_SA_S7_PKT4_PKT5_S5_PT6_21rocsparse_index_base_b.kd
    .uniform_work_group_size: 1
    .uses_dynamic_stack: false
    .vgpr_count:     140
    .vgpr_spill_count: 0
    .wavefront_size: 32
  - .args:
      - .offset:         0
        .size:           8
        .value_kind:     by_value
      - .offset:         8
        .size:           4
        .value_kind:     by_value
      - .offset:         16
        .size:           8
        .value_kind:     by_value
      - .offset:         24
        .size:           8
        .value_kind:     by_value
      - .actual_access:  read_only
        .address_space:  global
        .offset:         32
        .size:           8
        .value_kind:     global_buffer
      - .actual_access:  read_only
        .address_space:  global
        .offset:         40
        .size:           8
        .value_kind:     global_buffer
      - .actual_access:  read_only
        .address_space:  global
        .offset:         48
        .size:           8
        .value_kind:     global_buffer
      - .actual_access:  read_only
        .address_space:  global
        .offset:         56
        .size:           8
        .value_kind:     global_buffer
      - .actual_access:  read_only
        .address_space:  global
        .offset:         64
        .size:           8
        .value_kind:     global_buffer
      - .actual_access:  read_only
        .address_space:  global
        .offset:         72
        .size:           8
        .value_kind:     global_buffer
      - .offset:         80
        .size:           8
        .value_kind:     by_value
      - .address_space:  global
        .offset:         88
        .size:           8
        .value_kind:     global_buffer
      - .offset:         96
        .size:           4
        .value_kind:     by_value
      - .offset:         100
        .size:           1
        .value_kind:     by_value
    .group_segment_fixed_size: 0
    .kernarg_segment_align: 8
    .kernarg_segment_size: 104
    .language:       OpenCL C
    .language_version:
      - 2
      - 0
    .max_flat_workgroup_size: 128
    .name:           _ZN9rocsparseL18bsrxmvn_4x4_kernelILj128ELj4E21rocsparse_complex_numIfEllS2_S2_S2_EEvT3_20rocsparse_direction_NS_24const_host_device_scalarIT1_EES3_PKS3_PKT2_SC_S9_PKT4_PKT5_S7_PT6_21rocsparse_index_base_b
    .private_segment_fixed_size: 0
    .sgpr_count:     16
    .sgpr_spill_count: 0
    .symbol:         _ZN9rocsparseL18bsrxmvn_4x4_kernelILj128ELj4E21rocsparse_complex_numIfEllS2_S2_S2_EEvT3_20rocsparse_direction_NS_24const_host_device_scalarIT1_EES3_PKS3_PKT2_SC_S9_PKT4_PKT5_S7_PT6_21rocsparse_index_base_b.kd
    .uniform_work_group_size: 1
    .uses_dynamic_stack: false
    .vgpr_count:     160
    .vgpr_spill_count: 0
    .wavefront_size: 32
  - .args:
      - .offset:         0
        .size:           8
        .value_kind:     by_value
      - .offset:         8
        .size:           4
        .value_kind:     by_value
      - .offset:         16
        .size:           8
        .value_kind:     by_value
      - .offset:         24
        .size:           8
        .value_kind:     by_value
      - .actual_access:  read_only
        .address_space:  global
        .offset:         32
        .size:           8
        .value_kind:     global_buffer
      - .actual_access:  read_only
        .address_space:  global
        .offset:         40
        .size:           8
        .value_kind:     global_buffer
      - .actual_access:  read_only
        .address_space:  global
        .offset:         48
        .size:           8
        .value_kind:     global_buffer
      - .actual_access:  read_only
        .address_space:  global
        .offset:         56
        .size:           8
        .value_kind:     global_buffer
      - .actual_access:  read_only
        .address_space:  global
        .offset:         64
        .size:           8
        .value_kind:     global_buffer
      - .actual_access:  read_only
        .address_space:  global
        .offset:         72
        .size:           8
        .value_kind:     global_buffer
      - .offset:         80
        .size:           8
        .value_kind:     by_value
      - .address_space:  global
        .offset:         88
        .size:           8
        .value_kind:     global_buffer
      - .offset:         96
        .size:           4
        .value_kind:     by_value
      - .offset:         100
        .size:           1
        .value_kind:     by_value
    .group_segment_fixed_size: 0
    .kernarg_segment_align: 8
    .kernarg_segment_size: 104
    .language:       OpenCL C
    .language_version:
      - 2
      - 0
    .max_flat_workgroup_size: 128
    .name:           _ZN9rocsparseL18bsrxmvn_4x4_kernelILj128ELj8E21rocsparse_complex_numIfEllS2_S2_S2_EEvT3_20rocsparse_direction_NS_24const_host_device_scalarIT1_EES3_PKS3_PKT2_SC_S9_PKT4_PKT5_S7_PT6_21rocsparse_index_base_b
    .private_segment_fixed_size: 0
    .sgpr_count:     16
    .sgpr_spill_count: 0
    .symbol:         _ZN9rocsparseL18bsrxmvn_4x4_kernelILj128ELj8E21rocsparse_complex_numIfEllS2_S2_S2_EEvT3_20rocsparse_direction_NS_24const_host_device_scalarIT1_EES3_PKS3_PKT2_SC_S9_PKT4_PKT5_S7_PT6_21rocsparse_index_base_b.kd
    .uniform_work_group_size: 1
    .uses_dynamic_stack: false
    .vgpr_count:     160
    .vgpr_spill_count: 0
    .wavefront_size: 32
  - .args:
      - .offset:         0
        .size:           8
        .value_kind:     by_value
      - .offset:         8
        .size:           4
        .value_kind:     by_value
      - .offset:         16
        .size:           8
        .value_kind:     by_value
      - .offset:         24
        .size:           8
        .value_kind:     by_value
      - .actual_access:  read_only
        .address_space:  global
        .offset:         32
        .size:           8
        .value_kind:     global_buffer
      - .actual_access:  read_only
        .address_space:  global
        .offset:         40
        .size:           8
        .value_kind:     global_buffer
      - .actual_access:  read_only
        .address_space:  global
        .offset:         48
        .size:           8
        .value_kind:     global_buffer
      - .actual_access:  read_only
        .address_space:  global
        .offset:         56
        .size:           8
        .value_kind:     global_buffer
      - .actual_access:  read_only
        .address_space:  global
        .offset:         64
        .size:           8
        .value_kind:     global_buffer
      - .actual_access:  read_only
        .address_space:  global
        .offset:         72
        .size:           8
        .value_kind:     global_buffer
      - .offset:         80
        .size:           8
        .value_kind:     by_value
      - .address_space:  global
        .offset:         88
        .size:           8
        .value_kind:     global_buffer
      - .offset:         96
        .size:           4
        .value_kind:     by_value
      - .offset:         100
        .size:           1
        .value_kind:     by_value
    .group_segment_fixed_size: 0
    .kernarg_segment_align: 8
    .kernarg_segment_size: 104
    .language:       OpenCL C
    .language_version:
      - 2
      - 0
    .max_flat_workgroup_size: 128
    .name:           _ZN9rocsparseL18bsrxmvn_4x4_kernelILj128ELj16E21rocsparse_complex_numIfEllS2_S2_S2_EEvT3_20rocsparse_direction_NS_24const_host_device_scalarIT1_EES3_PKS3_PKT2_SC_S9_PKT4_PKT5_S7_PT6_21rocsparse_index_base_b
    .private_segment_fixed_size: 0
    .sgpr_count:     16
    .sgpr_spill_count: 0
    .symbol:         _ZN9rocsparseL18bsrxmvn_4x4_kernelILj128ELj16E21rocsparse_complex_numIfEllS2_S2_S2_EEvT3_20rocsparse_direction_NS_24const_host_device_scalarIT1_EES3_PKS3_PKT2_SC_S9_PKT4_PKT5_S7_PT6_21rocsparse_index_base_b.kd
    .uniform_work_group_size: 1
    .uses_dynamic_stack: false
    .vgpr_count:     160
    .vgpr_spill_count: 0
    .wavefront_size: 32
  - .args:
      - .offset:         0
        .size:           8
        .value_kind:     by_value
      - .offset:         8
        .size:           4
        .value_kind:     by_value
      - .offset:         16
        .size:           8
        .value_kind:     by_value
      - .offset:         24
        .size:           8
        .value_kind:     by_value
      - .actual_access:  read_only
        .address_space:  global
        .offset:         32
        .size:           8
        .value_kind:     global_buffer
      - .actual_access:  read_only
        .address_space:  global
        .offset:         40
        .size:           8
        .value_kind:     global_buffer
      - .actual_access:  read_only
        .address_space:  global
        .offset:         48
        .size:           8
        .value_kind:     global_buffer
      - .actual_access:  read_only
        .address_space:  global
        .offset:         56
        .size:           8
        .value_kind:     global_buffer
      - .actual_access:  read_only
        .address_space:  global
        .offset:         64
        .size:           8
        .value_kind:     global_buffer
      - .actual_access:  read_only
        .address_space:  global
        .offset:         72
        .size:           8
        .value_kind:     global_buffer
      - .offset:         80
        .size:           8
        .value_kind:     by_value
      - .address_space:  global
        .offset:         88
        .size:           8
        .value_kind:     global_buffer
      - .offset:         96
        .size:           4
        .value_kind:     by_value
      - .offset:         100
        .size:           1
        .value_kind:     by_value
    .group_segment_fixed_size: 0
    .kernarg_segment_align: 8
    .kernarg_segment_size: 104
    .language:       OpenCL C
    .language_version:
      - 2
      - 0
    .max_flat_workgroup_size: 128
    .name:           _ZN9rocsparseL18bsrxmvn_4x4_kernelILj128ELj32E21rocsparse_complex_numIfEllS2_S2_S2_EEvT3_20rocsparse_direction_NS_24const_host_device_scalarIT1_EES3_PKS3_PKT2_SC_S9_PKT4_PKT5_S7_PT6_21rocsparse_index_base_b
    .private_segment_fixed_size: 0
    .sgpr_count:     16
    .sgpr_spill_count: 0
    .symbol:         _ZN9rocsparseL18bsrxmvn_4x4_kernelILj128ELj32E21rocsparse_complex_numIfEllS2_S2_S2_EEvT3_20rocsparse_direction_NS_24const_host_device_scalarIT1_EES3_PKS3_PKT2_SC_S9_PKT4_PKT5_S7_PT6_21rocsparse_index_base_b.kd
    .uniform_work_group_size: 1
    .uses_dynamic_stack: false
    .vgpr_count:     160
    .vgpr_spill_count: 0
    .wavefront_size: 32
  - .args:
      - .offset:         0
        .size:           8
        .value_kind:     by_value
      - .offset:         8
        .size:           4
        .value_kind:     by_value
      - .offset:         16
        .size:           8
        .value_kind:     by_value
      - .offset:         24
        .size:           8
        .value_kind:     by_value
      - .actual_access:  read_only
        .address_space:  global
        .offset:         32
        .size:           8
        .value_kind:     global_buffer
      - .actual_access:  read_only
        .address_space:  global
        .offset:         40
        .size:           8
        .value_kind:     global_buffer
      - .actual_access:  read_only
        .address_space:  global
        .offset:         48
        .size:           8
        .value_kind:     global_buffer
      - .actual_access:  read_only
        .address_space:  global
        .offset:         56
        .size:           8
        .value_kind:     global_buffer
      - .actual_access:  read_only
        .address_space:  global
        .offset:         64
        .size:           8
        .value_kind:     global_buffer
      - .actual_access:  read_only
        .address_space:  global
        .offset:         72
        .size:           8
        .value_kind:     global_buffer
      - .offset:         80
        .size:           8
        .value_kind:     by_value
      - .address_space:  global
        .offset:         88
        .size:           8
        .value_kind:     global_buffer
      - .offset:         96
        .size:           4
        .value_kind:     by_value
      - .offset:         100
        .size:           1
        .value_kind:     by_value
    .group_segment_fixed_size: 0
    .kernarg_segment_align: 8
    .kernarg_segment_size: 104
    .language:       OpenCL C
    .language_version:
      - 2
      - 0
    .max_flat_workgroup_size: 128
    .name:           _ZN9rocsparseL18bsrxmvn_4x4_kernelILj128ELj64E21rocsparse_complex_numIfEllS2_S2_S2_EEvT3_20rocsparse_direction_NS_24const_host_device_scalarIT1_EES3_PKS3_PKT2_SC_S9_PKT4_PKT5_S7_PT6_21rocsparse_index_base_b
    .private_segment_fixed_size: 0
    .sgpr_count:     16
    .sgpr_spill_count: 0
    .symbol:         _ZN9rocsparseL18bsrxmvn_4x4_kernelILj128ELj64E21rocsparse_complex_numIfEllS2_S2_S2_EEvT3_20rocsparse_direction_NS_24const_host_device_scalarIT1_EES3_PKS3_PKT2_SC_S9_PKT4_PKT5_S7_PT6_21rocsparse_index_base_b.kd
    .uniform_work_group_size: 1
    .uses_dynamic_stack: false
    .vgpr_count:     160
    .vgpr_spill_count: 0
    .wavefront_size: 32
  - .args:
      - .offset:         0
        .size:           8
        .value_kind:     by_value
      - .offset:         8
        .size:           4
        .value_kind:     by_value
      - .offset:         16
        .size:           16
        .value_kind:     by_value
      - .offset:         32
        .size:           8
        .value_kind:     by_value
      - .actual_access:  read_only
        .address_space:  global
        .offset:         40
        .size:           8
        .value_kind:     global_buffer
      - .actual_access:  read_only
        .address_space:  global
        .offset:         48
        .size:           8
        .value_kind:     global_buffer
      - .actual_access:  read_only
        .address_space:  global
        .offset:         56
        .size:           8
        .value_kind:     global_buffer
      - .actual_access:  read_only
        .address_space:  global
        .offset:         64
        .size:           8
        .value_kind:     global_buffer
      - .actual_access:  read_only
        .address_space:  global
        .offset:         72
        .size:           8
        .value_kind:     global_buffer
      - .actual_access:  read_only
        .address_space:  global
        .offset:         80
        .size:           8
        .value_kind:     global_buffer
      - .offset:         88
        .size:           16
        .value_kind:     by_value
      - .address_space:  global
        .offset:         104
        .size:           8
        .value_kind:     global_buffer
      - .offset:         112
        .size:           4
        .value_kind:     by_value
      - .offset:         116
        .size:           1
        .value_kind:     by_value
    .group_segment_fixed_size: 0
    .kernarg_segment_align: 8
    .kernarg_segment_size: 120
    .language:       OpenCL C
    .language_version:
      - 2
      - 0
    .max_flat_workgroup_size: 128
    .name:           _ZN9rocsparseL18bsrxmvn_4x4_kernelILj128ELj4E21rocsparse_complex_numIdEllS2_S2_S2_EEvT3_20rocsparse_direction_NS_24const_host_device_scalarIT1_EES3_PKS3_PKT2_SC_S9_PKT4_PKT5_S7_PT6_21rocsparse_index_base_b
    .private_segment_fixed_size: 0
    .sgpr_count:     14
    .sgpr_spill_count: 0
    .symbol:         _ZN9rocsparseL18bsrxmvn_4x4_kernelILj128ELj4E21rocsparse_complex_numIdEllS2_S2_S2_EEvT3_20rocsparse_direction_NS_24const_host_device_scalarIT1_EES3_PKS3_PKT2_SC_S9_PKT4_PKT5_S7_PT6_21rocsparse_index_base_b.kd
    .uniform_work_group_size: 1
    .uses_dynamic_stack: false
    .vgpr_count:     178
    .vgpr_spill_count: 0
    .wavefront_size: 32
  - .args:
      - .offset:         0
        .size:           8
        .value_kind:     by_value
      - .offset:         8
        .size:           4
        .value_kind:     by_value
      - .offset:         16
        .size:           16
        .value_kind:     by_value
      - .offset:         32
        .size:           8
        .value_kind:     by_value
      - .actual_access:  read_only
        .address_space:  global
        .offset:         40
        .size:           8
        .value_kind:     global_buffer
      - .actual_access:  read_only
        .address_space:  global
        .offset:         48
        .size:           8
        .value_kind:     global_buffer
      - .actual_access:  read_only
        .address_space:  global
        .offset:         56
        .size:           8
        .value_kind:     global_buffer
      - .actual_access:  read_only
        .address_space:  global
        .offset:         64
        .size:           8
        .value_kind:     global_buffer
      - .actual_access:  read_only
        .address_space:  global
        .offset:         72
        .size:           8
        .value_kind:     global_buffer
      - .actual_access:  read_only
        .address_space:  global
        .offset:         80
        .size:           8
        .value_kind:     global_buffer
      - .offset:         88
        .size:           16
        .value_kind:     by_value
      - .address_space:  global
        .offset:         104
        .size:           8
        .value_kind:     global_buffer
      - .offset:         112
        .size:           4
        .value_kind:     by_value
      - .offset:         116
        .size:           1
        .value_kind:     by_value
    .group_segment_fixed_size: 0
    .kernarg_segment_align: 8
    .kernarg_segment_size: 120
    .language:       OpenCL C
    .language_version:
      - 2
      - 0
    .max_flat_workgroup_size: 128
    .name:           _ZN9rocsparseL18bsrxmvn_4x4_kernelILj128ELj8E21rocsparse_complex_numIdEllS2_S2_S2_EEvT3_20rocsparse_direction_NS_24const_host_device_scalarIT1_EES3_PKS3_PKT2_SC_S9_PKT4_PKT5_S7_PT6_21rocsparse_index_base_b
    .private_segment_fixed_size: 0
    .sgpr_count:     14
    .sgpr_spill_count: 0
    .symbol:         _ZN9rocsparseL18bsrxmvn_4x4_kernelILj128ELj8E21rocsparse_complex_numIdEllS2_S2_S2_EEvT3_20rocsparse_direction_NS_24const_host_device_scalarIT1_EES3_PKS3_PKT2_SC_S9_PKT4_PKT5_S7_PT6_21rocsparse_index_base_b.kd
    .uniform_work_group_size: 1
    .uses_dynamic_stack: false
    .vgpr_count:     178
    .vgpr_spill_count: 0
    .wavefront_size: 32
  - .args:
      - .offset:         0
        .size:           8
        .value_kind:     by_value
      - .offset:         8
        .size:           4
        .value_kind:     by_value
      - .offset:         16
        .size:           16
        .value_kind:     by_value
      - .offset:         32
        .size:           8
        .value_kind:     by_value
      - .actual_access:  read_only
        .address_space:  global
        .offset:         40
        .size:           8
        .value_kind:     global_buffer
      - .actual_access:  read_only
        .address_space:  global
        .offset:         48
        .size:           8
        .value_kind:     global_buffer
      - .actual_access:  read_only
        .address_space:  global
        .offset:         56
        .size:           8
        .value_kind:     global_buffer
      - .actual_access:  read_only
        .address_space:  global
        .offset:         64
        .size:           8
        .value_kind:     global_buffer
      - .actual_access:  read_only
        .address_space:  global
        .offset:         72
        .size:           8
        .value_kind:     global_buffer
      - .actual_access:  read_only
        .address_space:  global
        .offset:         80
        .size:           8
        .value_kind:     global_buffer
      - .offset:         88
        .size:           16
        .value_kind:     by_value
      - .address_space:  global
        .offset:         104
        .size:           8
        .value_kind:     global_buffer
      - .offset:         112
        .size:           4
        .value_kind:     by_value
      - .offset:         116
        .size:           1
        .value_kind:     by_value
    .group_segment_fixed_size: 0
    .kernarg_segment_align: 8
    .kernarg_segment_size: 120
    .language:       OpenCL C
    .language_version:
      - 2
      - 0
    .max_flat_workgroup_size: 128
    .name:           _ZN9rocsparseL18bsrxmvn_4x4_kernelILj128ELj16E21rocsparse_complex_numIdEllS2_S2_S2_EEvT3_20rocsparse_direction_NS_24const_host_device_scalarIT1_EES3_PKS3_PKT2_SC_S9_PKT4_PKT5_S7_PT6_21rocsparse_index_base_b
    .private_segment_fixed_size: 0
    .sgpr_count:     14
    .sgpr_spill_count: 0
    .symbol:         _ZN9rocsparseL18bsrxmvn_4x4_kernelILj128ELj16E21rocsparse_complex_numIdEllS2_S2_S2_EEvT3_20rocsparse_direction_NS_24const_host_device_scalarIT1_EES3_PKS3_PKT2_SC_S9_PKT4_PKT5_S7_PT6_21rocsparse_index_base_b.kd
    .uniform_work_group_size: 1
    .uses_dynamic_stack: false
    .vgpr_count:     178
    .vgpr_spill_count: 0
    .wavefront_size: 32
  - .args:
      - .offset:         0
        .size:           8
        .value_kind:     by_value
      - .offset:         8
        .size:           4
        .value_kind:     by_value
      - .offset:         16
        .size:           16
        .value_kind:     by_value
      - .offset:         32
        .size:           8
        .value_kind:     by_value
      - .actual_access:  read_only
        .address_space:  global
        .offset:         40
        .size:           8
        .value_kind:     global_buffer
      - .actual_access:  read_only
        .address_space:  global
        .offset:         48
        .size:           8
        .value_kind:     global_buffer
      - .actual_access:  read_only
        .address_space:  global
        .offset:         56
        .size:           8
        .value_kind:     global_buffer
      - .actual_access:  read_only
        .address_space:  global
        .offset:         64
        .size:           8
        .value_kind:     global_buffer
      - .actual_access:  read_only
        .address_space:  global
        .offset:         72
        .size:           8
        .value_kind:     global_buffer
      - .actual_access:  read_only
        .address_space:  global
        .offset:         80
        .size:           8
        .value_kind:     global_buffer
      - .offset:         88
        .size:           16
        .value_kind:     by_value
      - .address_space:  global
        .offset:         104
        .size:           8
        .value_kind:     global_buffer
      - .offset:         112
        .size:           4
        .value_kind:     by_value
      - .offset:         116
        .size:           1
        .value_kind:     by_value
    .group_segment_fixed_size: 0
    .kernarg_segment_align: 8
    .kernarg_segment_size: 120
    .language:       OpenCL C
    .language_version:
      - 2
      - 0
    .max_flat_workgroup_size: 128
    .name:           _ZN9rocsparseL18bsrxmvn_4x4_kernelILj128ELj32E21rocsparse_complex_numIdEllS2_S2_S2_EEvT3_20rocsparse_direction_NS_24const_host_device_scalarIT1_EES3_PKS3_PKT2_SC_S9_PKT4_PKT5_S7_PT6_21rocsparse_index_base_b
    .private_segment_fixed_size: 0
    .sgpr_count:     14
    .sgpr_spill_count: 0
    .symbol:         _ZN9rocsparseL18bsrxmvn_4x4_kernelILj128ELj32E21rocsparse_complex_numIdEllS2_S2_S2_EEvT3_20rocsparse_direction_NS_24const_host_device_scalarIT1_EES3_PKS3_PKT2_SC_S9_PKT4_PKT5_S7_PT6_21rocsparse_index_base_b.kd
    .uniform_work_group_size: 1
    .uses_dynamic_stack: false
    .vgpr_count:     178
    .vgpr_spill_count: 0
    .wavefront_size: 32
  - .args:
      - .offset:         0
        .size:           8
        .value_kind:     by_value
      - .offset:         8
        .size:           4
        .value_kind:     by_value
      - .offset:         16
        .size:           16
        .value_kind:     by_value
      - .offset:         32
        .size:           8
        .value_kind:     by_value
      - .actual_access:  read_only
        .address_space:  global
        .offset:         40
        .size:           8
        .value_kind:     global_buffer
      - .actual_access:  read_only
        .address_space:  global
        .offset:         48
        .size:           8
        .value_kind:     global_buffer
      - .actual_access:  read_only
        .address_space:  global
        .offset:         56
        .size:           8
        .value_kind:     global_buffer
      - .actual_access:  read_only
        .address_space:  global
        .offset:         64
        .size:           8
        .value_kind:     global_buffer
      - .actual_access:  read_only
        .address_space:  global
        .offset:         72
        .size:           8
        .value_kind:     global_buffer
      - .actual_access:  read_only
        .address_space:  global
        .offset:         80
        .size:           8
        .value_kind:     global_buffer
      - .offset:         88
        .size:           16
        .value_kind:     by_value
      - .address_space:  global
        .offset:         104
        .size:           8
        .value_kind:     global_buffer
      - .offset:         112
        .size:           4
        .value_kind:     by_value
      - .offset:         116
        .size:           1
        .value_kind:     by_value
    .group_segment_fixed_size: 0
    .kernarg_segment_align: 8
    .kernarg_segment_size: 120
    .language:       OpenCL C
    .language_version:
      - 2
      - 0
    .max_flat_workgroup_size: 128
    .name:           _ZN9rocsparseL18bsrxmvn_4x4_kernelILj128ELj64E21rocsparse_complex_numIdEllS2_S2_S2_EEvT3_20rocsparse_direction_NS_24const_host_device_scalarIT1_EES3_PKS3_PKT2_SC_S9_PKT4_PKT5_S7_PT6_21rocsparse_index_base_b
    .private_segment_fixed_size: 0
    .sgpr_count:     14
    .sgpr_spill_count: 0
    .symbol:         _ZN9rocsparseL18bsrxmvn_4x4_kernelILj128ELj64E21rocsparse_complex_numIdEllS2_S2_S2_EEvT3_20rocsparse_direction_NS_24const_host_device_scalarIT1_EES3_PKS3_PKT2_SC_S9_PKT4_PKT5_S7_PT6_21rocsparse_index_base_b.kd
    .uniform_work_group_size: 1
    .uses_dynamic_stack: false
    .vgpr_count:     178
    .vgpr_spill_count: 0
    .wavefront_size: 32
  - .args:
      - .offset:         0
        .size:           4
        .value_kind:     by_value
      - .offset:         4
        .size:           4
        .value_kind:     by_value
      - .offset:         8
        .size:           8
        .value_kind:     by_value
      - .offset:         16
        .size:           4
        .value_kind:     by_value
      - .actual_access:  read_only
        .address_space:  global
        .offset:         24
        .size:           8
        .value_kind:     global_buffer
      - .actual_access:  read_only
        .address_space:  global
        .offset:         32
        .size:           8
        .value_kind:     global_buffer
      - .actual_access:  read_only
        .address_space:  global
        .offset:         40
        .size:           8
        .value_kind:     global_buffer
      - .actual_access:  read_only
        .address_space:  global
        .offset:         48
        .size:           8
        .value_kind:     global_buffer
      - .actual_access:  read_only
        .address_space:  global
        .offset:         56
        .size:           8
        .value_kind:     global_buffer
      - .actual_access:  read_only
        .address_space:  global
        .offset:         64
        .size:           8
        .value_kind:     global_buffer
      - .offset:         72
        .size:           8
        .value_kind:     by_value
      - .address_space:  global
        .offset:         80
        .size:           8
        .value_kind:     global_buffer
      - .offset:         88
        .size:           4
        .value_kind:     by_value
      - .offset:         92
        .size:           1
        .value_kind:     by_value
    .group_segment_fixed_size: 0
    .kernarg_segment_align: 8
    .kernarg_segment_size: 96
    .language:       OpenCL C
    .language_version:
      - 2
      - 0
    .max_flat_workgroup_size: 128
    .name:           _ZN9rocsparseL18bsrxmvn_4x4_kernelILj128ELj4EiiiaaiEEvT3_20rocsparse_direction_NS_24const_host_device_scalarIT1_EES1_PKS1_PKT2_SA_S7_PKT4_PKT5_S5_PT6_21rocsparse_index_base_b
    .private_segment_fixed_size: 0
    .sgpr_count:     17
    .sgpr_spill_count: 0
    .symbol:         _ZN9rocsparseL18bsrxmvn_4x4_kernelILj128ELj4EiiiaaiEEvT3_20rocsparse_direction_NS_24const_host_device_scalarIT1_EES1_PKS1_PKT2_SA_S7_PKT4_PKT5_S5_PT6_21rocsparse_index_base_b.kd
    .uniform_work_group_size: 1
    .uses_dynamic_stack: false
    .vgpr_count:     48
    .vgpr_spill_count: 0
    .wavefront_size: 32
  - .args:
      - .offset:         0
        .size:           4
        .value_kind:     by_value
      - .offset:         4
        .size:           4
        .value_kind:     by_value
      - .offset:         8
        .size:           8
        .value_kind:     by_value
      - .offset:         16
        .size:           4
        .value_kind:     by_value
      - .actual_access:  read_only
        .address_space:  global
        .offset:         24
        .size:           8
        .value_kind:     global_buffer
      - .actual_access:  read_only
        .address_space:  global
        .offset:         32
        .size:           8
        .value_kind:     global_buffer
      - .actual_access:  read_only
        .address_space:  global
        .offset:         40
        .size:           8
        .value_kind:     global_buffer
      - .actual_access:  read_only
        .address_space:  global
        .offset:         48
        .size:           8
        .value_kind:     global_buffer
      - .actual_access:  read_only
        .address_space:  global
        .offset:         56
        .size:           8
        .value_kind:     global_buffer
      - .actual_access:  read_only
        .address_space:  global
        .offset:         64
        .size:           8
        .value_kind:     global_buffer
      - .offset:         72
        .size:           8
        .value_kind:     by_value
      - .address_space:  global
        .offset:         80
        .size:           8
        .value_kind:     global_buffer
      - .offset:         88
        .size:           4
        .value_kind:     by_value
      - .offset:         92
        .size:           1
        .value_kind:     by_value
    .group_segment_fixed_size: 0
    .kernarg_segment_align: 8
    .kernarg_segment_size: 96
    .language:       OpenCL C
    .language_version:
      - 2
      - 0
    .max_flat_workgroup_size: 128
    .name:           _ZN9rocsparseL18bsrxmvn_4x4_kernelILj128ELj8EiiiaaiEEvT3_20rocsparse_direction_NS_24const_host_device_scalarIT1_EES1_PKS1_PKT2_SA_S7_PKT4_PKT5_S5_PT6_21rocsparse_index_base_b
    .private_segment_fixed_size: 0
    .sgpr_count:     17
    .sgpr_spill_count: 0
    .symbol:         _ZN9rocsparseL18bsrxmvn_4x4_kernelILj128ELj8EiiiaaiEEvT3_20rocsparse_direction_NS_24const_host_device_scalarIT1_EES1_PKS1_PKT2_SA_S7_PKT4_PKT5_S5_PT6_21rocsparse_index_base_b.kd
    .uniform_work_group_size: 1
    .uses_dynamic_stack: false
    .vgpr_count:     48
    .vgpr_spill_count: 0
    .wavefront_size: 32
  - .args:
      - .offset:         0
        .size:           4
        .value_kind:     by_value
      - .offset:         4
        .size:           4
        .value_kind:     by_value
      - .offset:         8
        .size:           8
        .value_kind:     by_value
      - .offset:         16
        .size:           4
        .value_kind:     by_value
      - .actual_access:  read_only
        .address_space:  global
        .offset:         24
        .size:           8
        .value_kind:     global_buffer
      - .actual_access:  read_only
        .address_space:  global
        .offset:         32
        .size:           8
        .value_kind:     global_buffer
      - .actual_access:  read_only
        .address_space:  global
        .offset:         40
        .size:           8
        .value_kind:     global_buffer
      - .actual_access:  read_only
        .address_space:  global
        .offset:         48
        .size:           8
        .value_kind:     global_buffer
      - .actual_access:  read_only
        .address_space:  global
        .offset:         56
        .size:           8
        .value_kind:     global_buffer
      - .actual_access:  read_only
        .address_space:  global
        .offset:         64
        .size:           8
        .value_kind:     global_buffer
      - .offset:         72
        .size:           8
        .value_kind:     by_value
      - .address_space:  global
        .offset:         80
        .size:           8
        .value_kind:     global_buffer
      - .offset:         88
        .size:           4
        .value_kind:     by_value
      - .offset:         92
        .size:           1
        .value_kind:     by_value
    .group_segment_fixed_size: 0
    .kernarg_segment_align: 8
    .kernarg_segment_size: 96
    .language:       OpenCL C
    .language_version:
      - 2
      - 0
    .max_flat_workgroup_size: 128
    .name:           _ZN9rocsparseL18bsrxmvn_4x4_kernelILj128ELj16EiiiaaiEEvT3_20rocsparse_direction_NS_24const_host_device_scalarIT1_EES1_PKS1_PKT2_SA_S7_PKT4_PKT5_S5_PT6_21rocsparse_index_base_b
    .private_segment_fixed_size: 0
    .sgpr_count:     17
    .sgpr_spill_count: 0
    .symbol:         _ZN9rocsparseL18bsrxmvn_4x4_kernelILj128ELj16EiiiaaiEEvT3_20rocsparse_direction_NS_24const_host_device_scalarIT1_EES1_PKS1_PKT2_SA_S7_PKT4_PKT5_S5_PT6_21rocsparse_index_base_b.kd
    .uniform_work_group_size: 1
    .uses_dynamic_stack: false
    .vgpr_count:     48
    .vgpr_spill_count: 0
    .wavefront_size: 32
  - .args:
      - .offset:         0
        .size:           4
        .value_kind:     by_value
      - .offset:         4
        .size:           4
        .value_kind:     by_value
      - .offset:         8
        .size:           8
        .value_kind:     by_value
      - .offset:         16
        .size:           4
        .value_kind:     by_value
      - .actual_access:  read_only
        .address_space:  global
        .offset:         24
        .size:           8
        .value_kind:     global_buffer
      - .actual_access:  read_only
        .address_space:  global
        .offset:         32
        .size:           8
        .value_kind:     global_buffer
      - .actual_access:  read_only
        .address_space:  global
        .offset:         40
        .size:           8
        .value_kind:     global_buffer
      - .actual_access:  read_only
        .address_space:  global
        .offset:         48
        .size:           8
        .value_kind:     global_buffer
      - .actual_access:  read_only
        .address_space:  global
        .offset:         56
        .size:           8
        .value_kind:     global_buffer
      - .actual_access:  read_only
        .address_space:  global
        .offset:         64
        .size:           8
        .value_kind:     global_buffer
      - .offset:         72
        .size:           8
        .value_kind:     by_value
      - .address_space:  global
        .offset:         80
        .size:           8
        .value_kind:     global_buffer
      - .offset:         88
        .size:           4
        .value_kind:     by_value
      - .offset:         92
        .size:           1
        .value_kind:     by_value
    .group_segment_fixed_size: 0
    .kernarg_segment_align: 8
    .kernarg_segment_size: 96
    .language:       OpenCL C
    .language_version:
      - 2
      - 0
    .max_flat_workgroup_size: 128
    .name:           _ZN9rocsparseL18bsrxmvn_4x4_kernelILj128ELj32EiiiaaiEEvT3_20rocsparse_direction_NS_24const_host_device_scalarIT1_EES1_PKS1_PKT2_SA_S7_PKT4_PKT5_S5_PT6_21rocsparse_index_base_b
    .private_segment_fixed_size: 0
    .sgpr_count:     17
    .sgpr_spill_count: 0
    .symbol:         _ZN9rocsparseL18bsrxmvn_4x4_kernelILj128ELj32EiiiaaiEEvT3_20rocsparse_direction_NS_24const_host_device_scalarIT1_EES1_PKS1_PKT2_SA_S7_PKT4_PKT5_S5_PT6_21rocsparse_index_base_b.kd
    .uniform_work_group_size: 1
    .uses_dynamic_stack: false
    .vgpr_count:     66
    .vgpr_spill_count: 0
    .wavefront_size: 32
  - .args:
      - .offset:         0
        .size:           4
        .value_kind:     by_value
      - .offset:         4
        .size:           4
        .value_kind:     by_value
      - .offset:         8
        .size:           8
        .value_kind:     by_value
      - .offset:         16
        .size:           4
        .value_kind:     by_value
      - .actual_access:  read_only
        .address_space:  global
        .offset:         24
        .size:           8
        .value_kind:     global_buffer
      - .actual_access:  read_only
        .address_space:  global
        .offset:         32
        .size:           8
        .value_kind:     global_buffer
      - .actual_access:  read_only
        .address_space:  global
        .offset:         40
        .size:           8
        .value_kind:     global_buffer
      - .actual_access:  read_only
        .address_space:  global
        .offset:         48
        .size:           8
        .value_kind:     global_buffer
      - .actual_access:  read_only
        .address_space:  global
        .offset:         56
        .size:           8
        .value_kind:     global_buffer
      - .actual_access:  read_only
        .address_space:  global
        .offset:         64
        .size:           8
        .value_kind:     global_buffer
      - .offset:         72
        .size:           8
        .value_kind:     by_value
      - .address_space:  global
        .offset:         80
        .size:           8
        .value_kind:     global_buffer
      - .offset:         88
        .size:           4
        .value_kind:     by_value
      - .offset:         92
        .size:           1
        .value_kind:     by_value
    .group_segment_fixed_size: 0
    .kernarg_segment_align: 8
    .kernarg_segment_size: 96
    .language:       OpenCL C
    .language_version:
      - 2
      - 0
    .max_flat_workgroup_size: 128
    .name:           _ZN9rocsparseL18bsrxmvn_4x4_kernelILj128ELj64EiiiaaiEEvT3_20rocsparse_direction_NS_24const_host_device_scalarIT1_EES1_PKS1_PKT2_SA_S7_PKT4_PKT5_S5_PT6_21rocsparse_index_base_b
    .private_segment_fixed_size: 0
    .sgpr_count:     17
    .sgpr_spill_count: 0
    .symbol:         _ZN9rocsparseL18bsrxmvn_4x4_kernelILj128ELj64EiiiaaiEEvT3_20rocsparse_direction_NS_24const_host_device_scalarIT1_EES1_PKS1_PKT2_SA_S7_PKT4_PKT5_S5_PT6_21rocsparse_index_base_b.kd
    .uniform_work_group_size: 1
    .uses_dynamic_stack: false
    .vgpr_count:     61
    .vgpr_spill_count: 0
    .wavefront_size: 32
  - .args:
      - .offset:         0
        .size:           4
        .value_kind:     by_value
      - .offset:         4
        .size:           4
        .value_kind:     by_value
      - .offset:         8
        .size:           8
        .value_kind:     by_value
      - .offset:         16
        .size:           4
        .value_kind:     by_value
      - .actual_access:  read_only
        .address_space:  global
        .offset:         24
        .size:           8
        .value_kind:     global_buffer
      - .actual_access:  read_only
        .address_space:  global
        .offset:         32
        .size:           8
        .value_kind:     global_buffer
      - .actual_access:  read_only
        .address_space:  global
        .offset:         40
        .size:           8
        .value_kind:     global_buffer
      - .actual_access:  read_only
        .address_space:  global
        .offset:         48
        .size:           8
        .value_kind:     global_buffer
      - .actual_access:  read_only
        .address_space:  global
        .offset:         56
        .size:           8
        .value_kind:     global_buffer
      - .actual_access:  read_only
        .address_space:  global
        .offset:         64
        .size:           8
        .value_kind:     global_buffer
      - .offset:         72
        .size:           8
        .value_kind:     by_value
      - .address_space:  global
        .offset:         80
        .size:           8
        .value_kind:     global_buffer
      - .offset:         88
        .size:           4
        .value_kind:     by_value
      - .offset:         92
        .size:           1
        .value_kind:     by_value
    .group_segment_fixed_size: 0
    .kernarg_segment_align: 8
    .kernarg_segment_size: 96
    .language:       OpenCL C
    .language_version:
      - 2
      - 0
    .max_flat_workgroup_size: 128
    .name:           _ZN9rocsparseL18bsrxmvn_4x4_kernelILj128ELj4EiliaaiEEvT3_20rocsparse_direction_NS_24const_host_device_scalarIT1_EES1_PKS1_PKT2_SA_S7_PKT4_PKT5_S5_PT6_21rocsparse_index_base_b
    .private_segment_fixed_size: 0
    .sgpr_count:     18
    .sgpr_spill_count: 0
    .symbol:         _ZN9rocsparseL18bsrxmvn_4x4_kernelILj128ELj4EiliaaiEEvT3_20rocsparse_direction_NS_24const_host_device_scalarIT1_EES1_PKS1_PKT2_SA_S7_PKT4_PKT5_S5_PT6_21rocsparse_index_base_b.kd
    .uniform_work_group_size: 1
    .uses_dynamic_stack: false
    .vgpr_count:     64
    .vgpr_spill_count: 0
    .wavefront_size: 32
  - .args:
      - .offset:         0
        .size:           4
        .value_kind:     by_value
      - .offset:         4
        .size:           4
        .value_kind:     by_value
      - .offset:         8
        .size:           8
        .value_kind:     by_value
      - .offset:         16
        .size:           4
        .value_kind:     by_value
      - .actual_access:  read_only
        .address_space:  global
        .offset:         24
        .size:           8
        .value_kind:     global_buffer
      - .actual_access:  read_only
        .address_space:  global
        .offset:         32
        .size:           8
        .value_kind:     global_buffer
      - .actual_access:  read_only
        .address_space:  global
        .offset:         40
        .size:           8
        .value_kind:     global_buffer
      - .actual_access:  read_only
        .address_space:  global
        .offset:         48
        .size:           8
        .value_kind:     global_buffer
      - .actual_access:  read_only
        .address_space:  global
        .offset:         56
        .size:           8
        .value_kind:     global_buffer
      - .actual_access:  read_only
        .address_space:  global
        .offset:         64
        .size:           8
        .value_kind:     global_buffer
      - .offset:         72
        .size:           8
        .value_kind:     by_value
      - .address_space:  global
        .offset:         80
        .size:           8
        .value_kind:     global_buffer
      - .offset:         88
        .size:           4
        .value_kind:     by_value
      - .offset:         92
        .size:           1
        .value_kind:     by_value
    .group_segment_fixed_size: 0
    .kernarg_segment_align: 8
    .kernarg_segment_size: 96
    .language:       OpenCL C
    .language_version:
      - 2
      - 0
    .max_flat_workgroup_size: 128
    .name:           _ZN9rocsparseL18bsrxmvn_4x4_kernelILj128ELj8EiliaaiEEvT3_20rocsparse_direction_NS_24const_host_device_scalarIT1_EES1_PKS1_PKT2_SA_S7_PKT4_PKT5_S5_PT6_21rocsparse_index_base_b
    .private_segment_fixed_size: 0
    .sgpr_count:     18
    .sgpr_spill_count: 0
    .symbol:         _ZN9rocsparseL18bsrxmvn_4x4_kernelILj128ELj8EiliaaiEEvT3_20rocsparse_direction_NS_24const_host_device_scalarIT1_EES1_PKS1_PKT2_SA_S7_PKT4_PKT5_S5_PT6_21rocsparse_index_base_b.kd
    .uniform_work_group_size: 1
    .uses_dynamic_stack: false
    .vgpr_count:     66
    .vgpr_spill_count: 0
    .wavefront_size: 32
  - .args:
      - .offset:         0
        .size:           4
        .value_kind:     by_value
      - .offset:         4
        .size:           4
        .value_kind:     by_value
      - .offset:         8
        .size:           8
        .value_kind:     by_value
      - .offset:         16
        .size:           4
        .value_kind:     by_value
      - .actual_access:  read_only
        .address_space:  global
        .offset:         24
        .size:           8
        .value_kind:     global_buffer
      - .actual_access:  read_only
        .address_space:  global
        .offset:         32
        .size:           8
        .value_kind:     global_buffer
      - .actual_access:  read_only
        .address_space:  global
        .offset:         40
        .size:           8
        .value_kind:     global_buffer
      - .actual_access:  read_only
        .address_space:  global
        .offset:         48
        .size:           8
        .value_kind:     global_buffer
      - .actual_access:  read_only
        .address_space:  global
        .offset:         56
        .size:           8
        .value_kind:     global_buffer
      - .actual_access:  read_only
        .address_space:  global
        .offset:         64
        .size:           8
        .value_kind:     global_buffer
      - .offset:         72
        .size:           8
        .value_kind:     by_value
      - .address_space:  global
        .offset:         80
        .size:           8
        .value_kind:     global_buffer
      - .offset:         88
        .size:           4
        .value_kind:     by_value
      - .offset:         92
        .size:           1
        .value_kind:     by_value
    .group_segment_fixed_size: 0
    .kernarg_segment_align: 8
    .kernarg_segment_size: 96
    .language:       OpenCL C
    .language_version:
      - 2
      - 0
    .max_flat_workgroup_size: 128
    .name:           _ZN9rocsparseL18bsrxmvn_4x4_kernelILj128ELj16EiliaaiEEvT3_20rocsparse_direction_NS_24const_host_device_scalarIT1_EES1_PKS1_PKT2_SA_S7_PKT4_PKT5_S5_PT6_21rocsparse_index_base_b
    .private_segment_fixed_size: 0
    .sgpr_count:     18
    .sgpr_spill_count: 0
    .symbol:         _ZN9rocsparseL18bsrxmvn_4x4_kernelILj128ELj16EiliaaiEEvT3_20rocsparse_direction_NS_24const_host_device_scalarIT1_EES1_PKS1_PKT2_SA_S7_PKT4_PKT5_S5_PT6_21rocsparse_index_base_b.kd
    .uniform_work_group_size: 1
    .uses_dynamic_stack: false
    .vgpr_count:     58
    .vgpr_spill_count: 0
    .wavefront_size: 32
  - .args:
      - .offset:         0
        .size:           4
        .value_kind:     by_value
      - .offset:         4
        .size:           4
        .value_kind:     by_value
      - .offset:         8
        .size:           8
        .value_kind:     by_value
      - .offset:         16
        .size:           4
        .value_kind:     by_value
      - .actual_access:  read_only
        .address_space:  global
        .offset:         24
        .size:           8
        .value_kind:     global_buffer
      - .actual_access:  read_only
        .address_space:  global
        .offset:         32
        .size:           8
        .value_kind:     global_buffer
      - .actual_access:  read_only
        .address_space:  global
        .offset:         40
        .size:           8
        .value_kind:     global_buffer
      - .actual_access:  read_only
        .address_space:  global
        .offset:         48
        .size:           8
        .value_kind:     global_buffer
      - .actual_access:  read_only
        .address_space:  global
        .offset:         56
        .size:           8
        .value_kind:     global_buffer
      - .actual_access:  read_only
        .address_space:  global
        .offset:         64
        .size:           8
        .value_kind:     global_buffer
      - .offset:         72
        .size:           8
        .value_kind:     by_value
      - .address_space:  global
        .offset:         80
        .size:           8
        .value_kind:     global_buffer
      - .offset:         88
        .size:           4
        .value_kind:     by_value
      - .offset:         92
        .size:           1
        .value_kind:     by_value
    .group_segment_fixed_size: 0
    .kernarg_segment_align: 8
    .kernarg_segment_size: 96
    .language:       OpenCL C
    .language_version:
      - 2
      - 0
    .max_flat_workgroup_size: 128
    .name:           _ZN9rocsparseL18bsrxmvn_4x4_kernelILj128ELj32EiliaaiEEvT3_20rocsparse_direction_NS_24const_host_device_scalarIT1_EES1_PKS1_PKT2_SA_S7_PKT4_PKT5_S5_PT6_21rocsparse_index_base_b
    .private_segment_fixed_size: 0
    .sgpr_count:     18
    .sgpr_spill_count: 0
    .symbol:         _ZN9rocsparseL18bsrxmvn_4x4_kernelILj128ELj32EiliaaiEEvT3_20rocsparse_direction_NS_24const_host_device_scalarIT1_EES1_PKS1_PKT2_SA_S7_PKT4_PKT5_S5_PT6_21rocsparse_index_base_b.kd
    .uniform_work_group_size: 1
    .uses_dynamic_stack: false
    .vgpr_count:     71
    .vgpr_spill_count: 0
    .wavefront_size: 32
  - .args:
      - .offset:         0
        .size:           4
        .value_kind:     by_value
      - .offset:         4
        .size:           4
        .value_kind:     by_value
      - .offset:         8
        .size:           8
        .value_kind:     by_value
      - .offset:         16
        .size:           4
        .value_kind:     by_value
      - .actual_access:  read_only
        .address_space:  global
        .offset:         24
        .size:           8
        .value_kind:     global_buffer
      - .actual_access:  read_only
        .address_space:  global
        .offset:         32
        .size:           8
        .value_kind:     global_buffer
      - .actual_access:  read_only
        .address_space:  global
        .offset:         40
        .size:           8
        .value_kind:     global_buffer
      - .actual_access:  read_only
        .address_space:  global
        .offset:         48
        .size:           8
        .value_kind:     global_buffer
      - .actual_access:  read_only
        .address_space:  global
        .offset:         56
        .size:           8
        .value_kind:     global_buffer
      - .actual_access:  read_only
        .address_space:  global
        .offset:         64
        .size:           8
        .value_kind:     global_buffer
      - .offset:         72
        .size:           8
        .value_kind:     by_value
      - .address_space:  global
        .offset:         80
        .size:           8
        .value_kind:     global_buffer
      - .offset:         88
        .size:           4
        .value_kind:     by_value
      - .offset:         92
        .size:           1
        .value_kind:     by_value
    .group_segment_fixed_size: 0
    .kernarg_segment_align: 8
    .kernarg_segment_size: 96
    .language:       OpenCL C
    .language_version:
      - 2
      - 0
    .max_flat_workgroup_size: 128
    .name:           _ZN9rocsparseL18bsrxmvn_4x4_kernelILj128ELj64EiliaaiEEvT3_20rocsparse_direction_NS_24const_host_device_scalarIT1_EES1_PKS1_PKT2_SA_S7_PKT4_PKT5_S5_PT6_21rocsparse_index_base_b
    .private_segment_fixed_size: 0
    .sgpr_count:     18
    .sgpr_spill_count: 0
    .symbol:         _ZN9rocsparseL18bsrxmvn_4x4_kernelILj128ELj64EiliaaiEEvT3_20rocsparse_direction_NS_24const_host_device_scalarIT1_EES1_PKS1_PKT2_SA_S7_PKT4_PKT5_S5_PT6_21rocsparse_index_base_b.kd
    .uniform_work_group_size: 1
    .uses_dynamic_stack: false
    .vgpr_count:     64
    .vgpr_spill_count: 0
    .wavefront_size: 32
  - .args:
      - .offset:         0
        .size:           8
        .value_kind:     by_value
      - .offset:         8
        .size:           4
        .value_kind:     by_value
      - .offset:         16
        .size:           8
        .value_kind:     by_value
      - .offset:         24
        .size:           8
        .value_kind:     by_value
      - .actual_access:  read_only
        .address_space:  global
        .offset:         32
        .size:           8
        .value_kind:     global_buffer
      - .actual_access:  read_only
        .address_space:  global
        .offset:         40
        .size:           8
        .value_kind:     global_buffer
      - .actual_access:  read_only
        .address_space:  global
        .offset:         48
        .size:           8
        .value_kind:     global_buffer
      - .actual_access:  read_only
        .address_space:  global
        .offset:         56
        .size:           8
        .value_kind:     global_buffer
      - .actual_access:  read_only
        .address_space:  global
        .offset:         64
        .size:           8
        .value_kind:     global_buffer
      - .actual_access:  read_only
        .address_space:  global
        .offset:         72
        .size:           8
        .value_kind:     global_buffer
      - .offset:         80
        .size:           8
        .value_kind:     by_value
      - .address_space:  global
        .offset:         88
        .size:           8
        .value_kind:     global_buffer
      - .offset:         96
        .size:           4
        .value_kind:     by_value
      - .offset:         100
        .size:           1
        .value_kind:     by_value
    .group_segment_fixed_size: 0
    .kernarg_segment_align: 8
    .kernarg_segment_size: 104
    .language:       OpenCL C
    .language_version:
      - 2
      - 0
    .max_flat_workgroup_size: 128
    .name:           _ZN9rocsparseL18bsrxmvn_4x4_kernelILj128ELj4EillaaiEEvT3_20rocsparse_direction_NS_24const_host_device_scalarIT1_EES1_PKS1_PKT2_SA_S7_PKT4_PKT5_S5_PT6_21rocsparse_index_base_b
    .private_segment_fixed_size: 0
    .sgpr_count:     16
    .sgpr_spill_count: 0
    .symbol:         _ZN9rocsparseL18bsrxmvn_4x4_kernelILj128ELj4EillaaiEEvT3_20rocsparse_direction_NS_24const_host_device_scalarIT1_EES1_PKS1_PKT2_SA_S7_PKT4_PKT5_S5_PT6_21rocsparse_index_base_b.kd
    .uniform_work_group_size: 1
    .uses_dynamic_stack: false
    .vgpr_count:     65
    .vgpr_spill_count: 0
    .wavefront_size: 32
  - .args:
      - .offset:         0
        .size:           8
        .value_kind:     by_value
      - .offset:         8
        .size:           4
        .value_kind:     by_value
      - .offset:         16
        .size:           8
        .value_kind:     by_value
      - .offset:         24
        .size:           8
        .value_kind:     by_value
      - .actual_access:  read_only
        .address_space:  global
        .offset:         32
        .size:           8
        .value_kind:     global_buffer
      - .actual_access:  read_only
        .address_space:  global
        .offset:         40
        .size:           8
        .value_kind:     global_buffer
      - .actual_access:  read_only
        .address_space:  global
        .offset:         48
        .size:           8
        .value_kind:     global_buffer
      - .actual_access:  read_only
        .address_space:  global
        .offset:         56
        .size:           8
        .value_kind:     global_buffer
      - .actual_access:  read_only
        .address_space:  global
        .offset:         64
        .size:           8
        .value_kind:     global_buffer
      - .actual_access:  read_only
        .address_space:  global
        .offset:         72
        .size:           8
        .value_kind:     global_buffer
      - .offset:         80
        .size:           8
        .value_kind:     by_value
      - .address_space:  global
        .offset:         88
        .size:           8
        .value_kind:     global_buffer
      - .offset:         96
        .size:           4
        .value_kind:     by_value
      - .offset:         100
        .size:           1
        .value_kind:     by_value
    .group_segment_fixed_size: 0
    .kernarg_segment_align: 8
    .kernarg_segment_size: 104
    .language:       OpenCL C
    .language_version:
      - 2
      - 0
    .max_flat_workgroup_size: 128
    .name:           _ZN9rocsparseL18bsrxmvn_4x4_kernelILj128ELj8EillaaiEEvT3_20rocsparse_direction_NS_24const_host_device_scalarIT1_EES1_PKS1_PKT2_SA_S7_PKT4_PKT5_S5_PT6_21rocsparse_index_base_b
    .private_segment_fixed_size: 0
    .sgpr_count:     16
    .sgpr_spill_count: 0
    .symbol:         _ZN9rocsparseL18bsrxmvn_4x4_kernelILj128ELj8EillaaiEEvT3_20rocsparse_direction_NS_24const_host_device_scalarIT1_EES1_PKS1_PKT2_SA_S7_PKT4_PKT5_S5_PT6_21rocsparse_index_base_b.kd
    .uniform_work_group_size: 1
    .uses_dynamic_stack: false
    .vgpr_count:     67
    .vgpr_spill_count: 0
    .wavefront_size: 32
  - .args:
      - .offset:         0
        .size:           8
        .value_kind:     by_value
      - .offset:         8
        .size:           4
        .value_kind:     by_value
      - .offset:         16
        .size:           8
        .value_kind:     by_value
      - .offset:         24
        .size:           8
        .value_kind:     by_value
      - .actual_access:  read_only
        .address_space:  global
        .offset:         32
        .size:           8
        .value_kind:     global_buffer
      - .actual_access:  read_only
        .address_space:  global
        .offset:         40
        .size:           8
        .value_kind:     global_buffer
      - .actual_access:  read_only
        .address_space:  global
        .offset:         48
        .size:           8
        .value_kind:     global_buffer
      - .actual_access:  read_only
        .address_space:  global
        .offset:         56
        .size:           8
        .value_kind:     global_buffer
      - .actual_access:  read_only
        .address_space:  global
        .offset:         64
        .size:           8
        .value_kind:     global_buffer
      - .actual_access:  read_only
        .address_space:  global
        .offset:         72
        .size:           8
        .value_kind:     global_buffer
      - .offset:         80
        .size:           8
        .value_kind:     by_value
      - .address_space:  global
        .offset:         88
        .size:           8
        .value_kind:     global_buffer
      - .offset:         96
        .size:           4
        .value_kind:     by_value
      - .offset:         100
        .size:           1
        .value_kind:     by_value
    .group_segment_fixed_size: 0
    .kernarg_segment_align: 8
    .kernarg_segment_size: 104
    .language:       OpenCL C
    .language_version:
      - 2
      - 0
    .max_flat_workgroup_size: 128
    .name:           _ZN9rocsparseL18bsrxmvn_4x4_kernelILj128ELj16EillaaiEEvT3_20rocsparse_direction_NS_24const_host_device_scalarIT1_EES1_PKS1_PKT2_SA_S7_PKT4_PKT5_S5_PT6_21rocsparse_index_base_b
    .private_segment_fixed_size: 0
    .sgpr_count:     16
    .sgpr_spill_count: 0
    .symbol:         _ZN9rocsparseL18bsrxmvn_4x4_kernelILj128ELj16EillaaiEEvT3_20rocsparse_direction_NS_24const_host_device_scalarIT1_EES1_PKS1_PKT2_SA_S7_PKT4_PKT5_S5_PT6_21rocsparse_index_base_b.kd
    .uniform_work_group_size: 1
    .uses_dynamic_stack: false
    .vgpr_count:     61
    .vgpr_spill_count: 0
    .wavefront_size: 32
  - .args:
      - .offset:         0
        .size:           8
        .value_kind:     by_value
      - .offset:         8
        .size:           4
        .value_kind:     by_value
      - .offset:         16
        .size:           8
        .value_kind:     by_value
      - .offset:         24
        .size:           8
        .value_kind:     by_value
      - .actual_access:  read_only
        .address_space:  global
        .offset:         32
        .size:           8
        .value_kind:     global_buffer
      - .actual_access:  read_only
        .address_space:  global
        .offset:         40
        .size:           8
        .value_kind:     global_buffer
      - .actual_access:  read_only
        .address_space:  global
        .offset:         48
        .size:           8
        .value_kind:     global_buffer
      - .actual_access:  read_only
        .address_space:  global
        .offset:         56
        .size:           8
        .value_kind:     global_buffer
      - .actual_access:  read_only
        .address_space:  global
        .offset:         64
        .size:           8
        .value_kind:     global_buffer
      - .actual_access:  read_only
        .address_space:  global
        .offset:         72
        .size:           8
        .value_kind:     global_buffer
      - .offset:         80
        .size:           8
        .value_kind:     by_value
      - .address_space:  global
        .offset:         88
        .size:           8
        .value_kind:     global_buffer
      - .offset:         96
        .size:           4
        .value_kind:     by_value
      - .offset:         100
        .size:           1
        .value_kind:     by_value
    .group_segment_fixed_size: 0
    .kernarg_segment_align: 8
    .kernarg_segment_size: 104
    .language:       OpenCL C
    .language_version:
      - 2
      - 0
    .max_flat_workgroup_size: 128
    .name:           _ZN9rocsparseL18bsrxmvn_4x4_kernelILj128ELj32EillaaiEEvT3_20rocsparse_direction_NS_24const_host_device_scalarIT1_EES1_PKS1_PKT2_SA_S7_PKT4_PKT5_S5_PT6_21rocsparse_index_base_b
    .private_segment_fixed_size: 0
    .sgpr_count:     16
    .sgpr_spill_count: 0
    .symbol:         _ZN9rocsparseL18bsrxmvn_4x4_kernelILj128ELj32EillaaiEEvT3_20rocsparse_direction_NS_24const_host_device_scalarIT1_EES1_PKS1_PKT2_SA_S7_PKT4_PKT5_S5_PT6_21rocsparse_index_base_b.kd
    .uniform_work_group_size: 1
    .uses_dynamic_stack: false
    .vgpr_count:     74
    .vgpr_spill_count: 0
    .wavefront_size: 32
  - .args:
      - .offset:         0
        .size:           8
        .value_kind:     by_value
      - .offset:         8
        .size:           4
        .value_kind:     by_value
      - .offset:         16
        .size:           8
        .value_kind:     by_value
      - .offset:         24
        .size:           8
        .value_kind:     by_value
      - .actual_access:  read_only
        .address_space:  global
        .offset:         32
        .size:           8
        .value_kind:     global_buffer
      - .actual_access:  read_only
        .address_space:  global
        .offset:         40
        .size:           8
        .value_kind:     global_buffer
      - .actual_access:  read_only
        .address_space:  global
        .offset:         48
        .size:           8
        .value_kind:     global_buffer
      - .actual_access:  read_only
        .address_space:  global
        .offset:         56
        .size:           8
        .value_kind:     global_buffer
      - .actual_access:  read_only
        .address_space:  global
        .offset:         64
        .size:           8
        .value_kind:     global_buffer
      - .actual_access:  read_only
        .address_space:  global
        .offset:         72
        .size:           8
        .value_kind:     global_buffer
      - .offset:         80
        .size:           8
        .value_kind:     by_value
      - .address_space:  global
        .offset:         88
        .size:           8
        .value_kind:     global_buffer
      - .offset:         96
        .size:           4
        .value_kind:     by_value
      - .offset:         100
        .size:           1
        .value_kind:     by_value
    .group_segment_fixed_size: 0
    .kernarg_segment_align: 8
    .kernarg_segment_size: 104
    .language:       OpenCL C
    .language_version:
      - 2
      - 0
    .max_flat_workgroup_size: 128
    .name:           _ZN9rocsparseL18bsrxmvn_4x4_kernelILj128ELj64EillaaiEEvT3_20rocsparse_direction_NS_24const_host_device_scalarIT1_EES1_PKS1_PKT2_SA_S7_PKT4_PKT5_S5_PT6_21rocsparse_index_base_b
    .private_segment_fixed_size: 0
    .sgpr_count:     16
    .sgpr_spill_count: 0
    .symbol:         _ZN9rocsparseL18bsrxmvn_4x4_kernelILj128ELj64EillaaiEEvT3_20rocsparse_direction_NS_24const_host_device_scalarIT1_EES1_PKS1_PKT2_SA_S7_PKT4_PKT5_S5_PT6_21rocsparse_index_base_b.kd
    .uniform_work_group_size: 1
    .uses_dynamic_stack: false
    .vgpr_count:     65
    .vgpr_spill_count: 0
    .wavefront_size: 32
  - .args:
      - .offset:         0
        .size:           4
        .value_kind:     by_value
      - .offset:         4
        .size:           4
        .value_kind:     by_value
      - .offset:         8
        .size:           8
        .value_kind:     by_value
      - .offset:         16
        .size:           4
        .value_kind:     by_value
      - .actual_access:  read_only
        .address_space:  global
        .offset:         24
        .size:           8
        .value_kind:     global_buffer
      - .actual_access:  read_only
        .address_space:  global
        .offset:         32
        .size:           8
        .value_kind:     global_buffer
      - .actual_access:  read_only
        .address_space:  global
        .offset:         40
        .size:           8
        .value_kind:     global_buffer
      - .actual_access:  read_only
        .address_space:  global
        .offset:         48
        .size:           8
        .value_kind:     global_buffer
      - .actual_access:  read_only
        .address_space:  global
        .offset:         56
        .size:           8
        .value_kind:     global_buffer
      - .actual_access:  read_only
        .address_space:  global
        .offset:         64
        .size:           8
        .value_kind:     global_buffer
      - .offset:         72
        .size:           8
        .value_kind:     by_value
      - .address_space:  global
        .offset:         80
        .size:           8
        .value_kind:     global_buffer
      - .offset:         88
        .size:           4
        .value_kind:     by_value
      - .offset:         92
        .size:           1
        .value_kind:     by_value
    .group_segment_fixed_size: 0
    .kernarg_segment_align: 8
    .kernarg_segment_size: 96
    .language:       OpenCL C
    .language_version:
      - 2
      - 0
    .max_flat_workgroup_size: 128
    .name:           _ZN9rocsparseL18bsrxmvn_4x4_kernelILj128ELj4EfiiaafEEvT3_20rocsparse_direction_NS_24const_host_device_scalarIT1_EES1_PKS1_PKT2_SA_S7_PKT4_PKT5_S5_PT6_21rocsparse_index_base_b
    .private_segment_fixed_size: 0
    .sgpr_count:     20
    .sgpr_spill_count: 0
    .symbol:         _ZN9rocsparseL18bsrxmvn_4x4_kernelILj128ELj4EfiiaafEEvT3_20rocsparse_direction_NS_24const_host_device_scalarIT1_EES1_PKS1_PKT2_SA_S7_PKT4_PKT5_S5_PT6_21rocsparse_index_base_b.kd
    .uniform_work_group_size: 1
    .uses_dynamic_stack: false
    .vgpr_count:     93
    .vgpr_spill_count: 0
    .wavefront_size: 32
  - .args:
      - .offset:         0
        .size:           4
        .value_kind:     by_value
      - .offset:         4
        .size:           4
        .value_kind:     by_value
      - .offset:         8
        .size:           8
        .value_kind:     by_value
      - .offset:         16
        .size:           4
        .value_kind:     by_value
      - .actual_access:  read_only
        .address_space:  global
        .offset:         24
        .size:           8
        .value_kind:     global_buffer
      - .actual_access:  read_only
        .address_space:  global
        .offset:         32
        .size:           8
        .value_kind:     global_buffer
      - .actual_access:  read_only
        .address_space:  global
        .offset:         40
        .size:           8
        .value_kind:     global_buffer
      - .actual_access:  read_only
        .address_space:  global
        .offset:         48
        .size:           8
        .value_kind:     global_buffer
      - .actual_access:  read_only
        .address_space:  global
        .offset:         56
        .size:           8
        .value_kind:     global_buffer
      - .actual_access:  read_only
        .address_space:  global
        .offset:         64
        .size:           8
        .value_kind:     global_buffer
      - .offset:         72
        .size:           8
        .value_kind:     by_value
      - .address_space:  global
        .offset:         80
        .size:           8
        .value_kind:     global_buffer
      - .offset:         88
        .size:           4
        .value_kind:     by_value
      - .offset:         92
        .size:           1
        .value_kind:     by_value
    .group_segment_fixed_size: 0
    .kernarg_segment_align: 8
    .kernarg_segment_size: 96
    .language:       OpenCL C
    .language_version:
      - 2
      - 0
    .max_flat_workgroup_size: 128
    .name:           _ZN9rocsparseL18bsrxmvn_4x4_kernelILj128ELj8EfiiaafEEvT3_20rocsparse_direction_NS_24const_host_device_scalarIT1_EES1_PKS1_PKT2_SA_S7_PKT4_PKT5_S5_PT6_21rocsparse_index_base_b
    .private_segment_fixed_size: 0
    .sgpr_count:     20
    .sgpr_spill_count: 0
    .symbol:         _ZN9rocsparseL18bsrxmvn_4x4_kernelILj128ELj8EfiiaafEEvT3_20rocsparse_direction_NS_24const_host_device_scalarIT1_EES1_PKS1_PKT2_SA_S7_PKT4_PKT5_S5_PT6_21rocsparse_index_base_b.kd
    .uniform_work_group_size: 1
    .uses_dynamic_stack: false
    .vgpr_count:     93
    .vgpr_spill_count: 0
    .wavefront_size: 32
  - .args:
      - .offset:         0
        .size:           4
        .value_kind:     by_value
      - .offset:         4
        .size:           4
        .value_kind:     by_value
      - .offset:         8
        .size:           8
        .value_kind:     by_value
      - .offset:         16
        .size:           4
        .value_kind:     by_value
      - .actual_access:  read_only
        .address_space:  global
        .offset:         24
        .size:           8
        .value_kind:     global_buffer
      - .actual_access:  read_only
        .address_space:  global
        .offset:         32
        .size:           8
        .value_kind:     global_buffer
      - .actual_access:  read_only
        .address_space:  global
        .offset:         40
        .size:           8
        .value_kind:     global_buffer
      - .actual_access:  read_only
        .address_space:  global
        .offset:         48
        .size:           8
        .value_kind:     global_buffer
      - .actual_access:  read_only
        .address_space:  global
        .offset:         56
        .size:           8
        .value_kind:     global_buffer
      - .actual_access:  read_only
        .address_space:  global
        .offset:         64
        .size:           8
        .value_kind:     global_buffer
      - .offset:         72
        .size:           8
        .value_kind:     by_value
      - .address_space:  global
        .offset:         80
        .size:           8
        .value_kind:     global_buffer
      - .offset:         88
        .size:           4
        .value_kind:     by_value
      - .offset:         92
        .size:           1
        .value_kind:     by_value
    .group_segment_fixed_size: 0
    .kernarg_segment_align: 8
    .kernarg_segment_size: 96
    .language:       OpenCL C
    .language_version:
      - 2
      - 0
    .max_flat_workgroup_size: 128
    .name:           _ZN9rocsparseL18bsrxmvn_4x4_kernelILj128ELj16EfiiaafEEvT3_20rocsparse_direction_NS_24const_host_device_scalarIT1_EES1_PKS1_PKT2_SA_S7_PKT4_PKT5_S5_PT6_21rocsparse_index_base_b
    .private_segment_fixed_size: 0
    .sgpr_count:     20
    .sgpr_spill_count: 0
    .symbol:         _ZN9rocsparseL18bsrxmvn_4x4_kernelILj128ELj16EfiiaafEEvT3_20rocsparse_direction_NS_24const_host_device_scalarIT1_EES1_PKS1_PKT2_SA_S7_PKT4_PKT5_S5_PT6_21rocsparse_index_base_b.kd
    .uniform_work_group_size: 1
    .uses_dynamic_stack: false
    .vgpr_count:     93
    .vgpr_spill_count: 0
    .wavefront_size: 32
  - .args:
      - .offset:         0
        .size:           4
        .value_kind:     by_value
      - .offset:         4
        .size:           4
        .value_kind:     by_value
      - .offset:         8
        .size:           8
        .value_kind:     by_value
      - .offset:         16
        .size:           4
        .value_kind:     by_value
      - .actual_access:  read_only
        .address_space:  global
        .offset:         24
        .size:           8
        .value_kind:     global_buffer
      - .actual_access:  read_only
        .address_space:  global
        .offset:         32
        .size:           8
        .value_kind:     global_buffer
      - .actual_access:  read_only
        .address_space:  global
        .offset:         40
        .size:           8
        .value_kind:     global_buffer
      - .actual_access:  read_only
        .address_space:  global
        .offset:         48
        .size:           8
        .value_kind:     global_buffer
      - .actual_access:  read_only
        .address_space:  global
        .offset:         56
        .size:           8
        .value_kind:     global_buffer
      - .actual_access:  read_only
        .address_space:  global
        .offset:         64
        .size:           8
        .value_kind:     global_buffer
      - .offset:         72
        .size:           8
        .value_kind:     by_value
      - .address_space:  global
        .offset:         80
        .size:           8
        .value_kind:     global_buffer
      - .offset:         88
        .size:           4
        .value_kind:     by_value
      - .offset:         92
        .size:           1
        .value_kind:     by_value
    .group_segment_fixed_size: 0
    .kernarg_segment_align: 8
    .kernarg_segment_size: 96
    .language:       OpenCL C
    .language_version:
      - 2
      - 0
    .max_flat_workgroup_size: 128
    .name:           _ZN9rocsparseL18bsrxmvn_4x4_kernelILj128ELj32EfiiaafEEvT3_20rocsparse_direction_NS_24const_host_device_scalarIT1_EES1_PKS1_PKT2_SA_S7_PKT4_PKT5_S5_PT6_21rocsparse_index_base_b
    .private_segment_fixed_size: 0
    .sgpr_count:     20
    .sgpr_spill_count: 0
    .symbol:         _ZN9rocsparseL18bsrxmvn_4x4_kernelILj128ELj32EfiiaafEEvT3_20rocsparse_direction_NS_24const_host_device_scalarIT1_EES1_PKS1_PKT2_SA_S7_PKT4_PKT5_S5_PT6_21rocsparse_index_base_b.kd
    .uniform_work_group_size: 1
    .uses_dynamic_stack: false
    .vgpr_count:     90
    .vgpr_spill_count: 0
    .wavefront_size: 32
  - .args:
      - .offset:         0
        .size:           4
        .value_kind:     by_value
      - .offset:         4
        .size:           4
        .value_kind:     by_value
      - .offset:         8
        .size:           8
        .value_kind:     by_value
      - .offset:         16
        .size:           4
        .value_kind:     by_value
      - .actual_access:  read_only
        .address_space:  global
        .offset:         24
        .size:           8
        .value_kind:     global_buffer
      - .actual_access:  read_only
        .address_space:  global
        .offset:         32
        .size:           8
        .value_kind:     global_buffer
      - .actual_access:  read_only
        .address_space:  global
        .offset:         40
        .size:           8
        .value_kind:     global_buffer
      - .actual_access:  read_only
        .address_space:  global
        .offset:         48
        .size:           8
        .value_kind:     global_buffer
      - .actual_access:  read_only
        .address_space:  global
        .offset:         56
        .size:           8
        .value_kind:     global_buffer
      - .actual_access:  read_only
        .address_space:  global
        .offset:         64
        .size:           8
        .value_kind:     global_buffer
      - .offset:         72
        .size:           8
        .value_kind:     by_value
      - .address_space:  global
        .offset:         80
        .size:           8
        .value_kind:     global_buffer
      - .offset:         88
        .size:           4
        .value_kind:     by_value
      - .offset:         92
        .size:           1
        .value_kind:     by_value
    .group_segment_fixed_size: 0
    .kernarg_segment_align: 8
    .kernarg_segment_size: 96
    .language:       OpenCL C
    .language_version:
      - 2
      - 0
    .max_flat_workgroup_size: 128
    .name:           _ZN9rocsparseL18bsrxmvn_4x4_kernelILj128ELj64EfiiaafEEvT3_20rocsparse_direction_NS_24const_host_device_scalarIT1_EES1_PKS1_PKT2_SA_S7_PKT4_PKT5_S5_PT6_21rocsparse_index_base_b
    .private_segment_fixed_size: 0
    .sgpr_count:     20
    .sgpr_spill_count: 0
    .symbol:         _ZN9rocsparseL18bsrxmvn_4x4_kernelILj128ELj64EfiiaafEEvT3_20rocsparse_direction_NS_24const_host_device_scalarIT1_EES1_PKS1_PKT2_SA_S7_PKT4_PKT5_S5_PT6_21rocsparse_index_base_b.kd
    .uniform_work_group_size: 1
    .uses_dynamic_stack: false
    .vgpr_count:     97
    .vgpr_spill_count: 0
    .wavefront_size: 32
  - .args:
      - .offset:         0
        .size:           4
        .value_kind:     by_value
      - .offset:         4
        .size:           4
        .value_kind:     by_value
      - .offset:         8
        .size:           8
        .value_kind:     by_value
      - .offset:         16
        .size:           4
        .value_kind:     by_value
      - .actual_access:  read_only
        .address_space:  global
        .offset:         24
        .size:           8
        .value_kind:     global_buffer
      - .actual_access:  read_only
        .address_space:  global
        .offset:         32
        .size:           8
        .value_kind:     global_buffer
      - .actual_access:  read_only
        .address_space:  global
        .offset:         40
        .size:           8
        .value_kind:     global_buffer
      - .actual_access:  read_only
        .address_space:  global
        .offset:         48
        .size:           8
        .value_kind:     global_buffer
      - .actual_access:  read_only
        .address_space:  global
        .offset:         56
        .size:           8
        .value_kind:     global_buffer
      - .actual_access:  read_only
        .address_space:  global
        .offset:         64
        .size:           8
        .value_kind:     global_buffer
      - .offset:         72
        .size:           8
        .value_kind:     by_value
      - .address_space:  global
        .offset:         80
        .size:           8
        .value_kind:     global_buffer
      - .offset:         88
        .size:           4
        .value_kind:     by_value
      - .offset:         92
        .size:           1
        .value_kind:     by_value
    .group_segment_fixed_size: 0
    .kernarg_segment_align: 8
    .kernarg_segment_size: 96
    .language:       OpenCL C
    .language_version:
      - 2
      - 0
    .max_flat_workgroup_size: 128
    .name:           _ZN9rocsparseL18bsrxmvn_4x4_kernelILj128ELj4EfliaafEEvT3_20rocsparse_direction_NS_24const_host_device_scalarIT1_EES1_PKS1_PKT2_SA_S7_PKT4_PKT5_S5_PT6_21rocsparse_index_base_b
    .private_segment_fixed_size: 0
    .sgpr_count:     20
    .sgpr_spill_count: 0
    .symbol:         _ZN9rocsparseL18bsrxmvn_4x4_kernelILj128ELj4EfliaafEEvT3_20rocsparse_direction_NS_24const_host_device_scalarIT1_EES1_PKS1_PKT2_SA_S7_PKT4_PKT5_S5_PT6_21rocsparse_index_base_b.kd
    .uniform_work_group_size: 1
    .uses_dynamic_stack: false
    .vgpr_count:     86
    .vgpr_spill_count: 0
    .wavefront_size: 32
  - .args:
      - .offset:         0
        .size:           4
        .value_kind:     by_value
      - .offset:         4
        .size:           4
        .value_kind:     by_value
      - .offset:         8
        .size:           8
        .value_kind:     by_value
      - .offset:         16
        .size:           4
        .value_kind:     by_value
      - .actual_access:  read_only
        .address_space:  global
        .offset:         24
        .size:           8
        .value_kind:     global_buffer
      - .actual_access:  read_only
        .address_space:  global
        .offset:         32
        .size:           8
        .value_kind:     global_buffer
      - .actual_access:  read_only
        .address_space:  global
        .offset:         40
        .size:           8
        .value_kind:     global_buffer
      - .actual_access:  read_only
        .address_space:  global
        .offset:         48
        .size:           8
        .value_kind:     global_buffer
      - .actual_access:  read_only
        .address_space:  global
        .offset:         56
        .size:           8
        .value_kind:     global_buffer
      - .actual_access:  read_only
        .address_space:  global
        .offset:         64
        .size:           8
        .value_kind:     global_buffer
      - .offset:         72
        .size:           8
        .value_kind:     by_value
      - .address_space:  global
        .offset:         80
        .size:           8
        .value_kind:     global_buffer
      - .offset:         88
        .size:           4
        .value_kind:     by_value
      - .offset:         92
        .size:           1
        .value_kind:     by_value
    .group_segment_fixed_size: 0
    .kernarg_segment_align: 8
    .kernarg_segment_size: 96
    .language:       OpenCL C
    .language_version:
      - 2
      - 0
    .max_flat_workgroup_size: 128
    .name:           _ZN9rocsparseL18bsrxmvn_4x4_kernelILj128ELj8EfliaafEEvT3_20rocsparse_direction_NS_24const_host_device_scalarIT1_EES1_PKS1_PKT2_SA_S7_PKT4_PKT5_S5_PT6_21rocsparse_index_base_b
    .private_segment_fixed_size: 0
    .sgpr_count:     20
    .sgpr_spill_count: 0
    .symbol:         _ZN9rocsparseL18bsrxmvn_4x4_kernelILj128ELj8EfliaafEEvT3_20rocsparse_direction_NS_24const_host_device_scalarIT1_EES1_PKS1_PKT2_SA_S7_PKT4_PKT5_S5_PT6_21rocsparse_index_base_b.kd
    .uniform_work_group_size: 1
    .uses_dynamic_stack: false
    .vgpr_count:     103
    .vgpr_spill_count: 0
    .wavefront_size: 32
  - .args:
      - .offset:         0
        .size:           4
        .value_kind:     by_value
      - .offset:         4
        .size:           4
        .value_kind:     by_value
      - .offset:         8
        .size:           8
        .value_kind:     by_value
      - .offset:         16
        .size:           4
        .value_kind:     by_value
      - .actual_access:  read_only
        .address_space:  global
        .offset:         24
        .size:           8
        .value_kind:     global_buffer
      - .actual_access:  read_only
        .address_space:  global
        .offset:         32
        .size:           8
        .value_kind:     global_buffer
      - .actual_access:  read_only
        .address_space:  global
        .offset:         40
        .size:           8
        .value_kind:     global_buffer
      - .actual_access:  read_only
        .address_space:  global
        .offset:         48
        .size:           8
        .value_kind:     global_buffer
      - .actual_access:  read_only
        .address_space:  global
        .offset:         56
        .size:           8
        .value_kind:     global_buffer
      - .actual_access:  read_only
        .address_space:  global
        .offset:         64
        .size:           8
        .value_kind:     global_buffer
      - .offset:         72
        .size:           8
        .value_kind:     by_value
      - .address_space:  global
        .offset:         80
        .size:           8
        .value_kind:     global_buffer
      - .offset:         88
        .size:           4
        .value_kind:     by_value
      - .offset:         92
        .size:           1
        .value_kind:     by_value
    .group_segment_fixed_size: 0
    .kernarg_segment_align: 8
    .kernarg_segment_size: 96
    .language:       OpenCL C
    .language_version:
      - 2
      - 0
    .max_flat_workgroup_size: 128
    .name:           _ZN9rocsparseL18bsrxmvn_4x4_kernelILj128ELj16EfliaafEEvT3_20rocsparse_direction_NS_24const_host_device_scalarIT1_EES1_PKS1_PKT2_SA_S7_PKT4_PKT5_S5_PT6_21rocsparse_index_base_b
    .private_segment_fixed_size: 0
    .sgpr_count:     20
    .sgpr_spill_count: 0
    .symbol:         _ZN9rocsparseL18bsrxmvn_4x4_kernelILj128ELj16EfliaafEEvT3_20rocsparse_direction_NS_24const_host_device_scalarIT1_EES1_PKS1_PKT2_SA_S7_PKT4_PKT5_S5_PT6_21rocsparse_index_base_b.kd
    .uniform_work_group_size: 1
    .uses_dynamic_stack: false
    .vgpr_count:     106
    .vgpr_spill_count: 0
    .wavefront_size: 32
  - .args:
      - .offset:         0
        .size:           4
        .value_kind:     by_value
      - .offset:         4
        .size:           4
        .value_kind:     by_value
      - .offset:         8
        .size:           8
        .value_kind:     by_value
      - .offset:         16
        .size:           4
        .value_kind:     by_value
      - .actual_access:  read_only
        .address_space:  global
        .offset:         24
        .size:           8
        .value_kind:     global_buffer
      - .actual_access:  read_only
        .address_space:  global
        .offset:         32
        .size:           8
        .value_kind:     global_buffer
      - .actual_access:  read_only
        .address_space:  global
        .offset:         40
        .size:           8
        .value_kind:     global_buffer
      - .actual_access:  read_only
        .address_space:  global
        .offset:         48
        .size:           8
        .value_kind:     global_buffer
      - .actual_access:  read_only
        .address_space:  global
        .offset:         56
        .size:           8
        .value_kind:     global_buffer
      - .actual_access:  read_only
        .address_space:  global
        .offset:         64
        .size:           8
        .value_kind:     global_buffer
      - .offset:         72
        .size:           8
        .value_kind:     by_value
      - .address_space:  global
        .offset:         80
        .size:           8
        .value_kind:     global_buffer
      - .offset:         88
        .size:           4
        .value_kind:     by_value
      - .offset:         92
        .size:           1
        .value_kind:     by_value
    .group_segment_fixed_size: 0
    .kernarg_segment_align: 8
    .kernarg_segment_size: 96
    .language:       OpenCL C
    .language_version:
      - 2
      - 0
    .max_flat_workgroup_size: 128
    .name:           _ZN9rocsparseL18bsrxmvn_4x4_kernelILj128ELj32EfliaafEEvT3_20rocsparse_direction_NS_24const_host_device_scalarIT1_EES1_PKS1_PKT2_SA_S7_PKT4_PKT5_S5_PT6_21rocsparse_index_base_b
    .private_segment_fixed_size: 0
    .sgpr_count:     20
    .sgpr_spill_count: 0
    .symbol:         _ZN9rocsparseL18bsrxmvn_4x4_kernelILj128ELj32EfliaafEEvT3_20rocsparse_direction_NS_24const_host_device_scalarIT1_EES1_PKS1_PKT2_SA_S7_PKT4_PKT5_S5_PT6_21rocsparse_index_base_b.kd
    .uniform_work_group_size: 1
    .uses_dynamic_stack: false
    .vgpr_count:     83
    .vgpr_spill_count: 0
    .wavefront_size: 32
  - .args:
      - .offset:         0
        .size:           4
        .value_kind:     by_value
      - .offset:         4
        .size:           4
        .value_kind:     by_value
      - .offset:         8
        .size:           8
        .value_kind:     by_value
      - .offset:         16
        .size:           4
        .value_kind:     by_value
      - .actual_access:  read_only
        .address_space:  global
        .offset:         24
        .size:           8
        .value_kind:     global_buffer
      - .actual_access:  read_only
        .address_space:  global
        .offset:         32
        .size:           8
        .value_kind:     global_buffer
      - .actual_access:  read_only
        .address_space:  global
        .offset:         40
        .size:           8
        .value_kind:     global_buffer
      - .actual_access:  read_only
        .address_space:  global
        .offset:         48
        .size:           8
        .value_kind:     global_buffer
      - .actual_access:  read_only
        .address_space:  global
        .offset:         56
        .size:           8
        .value_kind:     global_buffer
      - .actual_access:  read_only
        .address_space:  global
        .offset:         64
        .size:           8
        .value_kind:     global_buffer
      - .offset:         72
        .size:           8
        .value_kind:     by_value
      - .address_space:  global
        .offset:         80
        .size:           8
        .value_kind:     global_buffer
      - .offset:         88
        .size:           4
        .value_kind:     by_value
      - .offset:         92
        .size:           1
        .value_kind:     by_value
    .group_segment_fixed_size: 0
    .kernarg_segment_align: 8
    .kernarg_segment_size: 96
    .language:       OpenCL C
    .language_version:
      - 2
      - 0
    .max_flat_workgroup_size: 128
    .name:           _ZN9rocsparseL18bsrxmvn_4x4_kernelILj128ELj64EfliaafEEvT3_20rocsparse_direction_NS_24const_host_device_scalarIT1_EES1_PKS1_PKT2_SA_S7_PKT4_PKT5_S5_PT6_21rocsparse_index_base_b
    .private_segment_fixed_size: 0
    .sgpr_count:     20
    .sgpr_spill_count: 0
    .symbol:         _ZN9rocsparseL18bsrxmvn_4x4_kernelILj128ELj64EfliaafEEvT3_20rocsparse_direction_NS_24const_host_device_scalarIT1_EES1_PKS1_PKT2_SA_S7_PKT4_PKT5_S5_PT6_21rocsparse_index_base_b.kd
    .uniform_work_group_size: 1
    .uses_dynamic_stack: false
    .vgpr_count:     89
    .vgpr_spill_count: 0
    .wavefront_size: 32
  - .args:
      - .offset:         0
        .size:           8
        .value_kind:     by_value
      - .offset:         8
        .size:           4
        .value_kind:     by_value
      - .offset:         16
        .size:           8
        .value_kind:     by_value
      - .offset:         24
        .size:           8
        .value_kind:     by_value
      - .actual_access:  read_only
        .address_space:  global
        .offset:         32
        .size:           8
        .value_kind:     global_buffer
      - .actual_access:  read_only
        .address_space:  global
        .offset:         40
        .size:           8
        .value_kind:     global_buffer
      - .actual_access:  read_only
        .address_space:  global
        .offset:         48
        .size:           8
        .value_kind:     global_buffer
      - .actual_access:  read_only
        .address_space:  global
        .offset:         56
        .size:           8
        .value_kind:     global_buffer
      - .actual_access:  read_only
        .address_space:  global
        .offset:         64
        .size:           8
        .value_kind:     global_buffer
      - .actual_access:  read_only
        .address_space:  global
        .offset:         72
        .size:           8
        .value_kind:     global_buffer
      - .offset:         80
        .size:           8
        .value_kind:     by_value
      - .address_space:  global
        .offset:         88
        .size:           8
        .value_kind:     global_buffer
      - .offset:         96
        .size:           4
        .value_kind:     by_value
      - .offset:         100
        .size:           1
        .value_kind:     by_value
    .group_segment_fixed_size: 0
    .kernarg_segment_align: 8
    .kernarg_segment_size: 104
    .language:       OpenCL C
    .language_version:
      - 2
      - 0
    .max_flat_workgroup_size: 128
    .name:           _ZN9rocsparseL18bsrxmvn_4x4_kernelILj128ELj4EfllaafEEvT3_20rocsparse_direction_NS_24const_host_device_scalarIT1_EES1_PKS1_PKT2_SA_S7_PKT4_PKT5_S5_PT6_21rocsparse_index_base_b
    .private_segment_fixed_size: 0
    .sgpr_count:     20
    .sgpr_spill_count: 0
    .symbol:         _ZN9rocsparseL18bsrxmvn_4x4_kernelILj128ELj4EfllaafEEvT3_20rocsparse_direction_NS_24const_host_device_scalarIT1_EES1_PKS1_PKT2_SA_S7_PKT4_PKT5_S5_PT6_21rocsparse_index_base_b.kd
    .uniform_work_group_size: 1
    .uses_dynamic_stack: false
    .vgpr_count:     103
    .vgpr_spill_count: 0
    .wavefront_size: 32
  - .args:
      - .offset:         0
        .size:           8
        .value_kind:     by_value
      - .offset:         8
        .size:           4
        .value_kind:     by_value
      - .offset:         16
        .size:           8
        .value_kind:     by_value
      - .offset:         24
        .size:           8
        .value_kind:     by_value
      - .actual_access:  read_only
        .address_space:  global
        .offset:         32
        .size:           8
        .value_kind:     global_buffer
      - .actual_access:  read_only
        .address_space:  global
        .offset:         40
        .size:           8
        .value_kind:     global_buffer
      - .actual_access:  read_only
        .address_space:  global
        .offset:         48
        .size:           8
        .value_kind:     global_buffer
      - .actual_access:  read_only
        .address_space:  global
        .offset:         56
        .size:           8
        .value_kind:     global_buffer
      - .actual_access:  read_only
        .address_space:  global
        .offset:         64
        .size:           8
        .value_kind:     global_buffer
      - .actual_access:  read_only
        .address_space:  global
        .offset:         72
        .size:           8
        .value_kind:     global_buffer
      - .offset:         80
        .size:           8
        .value_kind:     by_value
      - .address_space:  global
        .offset:         88
        .size:           8
        .value_kind:     global_buffer
      - .offset:         96
        .size:           4
        .value_kind:     by_value
      - .offset:         100
        .size:           1
        .value_kind:     by_value
    .group_segment_fixed_size: 0
    .kernarg_segment_align: 8
    .kernarg_segment_size: 104
    .language:       OpenCL C
    .language_version:
      - 2
      - 0
    .max_flat_workgroup_size: 128
    .name:           _ZN9rocsparseL18bsrxmvn_4x4_kernelILj128ELj8EfllaafEEvT3_20rocsparse_direction_NS_24const_host_device_scalarIT1_EES1_PKS1_PKT2_SA_S7_PKT4_PKT5_S5_PT6_21rocsparse_index_base_b
    .private_segment_fixed_size: 0
    .sgpr_count:     20
    .sgpr_spill_count: 0
    .symbol:         _ZN9rocsparseL18bsrxmvn_4x4_kernelILj128ELj8EfllaafEEvT3_20rocsparse_direction_NS_24const_host_device_scalarIT1_EES1_PKS1_PKT2_SA_S7_PKT4_PKT5_S5_PT6_21rocsparse_index_base_b.kd
    .uniform_work_group_size: 1
    .uses_dynamic_stack: false
    .vgpr_count:     105
    .vgpr_spill_count: 0
    .wavefront_size: 32
  - .args:
      - .offset:         0
        .size:           8
        .value_kind:     by_value
      - .offset:         8
        .size:           4
        .value_kind:     by_value
      - .offset:         16
        .size:           8
        .value_kind:     by_value
      - .offset:         24
        .size:           8
        .value_kind:     by_value
      - .actual_access:  read_only
        .address_space:  global
        .offset:         32
        .size:           8
        .value_kind:     global_buffer
      - .actual_access:  read_only
        .address_space:  global
        .offset:         40
        .size:           8
        .value_kind:     global_buffer
      - .actual_access:  read_only
        .address_space:  global
        .offset:         48
        .size:           8
        .value_kind:     global_buffer
      - .actual_access:  read_only
        .address_space:  global
        .offset:         56
        .size:           8
        .value_kind:     global_buffer
      - .actual_access:  read_only
        .address_space:  global
        .offset:         64
        .size:           8
        .value_kind:     global_buffer
      - .actual_access:  read_only
        .address_space:  global
        .offset:         72
        .size:           8
        .value_kind:     global_buffer
      - .offset:         80
        .size:           8
        .value_kind:     by_value
      - .address_space:  global
        .offset:         88
        .size:           8
        .value_kind:     global_buffer
      - .offset:         96
        .size:           4
        .value_kind:     by_value
      - .offset:         100
        .size:           1
        .value_kind:     by_value
    .group_segment_fixed_size: 0
    .kernarg_segment_align: 8
    .kernarg_segment_size: 104
    .language:       OpenCL C
    .language_version:
      - 2
      - 0
    .max_flat_workgroup_size: 128
    .name:           _ZN9rocsparseL18bsrxmvn_4x4_kernelILj128ELj16EfllaafEEvT3_20rocsparse_direction_NS_24const_host_device_scalarIT1_EES1_PKS1_PKT2_SA_S7_PKT4_PKT5_S5_PT6_21rocsparse_index_base_b
    .private_segment_fixed_size: 0
    .sgpr_count:     20
    .sgpr_spill_count: 0
    .symbol:         _ZN9rocsparseL18bsrxmvn_4x4_kernelILj128ELj16EfllaafEEvT3_20rocsparse_direction_NS_24const_host_device_scalarIT1_EES1_PKS1_PKT2_SA_S7_PKT4_PKT5_S5_PT6_21rocsparse_index_base_b.kd
    .uniform_work_group_size: 1
    .uses_dynamic_stack: false
    .vgpr_count:     106
    .vgpr_spill_count: 0
    .wavefront_size: 32
  - .args:
      - .offset:         0
        .size:           8
        .value_kind:     by_value
      - .offset:         8
        .size:           4
        .value_kind:     by_value
      - .offset:         16
        .size:           8
        .value_kind:     by_value
      - .offset:         24
        .size:           8
        .value_kind:     by_value
      - .actual_access:  read_only
        .address_space:  global
        .offset:         32
        .size:           8
        .value_kind:     global_buffer
      - .actual_access:  read_only
        .address_space:  global
        .offset:         40
        .size:           8
        .value_kind:     global_buffer
      - .actual_access:  read_only
        .address_space:  global
        .offset:         48
        .size:           8
        .value_kind:     global_buffer
      - .actual_access:  read_only
        .address_space:  global
        .offset:         56
        .size:           8
        .value_kind:     global_buffer
      - .actual_access:  read_only
        .address_space:  global
        .offset:         64
        .size:           8
        .value_kind:     global_buffer
      - .actual_access:  read_only
        .address_space:  global
        .offset:         72
        .size:           8
        .value_kind:     global_buffer
      - .offset:         80
        .size:           8
        .value_kind:     by_value
      - .address_space:  global
        .offset:         88
        .size:           8
        .value_kind:     global_buffer
      - .offset:         96
        .size:           4
        .value_kind:     by_value
      - .offset:         100
        .size:           1
        .value_kind:     by_value
    .group_segment_fixed_size: 0
    .kernarg_segment_align: 8
    .kernarg_segment_size: 104
    .language:       OpenCL C
    .language_version:
      - 2
      - 0
    .max_flat_workgroup_size: 128
    .name:           _ZN9rocsparseL18bsrxmvn_4x4_kernelILj128ELj32EfllaafEEvT3_20rocsparse_direction_NS_24const_host_device_scalarIT1_EES1_PKS1_PKT2_SA_S7_PKT4_PKT5_S5_PT6_21rocsparse_index_base_b
    .private_segment_fixed_size: 0
    .sgpr_count:     20
    .sgpr_spill_count: 0
    .symbol:         _ZN9rocsparseL18bsrxmvn_4x4_kernelILj128ELj32EfllaafEEvT3_20rocsparse_direction_NS_24const_host_device_scalarIT1_EES1_PKS1_PKT2_SA_S7_PKT4_PKT5_S5_PT6_21rocsparse_index_base_b.kd
    .uniform_work_group_size: 1
    .uses_dynamic_stack: false
    .vgpr_count:     104
    .vgpr_spill_count: 0
    .wavefront_size: 32
  - .args:
      - .offset:         0
        .size:           8
        .value_kind:     by_value
      - .offset:         8
        .size:           4
        .value_kind:     by_value
      - .offset:         16
        .size:           8
        .value_kind:     by_value
      - .offset:         24
        .size:           8
        .value_kind:     by_value
      - .actual_access:  read_only
        .address_space:  global
        .offset:         32
        .size:           8
        .value_kind:     global_buffer
      - .actual_access:  read_only
        .address_space:  global
        .offset:         40
        .size:           8
        .value_kind:     global_buffer
      - .actual_access:  read_only
        .address_space:  global
        .offset:         48
        .size:           8
        .value_kind:     global_buffer
      - .actual_access:  read_only
        .address_space:  global
        .offset:         56
        .size:           8
        .value_kind:     global_buffer
      - .actual_access:  read_only
        .address_space:  global
        .offset:         64
        .size:           8
        .value_kind:     global_buffer
      - .actual_access:  read_only
        .address_space:  global
        .offset:         72
        .size:           8
        .value_kind:     global_buffer
      - .offset:         80
        .size:           8
        .value_kind:     by_value
      - .address_space:  global
        .offset:         88
        .size:           8
        .value_kind:     global_buffer
      - .offset:         96
        .size:           4
        .value_kind:     by_value
      - .offset:         100
        .size:           1
        .value_kind:     by_value
    .group_segment_fixed_size: 0
    .kernarg_segment_align: 8
    .kernarg_segment_size: 104
    .language:       OpenCL C
    .language_version:
      - 2
      - 0
    .max_flat_workgroup_size: 128
    .name:           _ZN9rocsparseL18bsrxmvn_4x4_kernelILj128ELj64EfllaafEEvT3_20rocsparse_direction_NS_24const_host_device_scalarIT1_EES1_PKS1_PKT2_SA_S7_PKT4_PKT5_S5_PT6_21rocsparse_index_base_b
    .private_segment_fixed_size: 0
    .sgpr_count:     20
    .sgpr_spill_count: 0
    .symbol:         _ZN9rocsparseL18bsrxmvn_4x4_kernelILj128ELj64EfllaafEEvT3_20rocsparse_direction_NS_24const_host_device_scalarIT1_EES1_PKS1_PKT2_SA_S7_PKT4_PKT5_S5_PT6_21rocsparse_index_base_b.kd
    .uniform_work_group_size: 1
    .uses_dynamic_stack: false
    .vgpr_count:     104
    .vgpr_spill_count: 0
    .wavefront_size: 32
  - .args:
      - .offset:         0
        .size:           4
        .value_kind:     by_value
      - .offset:         4
        .size:           4
        .value_kind:     by_value
      - .offset:         8
        .size:           8
        .value_kind:     by_value
      - .offset:         16
        .size:           4
        .value_kind:     by_value
      - .actual_access:  read_only
        .address_space:  global
        .offset:         24
        .size:           8
        .value_kind:     global_buffer
      - .actual_access:  read_only
        .address_space:  global
        .offset:         32
        .size:           8
        .value_kind:     global_buffer
      - .actual_access:  read_only
        .address_space:  global
        .offset:         40
        .size:           8
        .value_kind:     global_buffer
      - .actual_access:  read_only
        .address_space:  global
        .offset:         48
        .size:           8
        .value_kind:     global_buffer
      - .actual_access:  read_only
        .address_space:  global
        .offset:         56
        .size:           8
        .value_kind:     global_buffer
      - .actual_access:  read_only
        .address_space:  global
        .offset:         64
        .size:           8
        .value_kind:     global_buffer
      - .offset:         72
        .size:           8
        .value_kind:     by_value
      - .address_space:  global
        .offset:         80
        .size:           8
        .value_kind:     global_buffer
      - .offset:         88
        .size:           4
        .value_kind:     by_value
      - .offset:         92
        .size:           1
        .value_kind:     by_value
    .group_segment_fixed_size: 0
    .kernarg_segment_align: 8
    .kernarg_segment_size: 96
    .language:       OpenCL C
    .language_version:
      - 2
      - 0
    .max_flat_workgroup_size: 128
    .name:           _ZN9rocsparseL18bsrxmvn_4x4_kernelILj128ELj4EfiiDF16_DF16_fEEvT3_20rocsparse_direction_NS_24const_host_device_scalarIT1_EES1_PKS1_PKT2_SA_S7_PKT4_PKT5_S5_PT6_21rocsparse_index_base_b
    .private_segment_fixed_size: 0
    .sgpr_count:     20
    .sgpr_spill_count: 0
    .symbol:         _ZN9rocsparseL18bsrxmvn_4x4_kernelILj128ELj4EfiiDF16_DF16_fEEvT3_20rocsparse_direction_NS_24const_host_device_scalarIT1_EES1_PKS1_PKT2_SA_S7_PKT4_PKT5_S5_PT6_21rocsparse_index_base_b.kd
    .uniform_work_group_size: 1
    .uses_dynamic_stack: false
    .vgpr_count:     77
    .vgpr_spill_count: 0
    .wavefront_size: 32
  - .args:
      - .offset:         0
        .size:           4
        .value_kind:     by_value
      - .offset:         4
        .size:           4
        .value_kind:     by_value
      - .offset:         8
        .size:           8
        .value_kind:     by_value
      - .offset:         16
        .size:           4
        .value_kind:     by_value
      - .actual_access:  read_only
        .address_space:  global
        .offset:         24
        .size:           8
        .value_kind:     global_buffer
      - .actual_access:  read_only
        .address_space:  global
        .offset:         32
        .size:           8
        .value_kind:     global_buffer
      - .actual_access:  read_only
        .address_space:  global
        .offset:         40
        .size:           8
        .value_kind:     global_buffer
      - .actual_access:  read_only
        .address_space:  global
        .offset:         48
        .size:           8
        .value_kind:     global_buffer
      - .actual_access:  read_only
        .address_space:  global
        .offset:         56
        .size:           8
        .value_kind:     global_buffer
      - .actual_access:  read_only
        .address_space:  global
        .offset:         64
        .size:           8
        .value_kind:     global_buffer
      - .offset:         72
        .size:           8
        .value_kind:     by_value
      - .address_space:  global
        .offset:         80
        .size:           8
        .value_kind:     global_buffer
      - .offset:         88
        .size:           4
        .value_kind:     by_value
      - .offset:         92
        .size:           1
        .value_kind:     by_value
    .group_segment_fixed_size: 0
    .kernarg_segment_align: 8
    .kernarg_segment_size: 96
    .language:       OpenCL C
    .language_version:
      - 2
      - 0
    .max_flat_workgroup_size: 128
    .name:           _ZN9rocsparseL18bsrxmvn_4x4_kernelILj128ELj8EfiiDF16_DF16_fEEvT3_20rocsparse_direction_NS_24const_host_device_scalarIT1_EES1_PKS1_PKT2_SA_S7_PKT4_PKT5_S5_PT6_21rocsparse_index_base_b
    .private_segment_fixed_size: 0
    .sgpr_count:     20
    .sgpr_spill_count: 0
    .symbol:         _ZN9rocsparseL18bsrxmvn_4x4_kernelILj128ELj8EfiiDF16_DF16_fEEvT3_20rocsparse_direction_NS_24const_host_device_scalarIT1_EES1_PKS1_PKT2_SA_S7_PKT4_PKT5_S5_PT6_21rocsparse_index_base_b.kd
    .uniform_work_group_size: 1
    .uses_dynamic_stack: false
    .vgpr_count:     77
    .vgpr_spill_count: 0
    .wavefront_size: 32
  - .args:
      - .offset:         0
        .size:           4
        .value_kind:     by_value
      - .offset:         4
        .size:           4
        .value_kind:     by_value
      - .offset:         8
        .size:           8
        .value_kind:     by_value
      - .offset:         16
        .size:           4
        .value_kind:     by_value
      - .actual_access:  read_only
        .address_space:  global
        .offset:         24
        .size:           8
        .value_kind:     global_buffer
      - .actual_access:  read_only
        .address_space:  global
        .offset:         32
        .size:           8
        .value_kind:     global_buffer
      - .actual_access:  read_only
        .address_space:  global
        .offset:         40
        .size:           8
        .value_kind:     global_buffer
      - .actual_access:  read_only
        .address_space:  global
        .offset:         48
        .size:           8
        .value_kind:     global_buffer
      - .actual_access:  read_only
        .address_space:  global
        .offset:         56
        .size:           8
        .value_kind:     global_buffer
      - .actual_access:  read_only
        .address_space:  global
        .offset:         64
        .size:           8
        .value_kind:     global_buffer
      - .offset:         72
        .size:           8
        .value_kind:     by_value
      - .address_space:  global
        .offset:         80
        .size:           8
        .value_kind:     global_buffer
      - .offset:         88
        .size:           4
        .value_kind:     by_value
      - .offset:         92
        .size:           1
        .value_kind:     by_value
    .group_segment_fixed_size: 0
    .kernarg_segment_align: 8
    .kernarg_segment_size: 96
    .language:       OpenCL C
    .language_version:
      - 2
      - 0
    .max_flat_workgroup_size: 128
    .name:           _ZN9rocsparseL18bsrxmvn_4x4_kernelILj128ELj16EfiiDF16_DF16_fEEvT3_20rocsparse_direction_NS_24const_host_device_scalarIT1_EES1_PKS1_PKT2_SA_S7_PKT4_PKT5_S5_PT6_21rocsparse_index_base_b
    .private_segment_fixed_size: 0
    .sgpr_count:     20
    .sgpr_spill_count: 0
    .symbol:         _ZN9rocsparseL18bsrxmvn_4x4_kernelILj128ELj16EfiiDF16_DF16_fEEvT3_20rocsparse_direction_NS_24const_host_device_scalarIT1_EES1_PKS1_PKT2_SA_S7_PKT4_PKT5_S5_PT6_21rocsparse_index_base_b.kd
    .uniform_work_group_size: 1
    .uses_dynamic_stack: false
    .vgpr_count:     77
    .vgpr_spill_count: 0
    .wavefront_size: 32
  - .args:
      - .offset:         0
        .size:           4
        .value_kind:     by_value
      - .offset:         4
        .size:           4
        .value_kind:     by_value
      - .offset:         8
        .size:           8
        .value_kind:     by_value
      - .offset:         16
        .size:           4
        .value_kind:     by_value
      - .actual_access:  read_only
        .address_space:  global
        .offset:         24
        .size:           8
        .value_kind:     global_buffer
      - .actual_access:  read_only
        .address_space:  global
        .offset:         32
        .size:           8
        .value_kind:     global_buffer
      - .actual_access:  read_only
        .address_space:  global
        .offset:         40
        .size:           8
        .value_kind:     global_buffer
      - .actual_access:  read_only
        .address_space:  global
        .offset:         48
        .size:           8
        .value_kind:     global_buffer
      - .actual_access:  read_only
        .address_space:  global
        .offset:         56
        .size:           8
        .value_kind:     global_buffer
      - .actual_access:  read_only
        .address_space:  global
        .offset:         64
        .size:           8
        .value_kind:     global_buffer
      - .offset:         72
        .size:           8
        .value_kind:     by_value
      - .address_space:  global
        .offset:         80
        .size:           8
        .value_kind:     global_buffer
      - .offset:         88
        .size:           4
        .value_kind:     by_value
      - .offset:         92
        .size:           1
        .value_kind:     by_value
    .group_segment_fixed_size: 0
    .kernarg_segment_align: 8
    .kernarg_segment_size: 96
    .language:       OpenCL C
    .language_version:
      - 2
      - 0
    .max_flat_workgroup_size: 128
    .name:           _ZN9rocsparseL18bsrxmvn_4x4_kernelILj128ELj32EfiiDF16_DF16_fEEvT3_20rocsparse_direction_NS_24const_host_device_scalarIT1_EES1_PKS1_PKT2_SA_S7_PKT4_PKT5_S5_PT6_21rocsparse_index_base_b
    .private_segment_fixed_size: 0
    .sgpr_count:     20
    .sgpr_spill_count: 0
    .symbol:         _ZN9rocsparseL18bsrxmvn_4x4_kernelILj128ELj32EfiiDF16_DF16_fEEvT3_20rocsparse_direction_NS_24const_host_device_scalarIT1_EES1_PKS1_PKT2_SA_S7_PKT4_PKT5_S5_PT6_21rocsparse_index_base_b.kd
    .uniform_work_group_size: 1
    .uses_dynamic_stack: false
    .vgpr_count:     70
    .vgpr_spill_count: 0
    .wavefront_size: 32
  - .args:
      - .offset:         0
        .size:           4
        .value_kind:     by_value
      - .offset:         4
        .size:           4
        .value_kind:     by_value
      - .offset:         8
        .size:           8
        .value_kind:     by_value
      - .offset:         16
        .size:           4
        .value_kind:     by_value
      - .actual_access:  read_only
        .address_space:  global
        .offset:         24
        .size:           8
        .value_kind:     global_buffer
      - .actual_access:  read_only
        .address_space:  global
        .offset:         32
        .size:           8
        .value_kind:     global_buffer
      - .actual_access:  read_only
        .address_space:  global
        .offset:         40
        .size:           8
        .value_kind:     global_buffer
      - .actual_access:  read_only
        .address_space:  global
        .offset:         48
        .size:           8
        .value_kind:     global_buffer
      - .actual_access:  read_only
        .address_space:  global
        .offset:         56
        .size:           8
        .value_kind:     global_buffer
      - .actual_access:  read_only
        .address_space:  global
        .offset:         64
        .size:           8
        .value_kind:     global_buffer
      - .offset:         72
        .size:           8
        .value_kind:     by_value
      - .address_space:  global
        .offset:         80
        .size:           8
        .value_kind:     global_buffer
      - .offset:         88
        .size:           4
        .value_kind:     by_value
      - .offset:         92
        .size:           1
        .value_kind:     by_value
    .group_segment_fixed_size: 0
    .kernarg_segment_align: 8
    .kernarg_segment_size: 96
    .language:       OpenCL C
    .language_version:
      - 2
      - 0
    .max_flat_workgroup_size: 128
    .name:           _ZN9rocsparseL18bsrxmvn_4x4_kernelILj128ELj64EfiiDF16_DF16_fEEvT3_20rocsparse_direction_NS_24const_host_device_scalarIT1_EES1_PKS1_PKT2_SA_S7_PKT4_PKT5_S5_PT6_21rocsparse_index_base_b
    .private_segment_fixed_size: 0
    .sgpr_count:     20
    .sgpr_spill_count: 0
    .symbol:         _ZN9rocsparseL18bsrxmvn_4x4_kernelILj128ELj64EfiiDF16_DF16_fEEvT3_20rocsparse_direction_NS_24const_host_device_scalarIT1_EES1_PKS1_PKT2_SA_S7_PKT4_PKT5_S5_PT6_21rocsparse_index_base_b.kd
    .uniform_work_group_size: 1
    .uses_dynamic_stack: false
    .vgpr_count:     77
    .vgpr_spill_count: 0
    .wavefront_size: 32
  - .args:
      - .offset:         0
        .size:           4
        .value_kind:     by_value
      - .offset:         4
        .size:           4
        .value_kind:     by_value
      - .offset:         8
        .size:           8
        .value_kind:     by_value
      - .offset:         16
        .size:           4
        .value_kind:     by_value
      - .actual_access:  read_only
        .address_space:  global
        .offset:         24
        .size:           8
        .value_kind:     global_buffer
      - .actual_access:  read_only
        .address_space:  global
        .offset:         32
        .size:           8
        .value_kind:     global_buffer
      - .actual_access:  read_only
        .address_space:  global
        .offset:         40
        .size:           8
        .value_kind:     global_buffer
      - .actual_access:  read_only
        .address_space:  global
        .offset:         48
        .size:           8
        .value_kind:     global_buffer
      - .actual_access:  read_only
        .address_space:  global
        .offset:         56
        .size:           8
        .value_kind:     global_buffer
      - .actual_access:  read_only
        .address_space:  global
        .offset:         64
        .size:           8
        .value_kind:     global_buffer
      - .offset:         72
        .size:           8
        .value_kind:     by_value
      - .address_space:  global
        .offset:         80
        .size:           8
        .value_kind:     global_buffer
      - .offset:         88
        .size:           4
        .value_kind:     by_value
      - .offset:         92
        .size:           1
        .value_kind:     by_value
    .group_segment_fixed_size: 0
    .kernarg_segment_align: 8
    .kernarg_segment_size: 96
    .language:       OpenCL C
    .language_version:
      - 2
      - 0
    .max_flat_workgroup_size: 128
    .name:           _ZN9rocsparseL18bsrxmvn_4x4_kernelILj128ELj4EfliDF16_DF16_fEEvT3_20rocsparse_direction_NS_24const_host_device_scalarIT1_EES1_PKS1_PKT2_SA_S7_PKT4_PKT5_S5_PT6_21rocsparse_index_base_b
    .private_segment_fixed_size: 0
    .sgpr_count:     20
    .sgpr_spill_count: 0
    .symbol:         _ZN9rocsparseL18bsrxmvn_4x4_kernelILj128ELj4EfliDF16_DF16_fEEvT3_20rocsparse_direction_NS_24const_host_device_scalarIT1_EES1_PKS1_PKT2_SA_S7_PKT4_PKT5_S5_PT6_21rocsparse_index_base_b.kd
    .uniform_work_group_size: 1
    .uses_dynamic_stack: false
    .vgpr_count:     78
    .vgpr_spill_count: 0
    .wavefront_size: 32
  - .args:
      - .offset:         0
        .size:           4
        .value_kind:     by_value
      - .offset:         4
        .size:           4
        .value_kind:     by_value
      - .offset:         8
        .size:           8
        .value_kind:     by_value
      - .offset:         16
        .size:           4
        .value_kind:     by_value
      - .actual_access:  read_only
        .address_space:  global
        .offset:         24
        .size:           8
        .value_kind:     global_buffer
      - .actual_access:  read_only
        .address_space:  global
        .offset:         32
        .size:           8
        .value_kind:     global_buffer
      - .actual_access:  read_only
        .address_space:  global
        .offset:         40
        .size:           8
        .value_kind:     global_buffer
      - .actual_access:  read_only
        .address_space:  global
        .offset:         48
        .size:           8
        .value_kind:     global_buffer
      - .actual_access:  read_only
        .address_space:  global
        .offset:         56
        .size:           8
        .value_kind:     global_buffer
      - .actual_access:  read_only
        .address_space:  global
        .offset:         64
        .size:           8
        .value_kind:     global_buffer
      - .offset:         72
        .size:           8
        .value_kind:     by_value
      - .address_space:  global
        .offset:         80
        .size:           8
        .value_kind:     global_buffer
      - .offset:         88
        .size:           4
        .value_kind:     by_value
      - .offset:         92
        .size:           1
        .value_kind:     by_value
    .group_segment_fixed_size: 0
    .kernarg_segment_align: 8
    .kernarg_segment_size: 96
    .language:       OpenCL C
    .language_version:
      - 2
      - 0
    .max_flat_workgroup_size: 128
    .name:           _ZN9rocsparseL18bsrxmvn_4x4_kernelILj128ELj8EfliDF16_DF16_fEEvT3_20rocsparse_direction_NS_24const_host_device_scalarIT1_EES1_PKS1_PKT2_SA_S7_PKT4_PKT5_S5_PT6_21rocsparse_index_base_b
    .private_segment_fixed_size: 0
    .sgpr_count:     20
    .sgpr_spill_count: 0
    .symbol:         _ZN9rocsparseL18bsrxmvn_4x4_kernelILj128ELj8EfliDF16_DF16_fEEvT3_20rocsparse_direction_NS_24const_host_device_scalarIT1_EES1_PKS1_PKT2_SA_S7_PKT4_PKT5_S5_PT6_21rocsparse_index_base_b.kd
    .uniform_work_group_size: 1
    .uses_dynamic_stack: false
    .vgpr_count:     78
    .vgpr_spill_count: 0
    .wavefront_size: 32
  - .args:
      - .offset:         0
        .size:           4
        .value_kind:     by_value
      - .offset:         4
        .size:           4
        .value_kind:     by_value
      - .offset:         8
        .size:           8
        .value_kind:     by_value
      - .offset:         16
        .size:           4
        .value_kind:     by_value
      - .actual_access:  read_only
        .address_space:  global
        .offset:         24
        .size:           8
        .value_kind:     global_buffer
      - .actual_access:  read_only
        .address_space:  global
        .offset:         32
        .size:           8
        .value_kind:     global_buffer
      - .actual_access:  read_only
        .address_space:  global
        .offset:         40
        .size:           8
        .value_kind:     global_buffer
      - .actual_access:  read_only
        .address_space:  global
        .offset:         48
        .size:           8
        .value_kind:     global_buffer
      - .actual_access:  read_only
        .address_space:  global
        .offset:         56
        .size:           8
        .value_kind:     global_buffer
      - .actual_access:  read_only
        .address_space:  global
        .offset:         64
        .size:           8
        .value_kind:     global_buffer
      - .offset:         72
        .size:           8
        .value_kind:     by_value
      - .address_space:  global
        .offset:         80
        .size:           8
        .value_kind:     global_buffer
      - .offset:         88
        .size:           4
        .value_kind:     by_value
      - .offset:         92
        .size:           1
        .value_kind:     by_value
    .group_segment_fixed_size: 0
    .kernarg_segment_align: 8
    .kernarg_segment_size: 96
    .language:       OpenCL C
    .language_version:
      - 2
      - 0
    .max_flat_workgroup_size: 128
    .name:           _ZN9rocsparseL18bsrxmvn_4x4_kernelILj128ELj16EfliDF16_DF16_fEEvT3_20rocsparse_direction_NS_24const_host_device_scalarIT1_EES1_PKS1_PKT2_SA_S7_PKT4_PKT5_S5_PT6_21rocsparse_index_base_b
    .private_segment_fixed_size: 0
    .sgpr_count:     20
    .sgpr_spill_count: 0
    .symbol:         _ZN9rocsparseL18bsrxmvn_4x4_kernelILj128ELj16EfliDF16_DF16_fEEvT3_20rocsparse_direction_NS_24const_host_device_scalarIT1_EES1_PKS1_PKT2_SA_S7_PKT4_PKT5_S5_PT6_21rocsparse_index_base_b.kd
    .uniform_work_group_size: 1
    .uses_dynamic_stack: false
    .vgpr_count:     79
    .vgpr_spill_count: 0
    .wavefront_size: 32
  - .args:
      - .offset:         0
        .size:           4
        .value_kind:     by_value
      - .offset:         4
        .size:           4
        .value_kind:     by_value
      - .offset:         8
        .size:           8
        .value_kind:     by_value
      - .offset:         16
        .size:           4
        .value_kind:     by_value
      - .actual_access:  read_only
        .address_space:  global
        .offset:         24
        .size:           8
        .value_kind:     global_buffer
      - .actual_access:  read_only
        .address_space:  global
        .offset:         32
        .size:           8
        .value_kind:     global_buffer
      - .actual_access:  read_only
        .address_space:  global
        .offset:         40
        .size:           8
        .value_kind:     global_buffer
      - .actual_access:  read_only
        .address_space:  global
        .offset:         48
        .size:           8
        .value_kind:     global_buffer
      - .actual_access:  read_only
        .address_space:  global
        .offset:         56
        .size:           8
        .value_kind:     global_buffer
      - .actual_access:  read_only
        .address_space:  global
        .offset:         64
        .size:           8
        .value_kind:     global_buffer
      - .offset:         72
        .size:           8
        .value_kind:     by_value
      - .address_space:  global
        .offset:         80
        .size:           8
        .value_kind:     global_buffer
      - .offset:         88
        .size:           4
        .value_kind:     by_value
      - .offset:         92
        .size:           1
        .value_kind:     by_value
    .group_segment_fixed_size: 0
    .kernarg_segment_align: 8
    .kernarg_segment_size: 96
    .language:       OpenCL C
    .language_version:
      - 2
      - 0
    .max_flat_workgroup_size: 128
    .name:           _ZN9rocsparseL18bsrxmvn_4x4_kernelILj128ELj32EfliDF16_DF16_fEEvT3_20rocsparse_direction_NS_24const_host_device_scalarIT1_EES1_PKS1_PKT2_SA_S7_PKT4_PKT5_S5_PT6_21rocsparse_index_base_b
    .private_segment_fixed_size: 0
    .sgpr_count:     20
    .sgpr_spill_count: 0
    .symbol:         _ZN9rocsparseL18bsrxmvn_4x4_kernelILj128ELj32EfliDF16_DF16_fEEvT3_20rocsparse_direction_NS_24const_host_device_scalarIT1_EES1_PKS1_PKT2_SA_S7_PKT4_PKT5_S5_PT6_21rocsparse_index_base_b.kd
    .uniform_work_group_size: 1
    .uses_dynamic_stack: false
    .vgpr_count:     78
    .vgpr_spill_count: 0
    .wavefront_size: 32
  - .args:
      - .offset:         0
        .size:           4
        .value_kind:     by_value
      - .offset:         4
        .size:           4
        .value_kind:     by_value
      - .offset:         8
        .size:           8
        .value_kind:     by_value
      - .offset:         16
        .size:           4
        .value_kind:     by_value
      - .actual_access:  read_only
        .address_space:  global
        .offset:         24
        .size:           8
        .value_kind:     global_buffer
      - .actual_access:  read_only
        .address_space:  global
        .offset:         32
        .size:           8
        .value_kind:     global_buffer
      - .actual_access:  read_only
        .address_space:  global
        .offset:         40
        .size:           8
        .value_kind:     global_buffer
      - .actual_access:  read_only
        .address_space:  global
        .offset:         48
        .size:           8
        .value_kind:     global_buffer
      - .actual_access:  read_only
        .address_space:  global
        .offset:         56
        .size:           8
        .value_kind:     global_buffer
      - .actual_access:  read_only
        .address_space:  global
        .offset:         64
        .size:           8
        .value_kind:     global_buffer
      - .offset:         72
        .size:           8
        .value_kind:     by_value
      - .address_space:  global
        .offset:         80
        .size:           8
        .value_kind:     global_buffer
      - .offset:         88
        .size:           4
        .value_kind:     by_value
      - .offset:         92
        .size:           1
        .value_kind:     by_value
    .group_segment_fixed_size: 0
    .kernarg_segment_align: 8
    .kernarg_segment_size: 96
    .language:       OpenCL C
    .language_version:
      - 2
      - 0
    .max_flat_workgroup_size: 128
    .name:           _ZN9rocsparseL18bsrxmvn_4x4_kernelILj128ELj64EfliDF16_DF16_fEEvT3_20rocsparse_direction_NS_24const_host_device_scalarIT1_EES1_PKS1_PKT2_SA_S7_PKT4_PKT5_S5_PT6_21rocsparse_index_base_b
    .private_segment_fixed_size: 0
    .sgpr_count:     20
    .sgpr_spill_count: 0
    .symbol:         _ZN9rocsparseL18bsrxmvn_4x4_kernelILj128ELj64EfliDF16_DF16_fEEvT3_20rocsparse_direction_NS_24const_host_device_scalarIT1_EES1_PKS1_PKT2_SA_S7_PKT4_PKT5_S5_PT6_21rocsparse_index_base_b.kd
    .uniform_work_group_size: 1
    .uses_dynamic_stack: false
    .vgpr_count:     78
    .vgpr_spill_count: 0
    .wavefront_size: 32
  - .args:
      - .offset:         0
        .size:           8
        .value_kind:     by_value
      - .offset:         8
        .size:           4
        .value_kind:     by_value
      - .offset:         16
        .size:           8
        .value_kind:     by_value
      - .offset:         24
        .size:           8
        .value_kind:     by_value
      - .actual_access:  read_only
        .address_space:  global
        .offset:         32
        .size:           8
        .value_kind:     global_buffer
      - .actual_access:  read_only
        .address_space:  global
        .offset:         40
        .size:           8
        .value_kind:     global_buffer
      - .actual_access:  read_only
        .address_space:  global
        .offset:         48
        .size:           8
        .value_kind:     global_buffer
      - .actual_access:  read_only
        .address_space:  global
        .offset:         56
        .size:           8
        .value_kind:     global_buffer
      - .actual_access:  read_only
        .address_space:  global
        .offset:         64
        .size:           8
        .value_kind:     global_buffer
      - .actual_access:  read_only
        .address_space:  global
        .offset:         72
        .size:           8
        .value_kind:     global_buffer
      - .offset:         80
        .size:           8
        .value_kind:     by_value
      - .address_space:  global
        .offset:         88
        .size:           8
        .value_kind:     global_buffer
      - .offset:         96
        .size:           4
        .value_kind:     by_value
      - .offset:         100
        .size:           1
        .value_kind:     by_value
    .group_segment_fixed_size: 0
    .kernarg_segment_align: 8
    .kernarg_segment_size: 104
    .language:       OpenCL C
    .language_version:
      - 2
      - 0
    .max_flat_workgroup_size: 128
    .name:           _ZN9rocsparseL18bsrxmvn_4x4_kernelILj128ELj4EfllDF16_DF16_fEEvT3_20rocsparse_direction_NS_24const_host_device_scalarIT1_EES1_PKS1_PKT2_SA_S7_PKT4_PKT5_S5_PT6_21rocsparse_index_base_b
    .private_segment_fixed_size: 0
    .sgpr_count:     20
    .sgpr_spill_count: 0
    .symbol:         _ZN9rocsparseL18bsrxmvn_4x4_kernelILj128ELj4EfllDF16_DF16_fEEvT3_20rocsparse_direction_NS_24const_host_device_scalarIT1_EES1_PKS1_PKT2_SA_S7_PKT4_PKT5_S5_PT6_21rocsparse_index_base_b.kd
    .uniform_work_group_size: 1
    .uses_dynamic_stack: false
    .vgpr_count:     77
    .vgpr_spill_count: 0
    .wavefront_size: 32
  - .args:
      - .offset:         0
        .size:           8
        .value_kind:     by_value
      - .offset:         8
        .size:           4
        .value_kind:     by_value
      - .offset:         16
        .size:           8
        .value_kind:     by_value
      - .offset:         24
        .size:           8
        .value_kind:     by_value
      - .actual_access:  read_only
        .address_space:  global
        .offset:         32
        .size:           8
        .value_kind:     global_buffer
      - .actual_access:  read_only
        .address_space:  global
        .offset:         40
        .size:           8
        .value_kind:     global_buffer
      - .actual_access:  read_only
        .address_space:  global
        .offset:         48
        .size:           8
        .value_kind:     global_buffer
      - .actual_access:  read_only
        .address_space:  global
        .offset:         56
        .size:           8
        .value_kind:     global_buffer
      - .actual_access:  read_only
        .address_space:  global
        .offset:         64
        .size:           8
        .value_kind:     global_buffer
      - .actual_access:  read_only
        .address_space:  global
        .offset:         72
        .size:           8
        .value_kind:     global_buffer
      - .offset:         80
        .size:           8
        .value_kind:     by_value
      - .address_space:  global
        .offset:         88
        .size:           8
        .value_kind:     global_buffer
      - .offset:         96
        .size:           4
        .value_kind:     by_value
      - .offset:         100
        .size:           1
        .value_kind:     by_value
    .group_segment_fixed_size: 0
    .kernarg_segment_align: 8
    .kernarg_segment_size: 104
    .language:       OpenCL C
    .language_version:
      - 2
      - 0
    .max_flat_workgroup_size: 128
    .name:           _ZN9rocsparseL18bsrxmvn_4x4_kernelILj128ELj8EfllDF16_DF16_fEEvT3_20rocsparse_direction_NS_24const_host_device_scalarIT1_EES1_PKS1_PKT2_SA_S7_PKT4_PKT5_S5_PT6_21rocsparse_index_base_b
    .private_segment_fixed_size: 0
    .sgpr_count:     20
    .sgpr_spill_count: 0
    .symbol:         _ZN9rocsparseL18bsrxmvn_4x4_kernelILj128ELj8EfllDF16_DF16_fEEvT3_20rocsparse_direction_NS_24const_host_device_scalarIT1_EES1_PKS1_PKT2_SA_S7_PKT4_PKT5_S5_PT6_21rocsparse_index_base_b.kd
    .uniform_work_group_size: 1
    .uses_dynamic_stack: false
    .vgpr_count:     76
    .vgpr_spill_count: 0
    .wavefront_size: 32
  - .args:
      - .offset:         0
        .size:           8
        .value_kind:     by_value
      - .offset:         8
        .size:           4
        .value_kind:     by_value
      - .offset:         16
        .size:           8
        .value_kind:     by_value
      - .offset:         24
        .size:           8
        .value_kind:     by_value
      - .actual_access:  read_only
        .address_space:  global
        .offset:         32
        .size:           8
        .value_kind:     global_buffer
      - .actual_access:  read_only
        .address_space:  global
        .offset:         40
        .size:           8
        .value_kind:     global_buffer
      - .actual_access:  read_only
        .address_space:  global
        .offset:         48
        .size:           8
        .value_kind:     global_buffer
      - .actual_access:  read_only
        .address_space:  global
        .offset:         56
        .size:           8
        .value_kind:     global_buffer
      - .actual_access:  read_only
        .address_space:  global
        .offset:         64
        .size:           8
        .value_kind:     global_buffer
      - .actual_access:  read_only
        .address_space:  global
        .offset:         72
        .size:           8
        .value_kind:     global_buffer
      - .offset:         80
        .size:           8
        .value_kind:     by_value
      - .address_space:  global
        .offset:         88
        .size:           8
        .value_kind:     global_buffer
      - .offset:         96
        .size:           4
        .value_kind:     by_value
      - .offset:         100
        .size:           1
        .value_kind:     by_value
    .group_segment_fixed_size: 0
    .kernarg_segment_align: 8
    .kernarg_segment_size: 104
    .language:       OpenCL C
    .language_version:
      - 2
      - 0
    .max_flat_workgroup_size: 128
    .name:           _ZN9rocsparseL18bsrxmvn_4x4_kernelILj128ELj16EfllDF16_DF16_fEEvT3_20rocsparse_direction_NS_24const_host_device_scalarIT1_EES1_PKS1_PKT2_SA_S7_PKT4_PKT5_S5_PT6_21rocsparse_index_base_b
    .private_segment_fixed_size: 0
    .sgpr_count:     20
    .sgpr_spill_count: 0
    .symbol:         _ZN9rocsparseL18bsrxmvn_4x4_kernelILj128ELj16EfllDF16_DF16_fEEvT3_20rocsparse_direction_NS_24const_host_device_scalarIT1_EES1_PKS1_PKT2_SA_S7_PKT4_PKT5_S5_PT6_21rocsparse_index_base_b.kd
    .uniform_work_group_size: 1
    .uses_dynamic_stack: false
    .vgpr_count:     77
    .vgpr_spill_count: 0
    .wavefront_size: 32
  - .args:
      - .offset:         0
        .size:           8
        .value_kind:     by_value
      - .offset:         8
        .size:           4
        .value_kind:     by_value
      - .offset:         16
        .size:           8
        .value_kind:     by_value
      - .offset:         24
        .size:           8
        .value_kind:     by_value
      - .actual_access:  read_only
        .address_space:  global
        .offset:         32
        .size:           8
        .value_kind:     global_buffer
      - .actual_access:  read_only
        .address_space:  global
        .offset:         40
        .size:           8
        .value_kind:     global_buffer
      - .actual_access:  read_only
        .address_space:  global
        .offset:         48
        .size:           8
        .value_kind:     global_buffer
      - .actual_access:  read_only
        .address_space:  global
        .offset:         56
        .size:           8
        .value_kind:     global_buffer
      - .actual_access:  read_only
        .address_space:  global
        .offset:         64
        .size:           8
        .value_kind:     global_buffer
      - .actual_access:  read_only
        .address_space:  global
        .offset:         72
        .size:           8
        .value_kind:     global_buffer
      - .offset:         80
        .size:           8
        .value_kind:     by_value
      - .address_space:  global
        .offset:         88
        .size:           8
        .value_kind:     global_buffer
      - .offset:         96
        .size:           4
        .value_kind:     by_value
      - .offset:         100
        .size:           1
        .value_kind:     by_value
    .group_segment_fixed_size: 0
    .kernarg_segment_align: 8
    .kernarg_segment_size: 104
    .language:       OpenCL C
    .language_version:
      - 2
      - 0
    .max_flat_workgroup_size: 128
    .name:           _ZN9rocsparseL18bsrxmvn_4x4_kernelILj128ELj32EfllDF16_DF16_fEEvT3_20rocsparse_direction_NS_24const_host_device_scalarIT1_EES1_PKS1_PKT2_SA_S7_PKT4_PKT5_S5_PT6_21rocsparse_index_base_b
    .private_segment_fixed_size: 0
    .sgpr_count:     20
    .sgpr_spill_count: 0
    .symbol:         _ZN9rocsparseL18bsrxmvn_4x4_kernelILj128ELj32EfllDF16_DF16_fEEvT3_20rocsparse_direction_NS_24const_host_device_scalarIT1_EES1_PKS1_PKT2_SA_S7_PKT4_PKT5_S5_PT6_21rocsparse_index_base_b.kd
    .uniform_work_group_size: 1
    .uses_dynamic_stack: false
    .vgpr_count:     80
    .vgpr_spill_count: 0
    .wavefront_size: 32
  - .args:
      - .offset:         0
        .size:           8
        .value_kind:     by_value
      - .offset:         8
        .size:           4
        .value_kind:     by_value
      - .offset:         16
        .size:           8
        .value_kind:     by_value
      - .offset:         24
        .size:           8
        .value_kind:     by_value
      - .actual_access:  read_only
        .address_space:  global
        .offset:         32
        .size:           8
        .value_kind:     global_buffer
      - .actual_access:  read_only
        .address_space:  global
        .offset:         40
        .size:           8
        .value_kind:     global_buffer
      - .actual_access:  read_only
        .address_space:  global
        .offset:         48
        .size:           8
        .value_kind:     global_buffer
      - .actual_access:  read_only
        .address_space:  global
        .offset:         56
        .size:           8
        .value_kind:     global_buffer
      - .actual_access:  read_only
        .address_space:  global
        .offset:         64
        .size:           8
        .value_kind:     global_buffer
      - .actual_access:  read_only
        .address_space:  global
        .offset:         72
        .size:           8
        .value_kind:     global_buffer
      - .offset:         80
        .size:           8
        .value_kind:     by_value
      - .address_space:  global
        .offset:         88
        .size:           8
        .value_kind:     global_buffer
      - .offset:         96
        .size:           4
        .value_kind:     by_value
      - .offset:         100
        .size:           1
        .value_kind:     by_value
    .group_segment_fixed_size: 0
    .kernarg_segment_align: 8
    .kernarg_segment_size: 104
    .language:       OpenCL C
    .language_version:
      - 2
      - 0
    .max_flat_workgroup_size: 128
    .name:           _ZN9rocsparseL18bsrxmvn_4x4_kernelILj128ELj64EfllDF16_DF16_fEEvT3_20rocsparse_direction_NS_24const_host_device_scalarIT1_EES1_PKS1_PKT2_SA_S7_PKT4_PKT5_S5_PT6_21rocsparse_index_base_b
    .private_segment_fixed_size: 0
    .sgpr_count:     20
    .sgpr_spill_count: 0
    .symbol:         _ZN9rocsparseL18bsrxmvn_4x4_kernelILj128ELj64EfllDF16_DF16_fEEvT3_20rocsparse_direction_NS_24const_host_device_scalarIT1_EES1_PKS1_PKT2_SA_S7_PKT4_PKT5_S5_PT6_21rocsparse_index_base_b.kd
    .uniform_work_group_size: 1
    .uses_dynamic_stack: false
    .vgpr_count:     80
    .vgpr_spill_count: 0
    .wavefront_size: 32
  - .args:
      - .offset:         0
        .size:           4
        .value_kind:     by_value
      - .offset:         4
        .size:           4
        .value_kind:     by_value
      - .offset:         8
        .size:           8
        .value_kind:     by_value
      - .offset:         16
        .size:           4
        .value_kind:     by_value
      - .actual_access:  read_only
        .address_space:  global
        .offset:         24
        .size:           8
        .value_kind:     global_buffer
      - .actual_access:  read_only
        .address_space:  global
        .offset:         32
        .size:           8
        .value_kind:     global_buffer
      - .actual_access:  read_only
        .address_space:  global
        .offset:         40
        .size:           8
        .value_kind:     global_buffer
      - .actual_access:  read_only
        .address_space:  global
        .offset:         48
        .size:           8
        .value_kind:     global_buffer
      - .actual_access:  read_only
        .address_space:  global
        .offset:         56
        .size:           8
        .value_kind:     global_buffer
      - .actual_access:  read_only
        .address_space:  global
        .offset:         64
        .size:           8
        .value_kind:     global_buffer
      - .offset:         72
        .size:           8
        .value_kind:     by_value
      - .address_space:  global
        .offset:         80
        .size:           8
        .value_kind:     global_buffer
      - .offset:         88
        .size:           4
        .value_kind:     by_value
      - .offset:         92
        .size:           1
        .value_kind:     by_value
    .group_segment_fixed_size: 0
    .kernarg_segment_align: 8
    .kernarg_segment_size: 96
    .language:       OpenCL C
    .language_version:
      - 2
      - 0
    .max_flat_workgroup_size: 128
    .name:           _ZN9rocsparseL18bsrxmvn_4x4_kernelILj128ELj4Efii18rocsparse_bfloat16S1_fEEvT3_20rocsparse_direction_NS_24const_host_device_scalarIT1_EES2_PKS2_PKT2_SB_S8_PKT4_PKT5_S6_PT6_21rocsparse_index_base_b
    .private_segment_fixed_size: 0
    .sgpr_count:     20
    .sgpr_spill_count: 0
    .symbol:         _ZN9rocsparseL18bsrxmvn_4x4_kernelILj128ELj4Efii18rocsparse_bfloat16S1_fEEvT3_20rocsparse_direction_NS_24const_host_device_scalarIT1_EES2_PKS2_PKT2_SB_S8_PKT4_PKT5_S6_PT6_21rocsparse_index_base_b.kd
    .uniform_work_group_size: 1
    .uses_dynamic_stack: false
    .vgpr_count:     76
    .vgpr_spill_count: 0
    .wavefront_size: 32
  - .args:
      - .offset:         0
        .size:           4
        .value_kind:     by_value
      - .offset:         4
        .size:           4
        .value_kind:     by_value
      - .offset:         8
        .size:           8
        .value_kind:     by_value
      - .offset:         16
        .size:           4
        .value_kind:     by_value
      - .actual_access:  read_only
        .address_space:  global
        .offset:         24
        .size:           8
        .value_kind:     global_buffer
      - .actual_access:  read_only
        .address_space:  global
        .offset:         32
        .size:           8
        .value_kind:     global_buffer
      - .actual_access:  read_only
        .address_space:  global
        .offset:         40
        .size:           8
        .value_kind:     global_buffer
      - .actual_access:  read_only
        .address_space:  global
        .offset:         48
        .size:           8
        .value_kind:     global_buffer
      - .actual_access:  read_only
        .address_space:  global
        .offset:         56
        .size:           8
        .value_kind:     global_buffer
      - .actual_access:  read_only
        .address_space:  global
        .offset:         64
        .size:           8
        .value_kind:     global_buffer
      - .offset:         72
        .size:           8
        .value_kind:     by_value
      - .address_space:  global
        .offset:         80
        .size:           8
        .value_kind:     global_buffer
      - .offset:         88
        .size:           4
        .value_kind:     by_value
      - .offset:         92
        .size:           1
        .value_kind:     by_value
    .group_segment_fixed_size: 0
    .kernarg_segment_align: 8
    .kernarg_segment_size: 96
    .language:       OpenCL C
    .language_version:
      - 2
      - 0
    .max_flat_workgroup_size: 128
    .name:           _ZN9rocsparseL18bsrxmvn_4x4_kernelILj128ELj8Efii18rocsparse_bfloat16S1_fEEvT3_20rocsparse_direction_NS_24const_host_device_scalarIT1_EES2_PKS2_PKT2_SB_S8_PKT4_PKT5_S6_PT6_21rocsparse_index_base_b
    .private_segment_fixed_size: 0
    .sgpr_count:     20
    .sgpr_spill_count: 0
    .symbol:         _ZN9rocsparseL18bsrxmvn_4x4_kernelILj128ELj8Efii18rocsparse_bfloat16S1_fEEvT3_20rocsparse_direction_NS_24const_host_device_scalarIT1_EES2_PKS2_PKT2_SB_S8_PKT4_PKT5_S6_PT6_21rocsparse_index_base_b.kd
    .uniform_work_group_size: 1
    .uses_dynamic_stack: false
    .vgpr_count:     76
    .vgpr_spill_count: 0
    .wavefront_size: 32
  - .args:
      - .offset:         0
        .size:           4
        .value_kind:     by_value
      - .offset:         4
        .size:           4
        .value_kind:     by_value
      - .offset:         8
        .size:           8
        .value_kind:     by_value
      - .offset:         16
        .size:           4
        .value_kind:     by_value
      - .actual_access:  read_only
        .address_space:  global
        .offset:         24
        .size:           8
        .value_kind:     global_buffer
      - .actual_access:  read_only
        .address_space:  global
        .offset:         32
        .size:           8
        .value_kind:     global_buffer
      - .actual_access:  read_only
        .address_space:  global
        .offset:         40
        .size:           8
        .value_kind:     global_buffer
      - .actual_access:  read_only
        .address_space:  global
        .offset:         48
        .size:           8
        .value_kind:     global_buffer
      - .actual_access:  read_only
        .address_space:  global
        .offset:         56
        .size:           8
        .value_kind:     global_buffer
      - .actual_access:  read_only
        .address_space:  global
        .offset:         64
        .size:           8
        .value_kind:     global_buffer
      - .offset:         72
        .size:           8
        .value_kind:     by_value
      - .address_space:  global
        .offset:         80
        .size:           8
        .value_kind:     global_buffer
      - .offset:         88
        .size:           4
        .value_kind:     by_value
      - .offset:         92
        .size:           1
        .value_kind:     by_value
    .group_segment_fixed_size: 0
    .kernarg_segment_align: 8
    .kernarg_segment_size: 96
    .language:       OpenCL C
    .language_version:
      - 2
      - 0
    .max_flat_workgroup_size: 128
    .name:           _ZN9rocsparseL18bsrxmvn_4x4_kernelILj128ELj16Efii18rocsparse_bfloat16S1_fEEvT3_20rocsparse_direction_NS_24const_host_device_scalarIT1_EES2_PKS2_PKT2_SB_S8_PKT4_PKT5_S6_PT6_21rocsparse_index_base_b
    .private_segment_fixed_size: 0
    .sgpr_count:     20
    .sgpr_spill_count: 0
    .symbol:         _ZN9rocsparseL18bsrxmvn_4x4_kernelILj128ELj16Efii18rocsparse_bfloat16S1_fEEvT3_20rocsparse_direction_NS_24const_host_device_scalarIT1_EES2_PKS2_PKT2_SB_S8_PKT4_PKT5_S6_PT6_21rocsparse_index_base_b.kd
    .uniform_work_group_size: 1
    .uses_dynamic_stack: false
    .vgpr_count:     76
    .vgpr_spill_count: 0
    .wavefront_size: 32
  - .args:
      - .offset:         0
        .size:           4
        .value_kind:     by_value
      - .offset:         4
        .size:           4
        .value_kind:     by_value
      - .offset:         8
        .size:           8
        .value_kind:     by_value
      - .offset:         16
        .size:           4
        .value_kind:     by_value
      - .actual_access:  read_only
        .address_space:  global
        .offset:         24
        .size:           8
        .value_kind:     global_buffer
      - .actual_access:  read_only
        .address_space:  global
        .offset:         32
        .size:           8
        .value_kind:     global_buffer
      - .actual_access:  read_only
        .address_space:  global
        .offset:         40
        .size:           8
        .value_kind:     global_buffer
      - .actual_access:  read_only
        .address_space:  global
        .offset:         48
        .size:           8
        .value_kind:     global_buffer
      - .actual_access:  read_only
        .address_space:  global
        .offset:         56
        .size:           8
        .value_kind:     global_buffer
      - .actual_access:  read_only
        .address_space:  global
        .offset:         64
        .size:           8
        .value_kind:     global_buffer
      - .offset:         72
        .size:           8
        .value_kind:     by_value
      - .address_space:  global
        .offset:         80
        .size:           8
        .value_kind:     global_buffer
      - .offset:         88
        .size:           4
        .value_kind:     by_value
      - .offset:         92
        .size:           1
        .value_kind:     by_value
    .group_segment_fixed_size: 0
    .kernarg_segment_align: 8
    .kernarg_segment_size: 96
    .language:       OpenCL C
    .language_version:
      - 2
      - 0
    .max_flat_workgroup_size: 128
    .name:           _ZN9rocsparseL18bsrxmvn_4x4_kernelILj128ELj32Efii18rocsparse_bfloat16S1_fEEvT3_20rocsparse_direction_NS_24const_host_device_scalarIT1_EES2_PKS2_PKT2_SB_S8_PKT4_PKT5_S6_PT6_21rocsparse_index_base_b
    .private_segment_fixed_size: 0
    .sgpr_count:     20
    .sgpr_spill_count: 0
    .symbol:         _ZN9rocsparseL18bsrxmvn_4x4_kernelILj128ELj32Efii18rocsparse_bfloat16S1_fEEvT3_20rocsparse_direction_NS_24const_host_device_scalarIT1_EES2_PKS2_PKT2_SB_S8_PKT4_PKT5_S6_PT6_21rocsparse_index_base_b.kd
    .uniform_work_group_size: 1
    .uses_dynamic_stack: false
    .vgpr_count:     76
    .vgpr_spill_count: 0
    .wavefront_size: 32
  - .args:
      - .offset:         0
        .size:           4
        .value_kind:     by_value
      - .offset:         4
        .size:           4
        .value_kind:     by_value
      - .offset:         8
        .size:           8
        .value_kind:     by_value
      - .offset:         16
        .size:           4
        .value_kind:     by_value
      - .actual_access:  read_only
        .address_space:  global
        .offset:         24
        .size:           8
        .value_kind:     global_buffer
      - .actual_access:  read_only
        .address_space:  global
        .offset:         32
        .size:           8
        .value_kind:     global_buffer
      - .actual_access:  read_only
        .address_space:  global
        .offset:         40
        .size:           8
        .value_kind:     global_buffer
      - .actual_access:  read_only
        .address_space:  global
        .offset:         48
        .size:           8
        .value_kind:     global_buffer
      - .actual_access:  read_only
        .address_space:  global
        .offset:         56
        .size:           8
        .value_kind:     global_buffer
      - .actual_access:  read_only
        .address_space:  global
        .offset:         64
        .size:           8
        .value_kind:     global_buffer
      - .offset:         72
        .size:           8
        .value_kind:     by_value
      - .address_space:  global
        .offset:         80
        .size:           8
        .value_kind:     global_buffer
      - .offset:         88
        .size:           4
        .value_kind:     by_value
      - .offset:         92
        .size:           1
        .value_kind:     by_value
    .group_segment_fixed_size: 0
    .kernarg_segment_align: 8
    .kernarg_segment_size: 96
    .language:       OpenCL C
    .language_version:
      - 2
      - 0
    .max_flat_workgroup_size: 128
    .name:           _ZN9rocsparseL18bsrxmvn_4x4_kernelILj128ELj64Efii18rocsparse_bfloat16S1_fEEvT3_20rocsparse_direction_NS_24const_host_device_scalarIT1_EES2_PKS2_PKT2_SB_S8_PKT4_PKT5_S6_PT6_21rocsparse_index_base_b
    .private_segment_fixed_size: 0
    .sgpr_count:     20
    .sgpr_spill_count: 0
    .symbol:         _ZN9rocsparseL18bsrxmvn_4x4_kernelILj128ELj64Efii18rocsparse_bfloat16S1_fEEvT3_20rocsparse_direction_NS_24const_host_device_scalarIT1_EES2_PKS2_PKT2_SB_S8_PKT4_PKT5_S6_PT6_21rocsparse_index_base_b.kd
    .uniform_work_group_size: 1
    .uses_dynamic_stack: false
    .vgpr_count:     76
    .vgpr_spill_count: 0
    .wavefront_size: 32
  - .args:
      - .offset:         0
        .size:           4
        .value_kind:     by_value
      - .offset:         4
        .size:           4
        .value_kind:     by_value
      - .offset:         8
        .size:           8
        .value_kind:     by_value
      - .offset:         16
        .size:           4
        .value_kind:     by_value
      - .actual_access:  read_only
        .address_space:  global
        .offset:         24
        .size:           8
        .value_kind:     global_buffer
      - .actual_access:  read_only
        .address_space:  global
        .offset:         32
        .size:           8
        .value_kind:     global_buffer
      - .actual_access:  read_only
        .address_space:  global
        .offset:         40
        .size:           8
        .value_kind:     global_buffer
      - .actual_access:  read_only
        .address_space:  global
        .offset:         48
        .size:           8
        .value_kind:     global_buffer
      - .actual_access:  read_only
        .address_space:  global
        .offset:         56
        .size:           8
        .value_kind:     global_buffer
      - .actual_access:  read_only
        .address_space:  global
        .offset:         64
        .size:           8
        .value_kind:     global_buffer
      - .offset:         72
        .size:           8
        .value_kind:     by_value
      - .address_space:  global
        .offset:         80
        .size:           8
        .value_kind:     global_buffer
      - .offset:         88
        .size:           4
        .value_kind:     by_value
      - .offset:         92
        .size:           1
        .value_kind:     by_value
    .group_segment_fixed_size: 0
    .kernarg_segment_align: 8
    .kernarg_segment_size: 96
    .language:       OpenCL C
    .language_version:
      - 2
      - 0
    .max_flat_workgroup_size: 128
    .name:           _ZN9rocsparseL18bsrxmvn_4x4_kernelILj128ELj4Efli18rocsparse_bfloat16S1_fEEvT3_20rocsparse_direction_NS_24const_host_device_scalarIT1_EES2_PKS2_PKT2_SB_S8_PKT4_PKT5_S6_PT6_21rocsparse_index_base_b
    .private_segment_fixed_size: 0
    .sgpr_count:     20
    .sgpr_spill_count: 0
    .symbol:         _ZN9rocsparseL18bsrxmvn_4x4_kernelILj128ELj4Efli18rocsparse_bfloat16S1_fEEvT3_20rocsparse_direction_NS_24const_host_device_scalarIT1_EES2_PKS2_PKT2_SB_S8_PKT4_PKT5_S6_PT6_21rocsparse_index_base_b.kd
    .uniform_work_group_size: 1
    .uses_dynamic_stack: false
    .vgpr_count:     84
    .vgpr_spill_count: 0
    .wavefront_size: 32
  - .args:
      - .offset:         0
        .size:           4
        .value_kind:     by_value
      - .offset:         4
        .size:           4
        .value_kind:     by_value
      - .offset:         8
        .size:           8
        .value_kind:     by_value
      - .offset:         16
        .size:           4
        .value_kind:     by_value
      - .actual_access:  read_only
        .address_space:  global
        .offset:         24
        .size:           8
        .value_kind:     global_buffer
      - .actual_access:  read_only
        .address_space:  global
        .offset:         32
        .size:           8
        .value_kind:     global_buffer
      - .actual_access:  read_only
        .address_space:  global
        .offset:         40
        .size:           8
        .value_kind:     global_buffer
      - .actual_access:  read_only
        .address_space:  global
        .offset:         48
        .size:           8
        .value_kind:     global_buffer
      - .actual_access:  read_only
        .address_space:  global
        .offset:         56
        .size:           8
        .value_kind:     global_buffer
      - .actual_access:  read_only
        .address_space:  global
        .offset:         64
        .size:           8
        .value_kind:     global_buffer
      - .offset:         72
        .size:           8
        .value_kind:     by_value
      - .address_space:  global
        .offset:         80
        .size:           8
        .value_kind:     global_buffer
      - .offset:         88
        .size:           4
        .value_kind:     by_value
      - .offset:         92
        .size:           1
        .value_kind:     by_value
    .group_segment_fixed_size: 0
    .kernarg_segment_align: 8
    .kernarg_segment_size: 96
    .language:       OpenCL C
    .language_version:
      - 2
      - 0
    .max_flat_workgroup_size: 128
    .name:           _ZN9rocsparseL18bsrxmvn_4x4_kernelILj128ELj8Efli18rocsparse_bfloat16S1_fEEvT3_20rocsparse_direction_NS_24const_host_device_scalarIT1_EES2_PKS2_PKT2_SB_S8_PKT4_PKT5_S6_PT6_21rocsparse_index_base_b
    .private_segment_fixed_size: 0
    .sgpr_count:     20
    .sgpr_spill_count: 0
    .symbol:         _ZN9rocsparseL18bsrxmvn_4x4_kernelILj128ELj8Efli18rocsparse_bfloat16S1_fEEvT3_20rocsparse_direction_NS_24const_host_device_scalarIT1_EES2_PKS2_PKT2_SB_S8_PKT4_PKT5_S6_PT6_21rocsparse_index_base_b.kd
    .uniform_work_group_size: 1
    .uses_dynamic_stack: false
    .vgpr_count:     84
    .vgpr_spill_count: 0
    .wavefront_size: 32
  - .args:
      - .offset:         0
        .size:           4
        .value_kind:     by_value
      - .offset:         4
        .size:           4
        .value_kind:     by_value
      - .offset:         8
        .size:           8
        .value_kind:     by_value
      - .offset:         16
        .size:           4
        .value_kind:     by_value
      - .actual_access:  read_only
        .address_space:  global
        .offset:         24
        .size:           8
        .value_kind:     global_buffer
      - .actual_access:  read_only
        .address_space:  global
        .offset:         32
        .size:           8
        .value_kind:     global_buffer
      - .actual_access:  read_only
        .address_space:  global
        .offset:         40
        .size:           8
        .value_kind:     global_buffer
      - .actual_access:  read_only
        .address_space:  global
        .offset:         48
        .size:           8
        .value_kind:     global_buffer
      - .actual_access:  read_only
        .address_space:  global
        .offset:         56
        .size:           8
        .value_kind:     global_buffer
      - .actual_access:  read_only
        .address_space:  global
        .offset:         64
        .size:           8
        .value_kind:     global_buffer
      - .offset:         72
        .size:           8
        .value_kind:     by_value
      - .address_space:  global
        .offset:         80
        .size:           8
        .value_kind:     global_buffer
      - .offset:         88
        .size:           4
        .value_kind:     by_value
      - .offset:         92
        .size:           1
        .value_kind:     by_value
    .group_segment_fixed_size: 0
    .kernarg_segment_align: 8
    .kernarg_segment_size: 96
    .language:       OpenCL C
    .language_version:
      - 2
      - 0
    .max_flat_workgroup_size: 128
    .name:           _ZN9rocsparseL18bsrxmvn_4x4_kernelILj128ELj16Efli18rocsparse_bfloat16S1_fEEvT3_20rocsparse_direction_NS_24const_host_device_scalarIT1_EES2_PKS2_PKT2_SB_S8_PKT4_PKT5_S6_PT6_21rocsparse_index_base_b
    .private_segment_fixed_size: 0
    .sgpr_count:     20
    .sgpr_spill_count: 0
    .symbol:         _ZN9rocsparseL18bsrxmvn_4x4_kernelILj128ELj16Efli18rocsparse_bfloat16S1_fEEvT3_20rocsparse_direction_NS_24const_host_device_scalarIT1_EES2_PKS2_PKT2_SB_S8_PKT4_PKT5_S6_PT6_21rocsparse_index_base_b.kd
    .uniform_work_group_size: 1
    .uses_dynamic_stack: false
    .vgpr_count:     84
    .vgpr_spill_count: 0
    .wavefront_size: 32
  - .args:
      - .offset:         0
        .size:           4
        .value_kind:     by_value
      - .offset:         4
        .size:           4
        .value_kind:     by_value
      - .offset:         8
        .size:           8
        .value_kind:     by_value
      - .offset:         16
        .size:           4
        .value_kind:     by_value
      - .actual_access:  read_only
        .address_space:  global
        .offset:         24
        .size:           8
        .value_kind:     global_buffer
      - .actual_access:  read_only
        .address_space:  global
        .offset:         32
        .size:           8
        .value_kind:     global_buffer
      - .actual_access:  read_only
        .address_space:  global
        .offset:         40
        .size:           8
        .value_kind:     global_buffer
      - .actual_access:  read_only
        .address_space:  global
        .offset:         48
        .size:           8
        .value_kind:     global_buffer
      - .actual_access:  read_only
        .address_space:  global
        .offset:         56
        .size:           8
        .value_kind:     global_buffer
      - .actual_access:  read_only
        .address_space:  global
        .offset:         64
        .size:           8
        .value_kind:     global_buffer
      - .offset:         72
        .size:           8
        .value_kind:     by_value
      - .address_space:  global
        .offset:         80
        .size:           8
        .value_kind:     global_buffer
      - .offset:         88
        .size:           4
        .value_kind:     by_value
      - .offset:         92
        .size:           1
        .value_kind:     by_value
    .group_segment_fixed_size: 0
    .kernarg_segment_align: 8
    .kernarg_segment_size: 96
    .language:       OpenCL C
    .language_version:
      - 2
      - 0
    .max_flat_workgroup_size: 128
    .name:           _ZN9rocsparseL18bsrxmvn_4x4_kernelILj128ELj32Efli18rocsparse_bfloat16S1_fEEvT3_20rocsparse_direction_NS_24const_host_device_scalarIT1_EES2_PKS2_PKT2_SB_S8_PKT4_PKT5_S6_PT6_21rocsparse_index_base_b
    .private_segment_fixed_size: 0
    .sgpr_count:     20
    .sgpr_spill_count: 0
    .symbol:         _ZN9rocsparseL18bsrxmvn_4x4_kernelILj128ELj32Efli18rocsparse_bfloat16S1_fEEvT3_20rocsparse_direction_NS_24const_host_device_scalarIT1_EES2_PKS2_PKT2_SB_S8_PKT4_PKT5_S6_PT6_21rocsparse_index_base_b.kd
    .uniform_work_group_size: 1
    .uses_dynamic_stack: false
    .vgpr_count:     84
    .vgpr_spill_count: 0
    .wavefront_size: 32
  - .args:
      - .offset:         0
        .size:           4
        .value_kind:     by_value
      - .offset:         4
        .size:           4
        .value_kind:     by_value
      - .offset:         8
        .size:           8
        .value_kind:     by_value
      - .offset:         16
        .size:           4
        .value_kind:     by_value
      - .actual_access:  read_only
        .address_space:  global
        .offset:         24
        .size:           8
        .value_kind:     global_buffer
      - .actual_access:  read_only
        .address_space:  global
        .offset:         32
        .size:           8
        .value_kind:     global_buffer
      - .actual_access:  read_only
        .address_space:  global
        .offset:         40
        .size:           8
        .value_kind:     global_buffer
      - .actual_access:  read_only
        .address_space:  global
        .offset:         48
        .size:           8
        .value_kind:     global_buffer
      - .actual_access:  read_only
        .address_space:  global
        .offset:         56
        .size:           8
        .value_kind:     global_buffer
      - .actual_access:  read_only
        .address_space:  global
        .offset:         64
        .size:           8
        .value_kind:     global_buffer
      - .offset:         72
        .size:           8
        .value_kind:     by_value
      - .address_space:  global
        .offset:         80
        .size:           8
        .value_kind:     global_buffer
      - .offset:         88
        .size:           4
        .value_kind:     by_value
      - .offset:         92
        .size:           1
        .value_kind:     by_value
    .group_segment_fixed_size: 0
    .kernarg_segment_align: 8
    .kernarg_segment_size: 96
    .language:       OpenCL C
    .language_version:
      - 2
      - 0
    .max_flat_workgroup_size: 128
    .name:           _ZN9rocsparseL18bsrxmvn_4x4_kernelILj128ELj64Efli18rocsparse_bfloat16S1_fEEvT3_20rocsparse_direction_NS_24const_host_device_scalarIT1_EES2_PKS2_PKT2_SB_S8_PKT4_PKT5_S6_PT6_21rocsparse_index_base_b
    .private_segment_fixed_size: 0
    .sgpr_count:     20
    .sgpr_spill_count: 0
    .symbol:         _ZN9rocsparseL18bsrxmvn_4x4_kernelILj128ELj64Efli18rocsparse_bfloat16S1_fEEvT3_20rocsparse_direction_NS_24const_host_device_scalarIT1_EES2_PKS2_PKT2_SB_S8_PKT4_PKT5_S6_PT6_21rocsparse_index_base_b.kd
    .uniform_work_group_size: 1
    .uses_dynamic_stack: false
    .vgpr_count:     84
    .vgpr_spill_count: 0
    .wavefront_size: 32
  - .args:
      - .offset:         0
        .size:           8
        .value_kind:     by_value
      - .offset:         8
        .size:           4
        .value_kind:     by_value
      - .offset:         16
        .size:           8
        .value_kind:     by_value
      - .offset:         24
        .size:           8
        .value_kind:     by_value
      - .actual_access:  read_only
        .address_space:  global
        .offset:         32
        .size:           8
        .value_kind:     global_buffer
      - .actual_access:  read_only
        .address_space:  global
        .offset:         40
        .size:           8
        .value_kind:     global_buffer
      - .actual_access:  read_only
        .address_space:  global
        .offset:         48
        .size:           8
        .value_kind:     global_buffer
      - .actual_access:  read_only
        .address_space:  global
        .offset:         56
        .size:           8
        .value_kind:     global_buffer
      - .actual_access:  read_only
        .address_space:  global
        .offset:         64
        .size:           8
        .value_kind:     global_buffer
      - .actual_access:  read_only
        .address_space:  global
        .offset:         72
        .size:           8
        .value_kind:     global_buffer
      - .offset:         80
        .size:           8
        .value_kind:     by_value
      - .address_space:  global
        .offset:         88
        .size:           8
        .value_kind:     global_buffer
      - .offset:         96
        .size:           4
        .value_kind:     by_value
      - .offset:         100
        .size:           1
        .value_kind:     by_value
    .group_segment_fixed_size: 0
    .kernarg_segment_align: 8
    .kernarg_segment_size: 104
    .language:       OpenCL C
    .language_version:
      - 2
      - 0
    .max_flat_workgroup_size: 128
    .name:           _ZN9rocsparseL18bsrxmvn_4x4_kernelILj128ELj4Efll18rocsparse_bfloat16S1_fEEvT3_20rocsparse_direction_NS_24const_host_device_scalarIT1_EES2_PKS2_PKT2_SB_S8_PKT4_PKT5_S6_PT6_21rocsparse_index_base_b
    .private_segment_fixed_size: 0
    .sgpr_count:     20
    .sgpr_spill_count: 0
    .symbol:         _ZN9rocsparseL18bsrxmvn_4x4_kernelILj128ELj4Efll18rocsparse_bfloat16S1_fEEvT3_20rocsparse_direction_NS_24const_host_device_scalarIT1_EES2_PKS2_PKT2_SB_S8_PKT4_PKT5_S6_PT6_21rocsparse_index_base_b.kd
    .uniform_work_group_size: 1
    .uses_dynamic_stack: false
    .vgpr_count:     86
    .vgpr_spill_count: 0
    .wavefront_size: 32
  - .args:
      - .offset:         0
        .size:           8
        .value_kind:     by_value
      - .offset:         8
        .size:           4
        .value_kind:     by_value
      - .offset:         16
        .size:           8
        .value_kind:     by_value
      - .offset:         24
        .size:           8
        .value_kind:     by_value
      - .actual_access:  read_only
        .address_space:  global
        .offset:         32
        .size:           8
        .value_kind:     global_buffer
      - .actual_access:  read_only
        .address_space:  global
        .offset:         40
        .size:           8
        .value_kind:     global_buffer
      - .actual_access:  read_only
        .address_space:  global
        .offset:         48
        .size:           8
        .value_kind:     global_buffer
      - .actual_access:  read_only
        .address_space:  global
        .offset:         56
        .size:           8
        .value_kind:     global_buffer
      - .actual_access:  read_only
        .address_space:  global
        .offset:         64
        .size:           8
        .value_kind:     global_buffer
      - .actual_access:  read_only
        .address_space:  global
        .offset:         72
        .size:           8
        .value_kind:     global_buffer
      - .offset:         80
        .size:           8
        .value_kind:     by_value
      - .address_space:  global
        .offset:         88
        .size:           8
        .value_kind:     global_buffer
      - .offset:         96
        .size:           4
        .value_kind:     by_value
      - .offset:         100
        .size:           1
        .value_kind:     by_value
    .group_segment_fixed_size: 0
    .kernarg_segment_align: 8
    .kernarg_segment_size: 104
    .language:       OpenCL C
    .language_version:
      - 2
      - 0
    .max_flat_workgroup_size: 128
    .name:           _ZN9rocsparseL18bsrxmvn_4x4_kernelILj128ELj8Efll18rocsparse_bfloat16S1_fEEvT3_20rocsparse_direction_NS_24const_host_device_scalarIT1_EES2_PKS2_PKT2_SB_S8_PKT4_PKT5_S6_PT6_21rocsparse_index_base_b
    .private_segment_fixed_size: 0
    .sgpr_count:     20
    .sgpr_spill_count: 0
    .symbol:         _ZN9rocsparseL18bsrxmvn_4x4_kernelILj128ELj8Efll18rocsparse_bfloat16S1_fEEvT3_20rocsparse_direction_NS_24const_host_device_scalarIT1_EES2_PKS2_PKT2_SB_S8_PKT4_PKT5_S6_PT6_21rocsparse_index_base_b.kd
    .uniform_work_group_size: 1
    .uses_dynamic_stack: false
    .vgpr_count:     86
    .vgpr_spill_count: 0
    .wavefront_size: 32
  - .args:
      - .offset:         0
        .size:           8
        .value_kind:     by_value
      - .offset:         8
        .size:           4
        .value_kind:     by_value
      - .offset:         16
        .size:           8
        .value_kind:     by_value
      - .offset:         24
        .size:           8
        .value_kind:     by_value
      - .actual_access:  read_only
        .address_space:  global
        .offset:         32
        .size:           8
        .value_kind:     global_buffer
      - .actual_access:  read_only
        .address_space:  global
        .offset:         40
        .size:           8
        .value_kind:     global_buffer
      - .actual_access:  read_only
        .address_space:  global
        .offset:         48
        .size:           8
        .value_kind:     global_buffer
      - .actual_access:  read_only
        .address_space:  global
        .offset:         56
        .size:           8
        .value_kind:     global_buffer
      - .actual_access:  read_only
        .address_space:  global
        .offset:         64
        .size:           8
        .value_kind:     global_buffer
      - .actual_access:  read_only
        .address_space:  global
        .offset:         72
        .size:           8
        .value_kind:     global_buffer
      - .offset:         80
        .size:           8
        .value_kind:     by_value
      - .address_space:  global
        .offset:         88
        .size:           8
        .value_kind:     global_buffer
      - .offset:         96
        .size:           4
        .value_kind:     by_value
      - .offset:         100
        .size:           1
        .value_kind:     by_value
    .group_segment_fixed_size: 0
    .kernarg_segment_align: 8
    .kernarg_segment_size: 104
    .language:       OpenCL C
    .language_version:
      - 2
      - 0
    .max_flat_workgroup_size: 128
    .name:           _ZN9rocsparseL18bsrxmvn_4x4_kernelILj128ELj16Efll18rocsparse_bfloat16S1_fEEvT3_20rocsparse_direction_NS_24const_host_device_scalarIT1_EES2_PKS2_PKT2_SB_S8_PKT4_PKT5_S6_PT6_21rocsparse_index_base_b
    .private_segment_fixed_size: 0
    .sgpr_count:     20
    .sgpr_spill_count: 0
    .symbol:         _ZN9rocsparseL18bsrxmvn_4x4_kernelILj128ELj16Efll18rocsparse_bfloat16S1_fEEvT3_20rocsparse_direction_NS_24const_host_device_scalarIT1_EES2_PKS2_PKT2_SB_S8_PKT4_PKT5_S6_PT6_21rocsparse_index_base_b.kd
    .uniform_work_group_size: 1
    .uses_dynamic_stack: false
    .vgpr_count:     86
    .vgpr_spill_count: 0
    .wavefront_size: 32
  - .args:
      - .offset:         0
        .size:           8
        .value_kind:     by_value
      - .offset:         8
        .size:           4
        .value_kind:     by_value
      - .offset:         16
        .size:           8
        .value_kind:     by_value
      - .offset:         24
        .size:           8
        .value_kind:     by_value
      - .actual_access:  read_only
        .address_space:  global
        .offset:         32
        .size:           8
        .value_kind:     global_buffer
      - .actual_access:  read_only
        .address_space:  global
        .offset:         40
        .size:           8
        .value_kind:     global_buffer
      - .actual_access:  read_only
        .address_space:  global
        .offset:         48
        .size:           8
        .value_kind:     global_buffer
      - .actual_access:  read_only
        .address_space:  global
        .offset:         56
        .size:           8
        .value_kind:     global_buffer
      - .actual_access:  read_only
        .address_space:  global
        .offset:         64
        .size:           8
        .value_kind:     global_buffer
      - .actual_access:  read_only
        .address_space:  global
        .offset:         72
        .size:           8
        .value_kind:     global_buffer
      - .offset:         80
        .size:           8
        .value_kind:     by_value
      - .address_space:  global
        .offset:         88
        .size:           8
        .value_kind:     global_buffer
      - .offset:         96
        .size:           4
        .value_kind:     by_value
      - .offset:         100
        .size:           1
        .value_kind:     by_value
    .group_segment_fixed_size: 0
    .kernarg_segment_align: 8
    .kernarg_segment_size: 104
    .language:       OpenCL C
    .language_version:
      - 2
      - 0
    .max_flat_workgroup_size: 128
    .name:           _ZN9rocsparseL18bsrxmvn_4x4_kernelILj128ELj32Efll18rocsparse_bfloat16S1_fEEvT3_20rocsparse_direction_NS_24const_host_device_scalarIT1_EES2_PKS2_PKT2_SB_S8_PKT4_PKT5_S6_PT6_21rocsparse_index_base_b
    .private_segment_fixed_size: 0
    .sgpr_count:     20
    .sgpr_spill_count: 0
    .symbol:         _ZN9rocsparseL18bsrxmvn_4x4_kernelILj128ELj32Efll18rocsparse_bfloat16S1_fEEvT3_20rocsparse_direction_NS_24const_host_device_scalarIT1_EES2_PKS2_PKT2_SB_S8_PKT4_PKT5_S6_PT6_21rocsparse_index_base_b.kd
    .uniform_work_group_size: 1
    .uses_dynamic_stack: false
    .vgpr_count:     86
    .vgpr_spill_count: 0
    .wavefront_size: 32
  - .args:
      - .offset:         0
        .size:           8
        .value_kind:     by_value
      - .offset:         8
        .size:           4
        .value_kind:     by_value
      - .offset:         16
        .size:           8
        .value_kind:     by_value
      - .offset:         24
        .size:           8
        .value_kind:     by_value
      - .actual_access:  read_only
        .address_space:  global
        .offset:         32
        .size:           8
        .value_kind:     global_buffer
      - .actual_access:  read_only
        .address_space:  global
        .offset:         40
        .size:           8
        .value_kind:     global_buffer
      - .actual_access:  read_only
        .address_space:  global
        .offset:         48
        .size:           8
        .value_kind:     global_buffer
      - .actual_access:  read_only
        .address_space:  global
        .offset:         56
        .size:           8
        .value_kind:     global_buffer
      - .actual_access:  read_only
        .address_space:  global
        .offset:         64
        .size:           8
        .value_kind:     global_buffer
      - .actual_access:  read_only
        .address_space:  global
        .offset:         72
        .size:           8
        .value_kind:     global_buffer
      - .offset:         80
        .size:           8
        .value_kind:     by_value
      - .address_space:  global
        .offset:         88
        .size:           8
        .value_kind:     global_buffer
      - .offset:         96
        .size:           4
        .value_kind:     by_value
      - .offset:         100
        .size:           1
        .value_kind:     by_value
    .group_segment_fixed_size: 0
    .kernarg_segment_align: 8
    .kernarg_segment_size: 104
    .language:       OpenCL C
    .language_version:
      - 2
      - 0
    .max_flat_workgroup_size: 128
    .name:           _ZN9rocsparseL18bsrxmvn_4x4_kernelILj128ELj64Efll18rocsparse_bfloat16S1_fEEvT3_20rocsparse_direction_NS_24const_host_device_scalarIT1_EES2_PKS2_PKT2_SB_S8_PKT4_PKT5_S6_PT6_21rocsparse_index_base_b
    .private_segment_fixed_size: 0
    .sgpr_count:     20
    .sgpr_spill_count: 0
    .symbol:         _ZN9rocsparseL18bsrxmvn_4x4_kernelILj128ELj64Efll18rocsparse_bfloat16S1_fEEvT3_20rocsparse_direction_NS_24const_host_device_scalarIT1_EES2_PKS2_PKT2_SB_S8_PKT4_PKT5_S6_PT6_21rocsparse_index_base_b.kd
    .uniform_work_group_size: 1
    .uses_dynamic_stack: false
    .vgpr_count:     86
    .vgpr_spill_count: 0
    .wavefront_size: 32
  - .args:
      - .offset:         0
        .size:           4
        .value_kind:     by_value
      - .offset:         4
        .size:           4
        .value_kind:     by_value
      - .offset:         8
        .size:           8
        .value_kind:     by_value
      - .offset:         16
        .size:           4
        .value_kind:     by_value
      - .actual_access:  read_only
        .address_space:  global
        .offset:         24
        .size:           8
        .value_kind:     global_buffer
      - .actual_access:  read_only
        .address_space:  global
        .offset:         32
        .size:           8
        .value_kind:     global_buffer
      - .actual_access:  read_only
        .address_space:  global
        .offset:         40
        .size:           8
        .value_kind:     global_buffer
      - .actual_access:  read_only
        .address_space:  global
        .offset:         48
        .size:           8
        .value_kind:     global_buffer
      - .actual_access:  read_only
        .address_space:  global
        .offset:         56
        .size:           8
        .value_kind:     global_buffer
      - .actual_access:  read_only
        .address_space:  global
        .offset:         64
        .size:           8
        .value_kind:     global_buffer
      - .offset:         72
        .size:           8
        .value_kind:     by_value
      - .address_space:  global
        .offset:         80
        .size:           8
        .value_kind:     global_buffer
      - .offset:         88
        .size:           4
        .value_kind:     by_value
      - .offset:         92
        .size:           1
        .value_kind:     by_value
    .group_segment_fixed_size: 0
    .kernarg_segment_align: 8
    .kernarg_segment_size: 96
    .language:       OpenCL C
    .language_version:
      - 2
      - 0
    .max_flat_workgroup_size: 128
    .name:           _ZN9rocsparseL18bsrxmvn_4x4_kernelILj128ELj4E21rocsparse_complex_numIfEiifS2_S2_EEvT3_20rocsparse_direction_NS_24const_host_device_scalarIT1_EES3_PKS3_PKT2_SC_S9_PKT4_PKT5_S7_PT6_21rocsparse_index_base_b
    .private_segment_fixed_size: 0
    .sgpr_count:     18
    .sgpr_spill_count: 0
    .symbol:         _ZN9rocsparseL18bsrxmvn_4x4_kernelILj128ELj4E21rocsparse_complex_numIfEiifS2_S2_EEvT3_20rocsparse_direction_NS_24const_host_device_scalarIT1_EES3_PKS3_PKT2_SC_S9_PKT4_PKT5_S7_PT6_21rocsparse_index_base_b.kd
    .uniform_work_group_size: 1
    .uses_dynamic_stack: false
    .vgpr_count:     74
    .vgpr_spill_count: 0
    .wavefront_size: 32
  - .args:
      - .offset:         0
        .size:           4
        .value_kind:     by_value
      - .offset:         4
        .size:           4
        .value_kind:     by_value
      - .offset:         8
        .size:           8
        .value_kind:     by_value
      - .offset:         16
        .size:           4
        .value_kind:     by_value
      - .actual_access:  read_only
        .address_space:  global
        .offset:         24
        .size:           8
        .value_kind:     global_buffer
      - .actual_access:  read_only
        .address_space:  global
        .offset:         32
        .size:           8
        .value_kind:     global_buffer
      - .actual_access:  read_only
        .address_space:  global
        .offset:         40
        .size:           8
        .value_kind:     global_buffer
      - .actual_access:  read_only
        .address_space:  global
        .offset:         48
        .size:           8
        .value_kind:     global_buffer
      - .actual_access:  read_only
        .address_space:  global
        .offset:         56
        .size:           8
        .value_kind:     global_buffer
      - .actual_access:  read_only
        .address_space:  global
        .offset:         64
        .size:           8
        .value_kind:     global_buffer
      - .offset:         72
        .size:           8
        .value_kind:     by_value
      - .address_space:  global
        .offset:         80
        .size:           8
        .value_kind:     global_buffer
      - .offset:         88
        .size:           4
        .value_kind:     by_value
      - .offset:         92
        .size:           1
        .value_kind:     by_value
    .group_segment_fixed_size: 0
    .kernarg_segment_align: 8
    .kernarg_segment_size: 96
    .language:       OpenCL C
    .language_version:
      - 2
      - 0
    .max_flat_workgroup_size: 128
    .name:           _ZN9rocsparseL18bsrxmvn_4x4_kernelILj128ELj8E21rocsparse_complex_numIfEiifS2_S2_EEvT3_20rocsparse_direction_NS_24const_host_device_scalarIT1_EES3_PKS3_PKT2_SC_S9_PKT4_PKT5_S7_PT6_21rocsparse_index_base_b
    .private_segment_fixed_size: 0
    .sgpr_count:     18
    .sgpr_spill_count: 0
    .symbol:         _ZN9rocsparseL18bsrxmvn_4x4_kernelILj128ELj8E21rocsparse_complex_numIfEiifS2_S2_EEvT3_20rocsparse_direction_NS_24const_host_device_scalarIT1_EES3_PKS3_PKT2_SC_S9_PKT4_PKT5_S7_PT6_21rocsparse_index_base_b.kd
    .uniform_work_group_size: 1
    .uses_dynamic_stack: false
    .vgpr_count:     74
    .vgpr_spill_count: 0
    .wavefront_size: 32
  - .args:
      - .offset:         0
        .size:           4
        .value_kind:     by_value
      - .offset:         4
        .size:           4
        .value_kind:     by_value
      - .offset:         8
        .size:           8
        .value_kind:     by_value
      - .offset:         16
        .size:           4
        .value_kind:     by_value
      - .actual_access:  read_only
        .address_space:  global
        .offset:         24
        .size:           8
        .value_kind:     global_buffer
      - .actual_access:  read_only
        .address_space:  global
        .offset:         32
        .size:           8
        .value_kind:     global_buffer
      - .actual_access:  read_only
        .address_space:  global
        .offset:         40
        .size:           8
        .value_kind:     global_buffer
      - .actual_access:  read_only
        .address_space:  global
        .offset:         48
        .size:           8
        .value_kind:     global_buffer
      - .actual_access:  read_only
        .address_space:  global
        .offset:         56
        .size:           8
        .value_kind:     global_buffer
      - .actual_access:  read_only
        .address_space:  global
        .offset:         64
        .size:           8
        .value_kind:     global_buffer
      - .offset:         72
        .size:           8
        .value_kind:     by_value
      - .address_space:  global
        .offset:         80
        .size:           8
        .value_kind:     global_buffer
      - .offset:         88
        .size:           4
        .value_kind:     by_value
      - .offset:         92
        .size:           1
        .value_kind:     by_value
    .group_segment_fixed_size: 0
    .kernarg_segment_align: 8
    .kernarg_segment_size: 96
    .language:       OpenCL C
    .language_version:
      - 2
      - 0
    .max_flat_workgroup_size: 128
    .name:           _ZN9rocsparseL18bsrxmvn_4x4_kernelILj128ELj16E21rocsparse_complex_numIfEiifS2_S2_EEvT3_20rocsparse_direction_NS_24const_host_device_scalarIT1_EES3_PKS3_PKT2_SC_S9_PKT4_PKT5_S7_PT6_21rocsparse_index_base_b
    .private_segment_fixed_size: 0
    .sgpr_count:     18
    .sgpr_spill_count: 0
    .symbol:         _ZN9rocsparseL18bsrxmvn_4x4_kernelILj128ELj16E21rocsparse_complex_numIfEiifS2_S2_EEvT3_20rocsparse_direction_NS_24const_host_device_scalarIT1_EES3_PKS3_PKT2_SC_S9_PKT4_PKT5_S7_PT6_21rocsparse_index_base_b.kd
    .uniform_work_group_size: 1
    .uses_dynamic_stack: false
    .vgpr_count:     74
    .vgpr_spill_count: 0
    .wavefront_size: 32
  - .args:
      - .offset:         0
        .size:           4
        .value_kind:     by_value
      - .offset:         4
        .size:           4
        .value_kind:     by_value
      - .offset:         8
        .size:           8
        .value_kind:     by_value
      - .offset:         16
        .size:           4
        .value_kind:     by_value
      - .actual_access:  read_only
        .address_space:  global
        .offset:         24
        .size:           8
        .value_kind:     global_buffer
      - .actual_access:  read_only
        .address_space:  global
        .offset:         32
        .size:           8
        .value_kind:     global_buffer
      - .actual_access:  read_only
        .address_space:  global
        .offset:         40
        .size:           8
        .value_kind:     global_buffer
      - .actual_access:  read_only
        .address_space:  global
        .offset:         48
        .size:           8
        .value_kind:     global_buffer
      - .actual_access:  read_only
        .address_space:  global
        .offset:         56
        .size:           8
        .value_kind:     global_buffer
      - .actual_access:  read_only
        .address_space:  global
        .offset:         64
        .size:           8
        .value_kind:     global_buffer
      - .offset:         72
        .size:           8
        .value_kind:     by_value
      - .address_space:  global
        .offset:         80
        .size:           8
        .value_kind:     global_buffer
      - .offset:         88
        .size:           4
        .value_kind:     by_value
      - .offset:         92
        .size:           1
        .value_kind:     by_value
    .group_segment_fixed_size: 0
    .kernarg_segment_align: 8
    .kernarg_segment_size: 96
    .language:       OpenCL C
    .language_version:
      - 2
      - 0
    .max_flat_workgroup_size: 128
    .name:           _ZN9rocsparseL18bsrxmvn_4x4_kernelILj128ELj32E21rocsparse_complex_numIfEiifS2_S2_EEvT3_20rocsparse_direction_NS_24const_host_device_scalarIT1_EES3_PKS3_PKT2_SC_S9_PKT4_PKT5_S7_PT6_21rocsparse_index_base_b
    .private_segment_fixed_size: 0
    .sgpr_count:     18
    .sgpr_spill_count: 0
    .symbol:         _ZN9rocsparseL18bsrxmvn_4x4_kernelILj128ELj32E21rocsparse_complex_numIfEiifS2_S2_EEvT3_20rocsparse_direction_NS_24const_host_device_scalarIT1_EES3_PKS3_PKT2_SC_S9_PKT4_PKT5_S7_PT6_21rocsparse_index_base_b.kd
    .uniform_work_group_size: 1
    .uses_dynamic_stack: false
    .vgpr_count:     74
    .vgpr_spill_count: 0
    .wavefront_size: 32
  - .args:
      - .offset:         0
        .size:           4
        .value_kind:     by_value
      - .offset:         4
        .size:           4
        .value_kind:     by_value
      - .offset:         8
        .size:           8
        .value_kind:     by_value
      - .offset:         16
        .size:           4
        .value_kind:     by_value
      - .actual_access:  read_only
        .address_space:  global
        .offset:         24
        .size:           8
        .value_kind:     global_buffer
      - .actual_access:  read_only
        .address_space:  global
        .offset:         32
        .size:           8
        .value_kind:     global_buffer
      - .actual_access:  read_only
        .address_space:  global
        .offset:         40
        .size:           8
        .value_kind:     global_buffer
      - .actual_access:  read_only
        .address_space:  global
        .offset:         48
        .size:           8
        .value_kind:     global_buffer
      - .actual_access:  read_only
        .address_space:  global
        .offset:         56
        .size:           8
        .value_kind:     global_buffer
      - .actual_access:  read_only
        .address_space:  global
        .offset:         64
        .size:           8
        .value_kind:     global_buffer
      - .offset:         72
        .size:           8
        .value_kind:     by_value
      - .address_space:  global
        .offset:         80
        .size:           8
        .value_kind:     global_buffer
      - .offset:         88
        .size:           4
        .value_kind:     by_value
      - .offset:         92
        .size:           1
        .value_kind:     by_value
    .group_segment_fixed_size: 0
    .kernarg_segment_align: 8
    .kernarg_segment_size: 96
    .language:       OpenCL C
    .language_version:
      - 2
      - 0
    .max_flat_workgroup_size: 128
    .name:           _ZN9rocsparseL18bsrxmvn_4x4_kernelILj128ELj64E21rocsparse_complex_numIfEiifS2_S2_EEvT3_20rocsparse_direction_NS_24const_host_device_scalarIT1_EES3_PKS3_PKT2_SC_S9_PKT4_PKT5_S7_PT6_21rocsparse_index_base_b
    .private_segment_fixed_size: 0
    .sgpr_count:     18
    .sgpr_spill_count: 0
    .symbol:         _ZN9rocsparseL18bsrxmvn_4x4_kernelILj128ELj64E21rocsparse_complex_numIfEiifS2_S2_EEvT3_20rocsparse_direction_NS_24const_host_device_scalarIT1_EES3_PKS3_PKT2_SC_S9_PKT4_PKT5_S7_PT6_21rocsparse_index_base_b.kd
    .uniform_work_group_size: 1
    .uses_dynamic_stack: false
    .vgpr_count:     74
    .vgpr_spill_count: 0
    .wavefront_size: 32
  - .args:
      - .offset:         0
        .size:           4
        .value_kind:     by_value
      - .offset:         4
        .size:           4
        .value_kind:     by_value
      - .offset:         8
        .size:           8
        .value_kind:     by_value
      - .offset:         16
        .size:           4
        .value_kind:     by_value
      - .actual_access:  read_only
        .address_space:  global
        .offset:         24
        .size:           8
        .value_kind:     global_buffer
      - .actual_access:  read_only
        .address_space:  global
        .offset:         32
        .size:           8
        .value_kind:     global_buffer
      - .actual_access:  read_only
        .address_space:  global
        .offset:         40
        .size:           8
        .value_kind:     global_buffer
      - .actual_access:  read_only
        .address_space:  global
        .offset:         48
        .size:           8
        .value_kind:     global_buffer
      - .actual_access:  read_only
        .address_space:  global
        .offset:         56
        .size:           8
        .value_kind:     global_buffer
      - .actual_access:  read_only
        .address_space:  global
        .offset:         64
        .size:           8
        .value_kind:     global_buffer
      - .offset:         72
        .size:           8
        .value_kind:     by_value
      - .address_space:  global
        .offset:         80
        .size:           8
        .value_kind:     global_buffer
      - .offset:         88
        .size:           4
        .value_kind:     by_value
      - .offset:         92
        .size:           1
        .value_kind:     by_value
    .group_segment_fixed_size: 0
    .kernarg_segment_align: 8
    .kernarg_segment_size: 96
    .language:       OpenCL C
    .language_version:
      - 2
      - 0
    .max_flat_workgroup_size: 128
    .name:           _ZN9rocsparseL18bsrxmvn_4x4_kernelILj128ELj4E21rocsparse_complex_numIfElifS2_S2_EEvT3_20rocsparse_direction_NS_24const_host_device_scalarIT1_EES3_PKS3_PKT2_SC_S9_PKT4_PKT5_S7_PT6_21rocsparse_index_base_b
    .private_segment_fixed_size: 0
    .sgpr_count:     18
    .sgpr_spill_count: 0
    .symbol:         _ZN9rocsparseL18bsrxmvn_4x4_kernelILj128ELj4E21rocsparse_complex_numIfElifS2_S2_EEvT3_20rocsparse_direction_NS_24const_host_device_scalarIT1_EES3_PKS3_PKT2_SC_S9_PKT4_PKT5_S7_PT6_21rocsparse_index_base_b.kd
    .uniform_work_group_size: 1
    .uses_dynamic_stack: false
    .vgpr_count:     98
    .vgpr_spill_count: 0
    .wavefront_size: 32
  - .args:
      - .offset:         0
        .size:           4
        .value_kind:     by_value
      - .offset:         4
        .size:           4
        .value_kind:     by_value
      - .offset:         8
        .size:           8
        .value_kind:     by_value
      - .offset:         16
        .size:           4
        .value_kind:     by_value
      - .actual_access:  read_only
        .address_space:  global
        .offset:         24
        .size:           8
        .value_kind:     global_buffer
      - .actual_access:  read_only
        .address_space:  global
        .offset:         32
        .size:           8
        .value_kind:     global_buffer
      - .actual_access:  read_only
        .address_space:  global
        .offset:         40
        .size:           8
        .value_kind:     global_buffer
      - .actual_access:  read_only
        .address_space:  global
        .offset:         48
        .size:           8
        .value_kind:     global_buffer
      - .actual_access:  read_only
        .address_space:  global
        .offset:         56
        .size:           8
        .value_kind:     global_buffer
      - .actual_access:  read_only
        .address_space:  global
        .offset:         64
        .size:           8
        .value_kind:     global_buffer
      - .offset:         72
        .size:           8
        .value_kind:     by_value
      - .address_space:  global
        .offset:         80
        .size:           8
        .value_kind:     global_buffer
      - .offset:         88
        .size:           4
        .value_kind:     by_value
      - .offset:         92
        .size:           1
        .value_kind:     by_value
    .group_segment_fixed_size: 0
    .kernarg_segment_align: 8
    .kernarg_segment_size: 96
    .language:       OpenCL C
    .language_version:
      - 2
      - 0
    .max_flat_workgroup_size: 128
    .name:           _ZN9rocsparseL18bsrxmvn_4x4_kernelILj128ELj8E21rocsparse_complex_numIfElifS2_S2_EEvT3_20rocsparse_direction_NS_24const_host_device_scalarIT1_EES3_PKS3_PKT2_SC_S9_PKT4_PKT5_S7_PT6_21rocsparse_index_base_b
    .private_segment_fixed_size: 0
    .sgpr_count:     18
    .sgpr_spill_count: 0
    .symbol:         _ZN9rocsparseL18bsrxmvn_4x4_kernelILj128ELj8E21rocsparse_complex_numIfElifS2_S2_EEvT3_20rocsparse_direction_NS_24const_host_device_scalarIT1_EES3_PKS3_PKT2_SC_S9_PKT4_PKT5_S7_PT6_21rocsparse_index_base_b.kd
    .uniform_work_group_size: 1
    .uses_dynamic_stack: false
    .vgpr_count:     98
    .vgpr_spill_count: 0
    .wavefront_size: 32
  - .args:
      - .offset:         0
        .size:           4
        .value_kind:     by_value
      - .offset:         4
        .size:           4
        .value_kind:     by_value
      - .offset:         8
        .size:           8
        .value_kind:     by_value
      - .offset:         16
        .size:           4
        .value_kind:     by_value
      - .actual_access:  read_only
        .address_space:  global
        .offset:         24
        .size:           8
        .value_kind:     global_buffer
      - .actual_access:  read_only
        .address_space:  global
        .offset:         32
        .size:           8
        .value_kind:     global_buffer
      - .actual_access:  read_only
        .address_space:  global
        .offset:         40
        .size:           8
        .value_kind:     global_buffer
      - .actual_access:  read_only
        .address_space:  global
        .offset:         48
        .size:           8
        .value_kind:     global_buffer
      - .actual_access:  read_only
        .address_space:  global
        .offset:         56
        .size:           8
        .value_kind:     global_buffer
      - .actual_access:  read_only
        .address_space:  global
        .offset:         64
        .size:           8
        .value_kind:     global_buffer
      - .offset:         72
        .size:           8
        .value_kind:     by_value
      - .address_space:  global
        .offset:         80
        .size:           8
        .value_kind:     global_buffer
      - .offset:         88
        .size:           4
        .value_kind:     by_value
      - .offset:         92
        .size:           1
        .value_kind:     by_value
    .group_segment_fixed_size: 0
    .kernarg_segment_align: 8
    .kernarg_segment_size: 96
    .language:       OpenCL C
    .language_version:
      - 2
      - 0
    .max_flat_workgroup_size: 128
    .name:           _ZN9rocsparseL18bsrxmvn_4x4_kernelILj128ELj16E21rocsparse_complex_numIfElifS2_S2_EEvT3_20rocsparse_direction_NS_24const_host_device_scalarIT1_EES3_PKS3_PKT2_SC_S9_PKT4_PKT5_S7_PT6_21rocsparse_index_base_b
    .private_segment_fixed_size: 0
    .sgpr_count:     18
    .sgpr_spill_count: 0
    .symbol:         _ZN9rocsparseL18bsrxmvn_4x4_kernelILj128ELj16E21rocsparse_complex_numIfElifS2_S2_EEvT3_20rocsparse_direction_NS_24const_host_device_scalarIT1_EES3_PKS3_PKT2_SC_S9_PKT4_PKT5_S7_PT6_21rocsparse_index_base_b.kd
    .uniform_work_group_size: 1
    .uses_dynamic_stack: false
    .vgpr_count:     98
    .vgpr_spill_count: 0
    .wavefront_size: 32
  - .args:
      - .offset:         0
        .size:           4
        .value_kind:     by_value
      - .offset:         4
        .size:           4
        .value_kind:     by_value
      - .offset:         8
        .size:           8
        .value_kind:     by_value
      - .offset:         16
        .size:           4
        .value_kind:     by_value
      - .actual_access:  read_only
        .address_space:  global
        .offset:         24
        .size:           8
        .value_kind:     global_buffer
      - .actual_access:  read_only
        .address_space:  global
        .offset:         32
        .size:           8
        .value_kind:     global_buffer
      - .actual_access:  read_only
        .address_space:  global
        .offset:         40
        .size:           8
        .value_kind:     global_buffer
      - .actual_access:  read_only
        .address_space:  global
        .offset:         48
        .size:           8
        .value_kind:     global_buffer
      - .actual_access:  read_only
        .address_space:  global
        .offset:         56
        .size:           8
        .value_kind:     global_buffer
      - .actual_access:  read_only
        .address_space:  global
        .offset:         64
        .size:           8
        .value_kind:     global_buffer
      - .offset:         72
        .size:           8
        .value_kind:     by_value
      - .address_space:  global
        .offset:         80
        .size:           8
        .value_kind:     global_buffer
      - .offset:         88
        .size:           4
        .value_kind:     by_value
      - .offset:         92
        .size:           1
        .value_kind:     by_value
    .group_segment_fixed_size: 0
    .kernarg_segment_align: 8
    .kernarg_segment_size: 96
    .language:       OpenCL C
    .language_version:
      - 2
      - 0
    .max_flat_workgroup_size: 128
    .name:           _ZN9rocsparseL18bsrxmvn_4x4_kernelILj128ELj32E21rocsparse_complex_numIfElifS2_S2_EEvT3_20rocsparse_direction_NS_24const_host_device_scalarIT1_EES3_PKS3_PKT2_SC_S9_PKT4_PKT5_S7_PT6_21rocsparse_index_base_b
    .private_segment_fixed_size: 0
    .sgpr_count:     18
    .sgpr_spill_count: 0
    .symbol:         _ZN9rocsparseL18bsrxmvn_4x4_kernelILj128ELj32E21rocsparse_complex_numIfElifS2_S2_EEvT3_20rocsparse_direction_NS_24const_host_device_scalarIT1_EES3_PKS3_PKT2_SC_S9_PKT4_PKT5_S7_PT6_21rocsparse_index_base_b.kd
    .uniform_work_group_size: 1
    .uses_dynamic_stack: false
    .vgpr_count:     98
    .vgpr_spill_count: 0
    .wavefront_size: 32
  - .args:
      - .offset:         0
        .size:           4
        .value_kind:     by_value
      - .offset:         4
        .size:           4
        .value_kind:     by_value
      - .offset:         8
        .size:           8
        .value_kind:     by_value
      - .offset:         16
        .size:           4
        .value_kind:     by_value
      - .actual_access:  read_only
        .address_space:  global
        .offset:         24
        .size:           8
        .value_kind:     global_buffer
      - .actual_access:  read_only
        .address_space:  global
        .offset:         32
        .size:           8
        .value_kind:     global_buffer
      - .actual_access:  read_only
        .address_space:  global
        .offset:         40
        .size:           8
        .value_kind:     global_buffer
      - .actual_access:  read_only
        .address_space:  global
        .offset:         48
        .size:           8
        .value_kind:     global_buffer
      - .actual_access:  read_only
        .address_space:  global
        .offset:         56
        .size:           8
        .value_kind:     global_buffer
      - .actual_access:  read_only
        .address_space:  global
        .offset:         64
        .size:           8
        .value_kind:     global_buffer
      - .offset:         72
        .size:           8
        .value_kind:     by_value
      - .address_space:  global
        .offset:         80
        .size:           8
        .value_kind:     global_buffer
      - .offset:         88
        .size:           4
        .value_kind:     by_value
      - .offset:         92
        .size:           1
        .value_kind:     by_value
    .group_segment_fixed_size: 0
    .kernarg_segment_align: 8
    .kernarg_segment_size: 96
    .language:       OpenCL C
    .language_version:
      - 2
      - 0
    .max_flat_workgroup_size: 128
    .name:           _ZN9rocsparseL18bsrxmvn_4x4_kernelILj128ELj64E21rocsparse_complex_numIfElifS2_S2_EEvT3_20rocsparse_direction_NS_24const_host_device_scalarIT1_EES3_PKS3_PKT2_SC_S9_PKT4_PKT5_S7_PT6_21rocsparse_index_base_b
    .private_segment_fixed_size: 0
    .sgpr_count:     18
    .sgpr_spill_count: 0
    .symbol:         _ZN9rocsparseL18bsrxmvn_4x4_kernelILj128ELj64E21rocsparse_complex_numIfElifS2_S2_EEvT3_20rocsparse_direction_NS_24const_host_device_scalarIT1_EES3_PKS3_PKT2_SC_S9_PKT4_PKT5_S7_PT6_21rocsparse_index_base_b.kd
    .uniform_work_group_size: 1
    .uses_dynamic_stack: false
    .vgpr_count:     98
    .vgpr_spill_count: 0
    .wavefront_size: 32
  - .args:
      - .offset:         0
        .size:           8
        .value_kind:     by_value
      - .offset:         8
        .size:           4
        .value_kind:     by_value
      - .offset:         16
        .size:           8
        .value_kind:     by_value
      - .offset:         24
        .size:           8
        .value_kind:     by_value
      - .actual_access:  read_only
        .address_space:  global
        .offset:         32
        .size:           8
        .value_kind:     global_buffer
      - .actual_access:  read_only
        .address_space:  global
        .offset:         40
        .size:           8
        .value_kind:     global_buffer
      - .actual_access:  read_only
        .address_space:  global
        .offset:         48
        .size:           8
        .value_kind:     global_buffer
      - .actual_access:  read_only
        .address_space:  global
        .offset:         56
        .size:           8
        .value_kind:     global_buffer
      - .actual_access:  read_only
        .address_space:  global
        .offset:         64
        .size:           8
        .value_kind:     global_buffer
      - .actual_access:  read_only
        .address_space:  global
        .offset:         72
        .size:           8
        .value_kind:     global_buffer
      - .offset:         80
        .size:           8
        .value_kind:     by_value
      - .address_space:  global
        .offset:         88
        .size:           8
        .value_kind:     global_buffer
      - .offset:         96
        .size:           4
        .value_kind:     by_value
      - .offset:         100
        .size:           1
        .value_kind:     by_value
    .group_segment_fixed_size: 0
    .kernarg_segment_align: 8
    .kernarg_segment_size: 104
    .language:       OpenCL C
    .language_version:
      - 2
      - 0
    .max_flat_workgroup_size: 128
    .name:           _ZN9rocsparseL18bsrxmvn_4x4_kernelILj128ELj4E21rocsparse_complex_numIfEllfS2_S2_EEvT3_20rocsparse_direction_NS_24const_host_device_scalarIT1_EES3_PKS3_PKT2_SC_S9_PKT4_PKT5_S7_PT6_21rocsparse_index_base_b
    .private_segment_fixed_size: 0
    .sgpr_count:     16
    .sgpr_spill_count: 0
    .symbol:         _ZN9rocsparseL18bsrxmvn_4x4_kernelILj128ELj4E21rocsparse_complex_numIfEllfS2_S2_EEvT3_20rocsparse_direction_NS_24const_host_device_scalarIT1_EES3_PKS3_PKT2_SC_S9_PKT4_PKT5_S7_PT6_21rocsparse_index_base_b.kd
    .uniform_work_group_size: 1
    .uses_dynamic_stack: false
    .vgpr_count:     126
    .vgpr_spill_count: 0
    .wavefront_size: 32
  - .args:
      - .offset:         0
        .size:           8
        .value_kind:     by_value
      - .offset:         8
        .size:           4
        .value_kind:     by_value
      - .offset:         16
        .size:           8
        .value_kind:     by_value
      - .offset:         24
        .size:           8
        .value_kind:     by_value
      - .actual_access:  read_only
        .address_space:  global
        .offset:         32
        .size:           8
        .value_kind:     global_buffer
      - .actual_access:  read_only
        .address_space:  global
        .offset:         40
        .size:           8
        .value_kind:     global_buffer
      - .actual_access:  read_only
        .address_space:  global
        .offset:         48
        .size:           8
        .value_kind:     global_buffer
      - .actual_access:  read_only
        .address_space:  global
        .offset:         56
        .size:           8
        .value_kind:     global_buffer
      - .actual_access:  read_only
        .address_space:  global
        .offset:         64
        .size:           8
        .value_kind:     global_buffer
      - .actual_access:  read_only
        .address_space:  global
        .offset:         72
        .size:           8
        .value_kind:     global_buffer
      - .offset:         80
        .size:           8
        .value_kind:     by_value
      - .address_space:  global
        .offset:         88
        .size:           8
        .value_kind:     global_buffer
      - .offset:         96
        .size:           4
        .value_kind:     by_value
      - .offset:         100
        .size:           1
        .value_kind:     by_value
    .group_segment_fixed_size: 0
    .kernarg_segment_align: 8
    .kernarg_segment_size: 104
    .language:       OpenCL C
    .language_version:
      - 2
      - 0
    .max_flat_workgroup_size: 128
    .name:           _ZN9rocsparseL18bsrxmvn_4x4_kernelILj128ELj8E21rocsparse_complex_numIfEllfS2_S2_EEvT3_20rocsparse_direction_NS_24const_host_device_scalarIT1_EES3_PKS3_PKT2_SC_S9_PKT4_PKT5_S7_PT6_21rocsparse_index_base_b
    .private_segment_fixed_size: 0
    .sgpr_count:     16
    .sgpr_spill_count: 0
    .symbol:         _ZN9rocsparseL18bsrxmvn_4x4_kernelILj128ELj8E21rocsparse_complex_numIfEllfS2_S2_EEvT3_20rocsparse_direction_NS_24const_host_device_scalarIT1_EES3_PKS3_PKT2_SC_S9_PKT4_PKT5_S7_PT6_21rocsparse_index_base_b.kd
    .uniform_work_group_size: 1
    .uses_dynamic_stack: false
    .vgpr_count:     126
    .vgpr_spill_count: 0
    .wavefront_size: 32
  - .args:
      - .offset:         0
        .size:           8
        .value_kind:     by_value
      - .offset:         8
        .size:           4
        .value_kind:     by_value
      - .offset:         16
        .size:           8
        .value_kind:     by_value
      - .offset:         24
        .size:           8
        .value_kind:     by_value
      - .actual_access:  read_only
        .address_space:  global
        .offset:         32
        .size:           8
        .value_kind:     global_buffer
      - .actual_access:  read_only
        .address_space:  global
        .offset:         40
        .size:           8
        .value_kind:     global_buffer
      - .actual_access:  read_only
        .address_space:  global
        .offset:         48
        .size:           8
        .value_kind:     global_buffer
      - .actual_access:  read_only
        .address_space:  global
        .offset:         56
        .size:           8
        .value_kind:     global_buffer
      - .actual_access:  read_only
        .address_space:  global
        .offset:         64
        .size:           8
        .value_kind:     global_buffer
      - .actual_access:  read_only
        .address_space:  global
        .offset:         72
        .size:           8
        .value_kind:     global_buffer
      - .offset:         80
        .size:           8
        .value_kind:     by_value
      - .address_space:  global
        .offset:         88
        .size:           8
        .value_kind:     global_buffer
      - .offset:         96
        .size:           4
        .value_kind:     by_value
      - .offset:         100
        .size:           1
        .value_kind:     by_value
    .group_segment_fixed_size: 0
    .kernarg_segment_align: 8
    .kernarg_segment_size: 104
    .language:       OpenCL C
    .language_version:
      - 2
      - 0
    .max_flat_workgroup_size: 128
    .name:           _ZN9rocsparseL18bsrxmvn_4x4_kernelILj128ELj16E21rocsparse_complex_numIfEllfS2_S2_EEvT3_20rocsparse_direction_NS_24const_host_device_scalarIT1_EES3_PKS3_PKT2_SC_S9_PKT4_PKT5_S7_PT6_21rocsparse_index_base_b
    .private_segment_fixed_size: 0
    .sgpr_count:     16
    .sgpr_spill_count: 0
    .symbol:         _ZN9rocsparseL18bsrxmvn_4x4_kernelILj128ELj16E21rocsparse_complex_numIfEllfS2_S2_EEvT3_20rocsparse_direction_NS_24const_host_device_scalarIT1_EES3_PKS3_PKT2_SC_S9_PKT4_PKT5_S7_PT6_21rocsparse_index_base_b.kd
    .uniform_work_group_size: 1
    .uses_dynamic_stack: false
    .vgpr_count:     126
    .vgpr_spill_count: 0
    .wavefront_size: 32
  - .args:
      - .offset:         0
        .size:           8
        .value_kind:     by_value
      - .offset:         8
        .size:           4
        .value_kind:     by_value
      - .offset:         16
        .size:           8
        .value_kind:     by_value
      - .offset:         24
        .size:           8
        .value_kind:     by_value
      - .actual_access:  read_only
        .address_space:  global
        .offset:         32
        .size:           8
        .value_kind:     global_buffer
      - .actual_access:  read_only
        .address_space:  global
        .offset:         40
        .size:           8
        .value_kind:     global_buffer
      - .actual_access:  read_only
        .address_space:  global
        .offset:         48
        .size:           8
        .value_kind:     global_buffer
      - .actual_access:  read_only
        .address_space:  global
        .offset:         56
        .size:           8
        .value_kind:     global_buffer
      - .actual_access:  read_only
        .address_space:  global
        .offset:         64
        .size:           8
        .value_kind:     global_buffer
      - .actual_access:  read_only
        .address_space:  global
        .offset:         72
        .size:           8
        .value_kind:     global_buffer
      - .offset:         80
        .size:           8
        .value_kind:     by_value
      - .address_space:  global
        .offset:         88
        .size:           8
        .value_kind:     global_buffer
      - .offset:         96
        .size:           4
        .value_kind:     by_value
      - .offset:         100
        .size:           1
        .value_kind:     by_value
    .group_segment_fixed_size: 0
    .kernarg_segment_align: 8
    .kernarg_segment_size: 104
    .language:       OpenCL C
    .language_version:
      - 2
      - 0
    .max_flat_workgroup_size: 128
    .name:           _ZN9rocsparseL18bsrxmvn_4x4_kernelILj128ELj32E21rocsparse_complex_numIfEllfS2_S2_EEvT3_20rocsparse_direction_NS_24const_host_device_scalarIT1_EES3_PKS3_PKT2_SC_S9_PKT4_PKT5_S7_PT6_21rocsparse_index_base_b
    .private_segment_fixed_size: 0
    .sgpr_count:     16
    .sgpr_spill_count: 0
    .symbol:         _ZN9rocsparseL18bsrxmvn_4x4_kernelILj128ELj32E21rocsparse_complex_numIfEllfS2_S2_EEvT3_20rocsparse_direction_NS_24const_host_device_scalarIT1_EES3_PKS3_PKT2_SC_S9_PKT4_PKT5_S7_PT6_21rocsparse_index_base_b.kd
    .uniform_work_group_size: 1
    .uses_dynamic_stack: false
    .vgpr_count:     126
    .vgpr_spill_count: 0
    .wavefront_size: 32
  - .args:
      - .offset:         0
        .size:           8
        .value_kind:     by_value
      - .offset:         8
        .size:           4
        .value_kind:     by_value
      - .offset:         16
        .size:           8
        .value_kind:     by_value
      - .offset:         24
        .size:           8
        .value_kind:     by_value
      - .actual_access:  read_only
        .address_space:  global
        .offset:         32
        .size:           8
        .value_kind:     global_buffer
      - .actual_access:  read_only
        .address_space:  global
        .offset:         40
        .size:           8
        .value_kind:     global_buffer
      - .actual_access:  read_only
        .address_space:  global
        .offset:         48
        .size:           8
        .value_kind:     global_buffer
      - .actual_access:  read_only
        .address_space:  global
        .offset:         56
        .size:           8
        .value_kind:     global_buffer
      - .actual_access:  read_only
        .address_space:  global
        .offset:         64
        .size:           8
        .value_kind:     global_buffer
      - .actual_access:  read_only
        .address_space:  global
        .offset:         72
        .size:           8
        .value_kind:     global_buffer
      - .offset:         80
        .size:           8
        .value_kind:     by_value
      - .address_space:  global
        .offset:         88
        .size:           8
        .value_kind:     global_buffer
      - .offset:         96
        .size:           4
        .value_kind:     by_value
      - .offset:         100
        .size:           1
        .value_kind:     by_value
    .group_segment_fixed_size: 0
    .kernarg_segment_align: 8
    .kernarg_segment_size: 104
    .language:       OpenCL C
    .language_version:
      - 2
      - 0
    .max_flat_workgroup_size: 128
    .name:           _ZN9rocsparseL18bsrxmvn_4x4_kernelILj128ELj64E21rocsparse_complex_numIfEllfS2_S2_EEvT3_20rocsparse_direction_NS_24const_host_device_scalarIT1_EES3_PKS3_PKT2_SC_S9_PKT4_PKT5_S7_PT6_21rocsparse_index_base_b
    .private_segment_fixed_size: 0
    .sgpr_count:     16
    .sgpr_spill_count: 0
    .symbol:         _ZN9rocsparseL18bsrxmvn_4x4_kernelILj128ELj64E21rocsparse_complex_numIfEllfS2_S2_EEvT3_20rocsparse_direction_NS_24const_host_device_scalarIT1_EES3_PKS3_PKT2_SC_S9_PKT4_PKT5_S7_PT6_21rocsparse_index_base_b.kd
    .uniform_work_group_size: 1
    .uses_dynamic_stack: false
    .vgpr_count:     126
    .vgpr_spill_count: 0
    .wavefront_size: 32
  - .args:
      - .offset:         0
        .size:           4
        .value_kind:     by_value
      - .offset:         4
        .size:           4
        .value_kind:     by_value
      - .offset:         8
        .size:           16
        .value_kind:     by_value
      - .offset:         24
        .size:           4
        .value_kind:     by_value
      - .actual_access:  read_only
        .address_space:  global
        .offset:         32
        .size:           8
        .value_kind:     global_buffer
      - .actual_access:  read_only
        .address_space:  global
        .offset:         40
        .size:           8
        .value_kind:     global_buffer
      - .actual_access:  read_only
        .address_space:  global
        .offset:         48
        .size:           8
        .value_kind:     global_buffer
      - .actual_access:  read_only
        .address_space:  global
        .offset:         56
        .size:           8
        .value_kind:     global_buffer
      - .actual_access:  read_only
        .address_space:  global
        .offset:         64
        .size:           8
        .value_kind:     global_buffer
      - .actual_access:  read_only
        .address_space:  global
        .offset:         72
        .size:           8
        .value_kind:     global_buffer
      - .offset:         80
        .size:           16
        .value_kind:     by_value
      - .address_space:  global
        .offset:         96
        .size:           8
        .value_kind:     global_buffer
      - .offset:         104
        .size:           4
        .value_kind:     by_value
      - .offset:         108
        .size:           1
        .value_kind:     by_value
    .group_segment_fixed_size: 0
    .kernarg_segment_align: 8
    .kernarg_segment_size: 112
    .language:       OpenCL C
    .language_version:
      - 2
      - 0
    .max_flat_workgroup_size: 128
    .name:           _ZN9rocsparseL18bsrxmvn_4x4_kernelILj128ELj4E21rocsparse_complex_numIdEiidS2_S2_EEvT3_20rocsparse_direction_NS_24const_host_device_scalarIT1_EES3_PKS3_PKT2_SC_S9_PKT4_PKT5_S7_PT6_21rocsparse_index_base_b
    .private_segment_fixed_size: 0
    .sgpr_count:     16
    .sgpr_spill_count: 0
    .symbol:         _ZN9rocsparseL18bsrxmvn_4x4_kernelILj128ELj4E21rocsparse_complex_numIdEiidS2_S2_EEvT3_20rocsparse_direction_NS_24const_host_device_scalarIT1_EES3_PKS3_PKT2_SC_S9_PKT4_PKT5_S7_PT6_21rocsparse_index_base_b.kd
    .uniform_work_group_size: 1
    .uses_dynamic_stack: false
    .vgpr_count:     122
    .vgpr_spill_count: 0
    .wavefront_size: 32
  - .args:
      - .offset:         0
        .size:           4
        .value_kind:     by_value
      - .offset:         4
        .size:           4
        .value_kind:     by_value
      - .offset:         8
        .size:           16
        .value_kind:     by_value
      - .offset:         24
        .size:           4
        .value_kind:     by_value
      - .actual_access:  read_only
        .address_space:  global
        .offset:         32
        .size:           8
        .value_kind:     global_buffer
      - .actual_access:  read_only
        .address_space:  global
        .offset:         40
        .size:           8
        .value_kind:     global_buffer
      - .actual_access:  read_only
        .address_space:  global
        .offset:         48
        .size:           8
        .value_kind:     global_buffer
      - .actual_access:  read_only
        .address_space:  global
        .offset:         56
        .size:           8
        .value_kind:     global_buffer
      - .actual_access:  read_only
        .address_space:  global
        .offset:         64
        .size:           8
        .value_kind:     global_buffer
      - .actual_access:  read_only
        .address_space:  global
        .offset:         72
        .size:           8
        .value_kind:     global_buffer
      - .offset:         80
        .size:           16
        .value_kind:     by_value
      - .address_space:  global
        .offset:         96
        .size:           8
        .value_kind:     global_buffer
      - .offset:         104
        .size:           4
        .value_kind:     by_value
      - .offset:         108
        .size:           1
        .value_kind:     by_value
    .group_segment_fixed_size: 0
    .kernarg_segment_align: 8
    .kernarg_segment_size: 112
    .language:       OpenCL C
    .language_version:
      - 2
      - 0
    .max_flat_workgroup_size: 128
    .name:           _ZN9rocsparseL18bsrxmvn_4x4_kernelILj128ELj8E21rocsparse_complex_numIdEiidS2_S2_EEvT3_20rocsparse_direction_NS_24const_host_device_scalarIT1_EES3_PKS3_PKT2_SC_S9_PKT4_PKT5_S7_PT6_21rocsparse_index_base_b
    .private_segment_fixed_size: 0
    .sgpr_count:     16
    .sgpr_spill_count: 0
    .symbol:         _ZN9rocsparseL18bsrxmvn_4x4_kernelILj128ELj8E21rocsparse_complex_numIdEiidS2_S2_EEvT3_20rocsparse_direction_NS_24const_host_device_scalarIT1_EES3_PKS3_PKT2_SC_S9_PKT4_PKT5_S7_PT6_21rocsparse_index_base_b.kd
    .uniform_work_group_size: 1
    .uses_dynamic_stack: false
    .vgpr_count:     122
    .vgpr_spill_count: 0
    .wavefront_size: 32
  - .args:
      - .offset:         0
        .size:           4
        .value_kind:     by_value
      - .offset:         4
        .size:           4
        .value_kind:     by_value
      - .offset:         8
        .size:           16
        .value_kind:     by_value
      - .offset:         24
        .size:           4
        .value_kind:     by_value
      - .actual_access:  read_only
        .address_space:  global
        .offset:         32
        .size:           8
        .value_kind:     global_buffer
      - .actual_access:  read_only
        .address_space:  global
        .offset:         40
        .size:           8
        .value_kind:     global_buffer
      - .actual_access:  read_only
        .address_space:  global
        .offset:         48
        .size:           8
        .value_kind:     global_buffer
      - .actual_access:  read_only
        .address_space:  global
        .offset:         56
        .size:           8
        .value_kind:     global_buffer
      - .actual_access:  read_only
        .address_space:  global
        .offset:         64
        .size:           8
        .value_kind:     global_buffer
      - .actual_access:  read_only
        .address_space:  global
        .offset:         72
        .size:           8
        .value_kind:     global_buffer
      - .offset:         80
        .size:           16
        .value_kind:     by_value
      - .address_space:  global
        .offset:         96
        .size:           8
        .value_kind:     global_buffer
      - .offset:         104
        .size:           4
        .value_kind:     by_value
      - .offset:         108
        .size:           1
        .value_kind:     by_value
    .group_segment_fixed_size: 0
    .kernarg_segment_align: 8
    .kernarg_segment_size: 112
    .language:       OpenCL C
    .language_version:
      - 2
      - 0
    .max_flat_workgroup_size: 128
    .name:           _ZN9rocsparseL18bsrxmvn_4x4_kernelILj128ELj16E21rocsparse_complex_numIdEiidS2_S2_EEvT3_20rocsparse_direction_NS_24const_host_device_scalarIT1_EES3_PKS3_PKT2_SC_S9_PKT4_PKT5_S7_PT6_21rocsparse_index_base_b
    .private_segment_fixed_size: 0
    .sgpr_count:     16
    .sgpr_spill_count: 0
    .symbol:         _ZN9rocsparseL18bsrxmvn_4x4_kernelILj128ELj16E21rocsparse_complex_numIdEiidS2_S2_EEvT3_20rocsparse_direction_NS_24const_host_device_scalarIT1_EES3_PKS3_PKT2_SC_S9_PKT4_PKT5_S7_PT6_21rocsparse_index_base_b.kd
    .uniform_work_group_size: 1
    .uses_dynamic_stack: false
    .vgpr_count:     122
    .vgpr_spill_count: 0
    .wavefront_size: 32
  - .args:
      - .offset:         0
        .size:           4
        .value_kind:     by_value
      - .offset:         4
        .size:           4
        .value_kind:     by_value
      - .offset:         8
        .size:           16
        .value_kind:     by_value
      - .offset:         24
        .size:           4
        .value_kind:     by_value
      - .actual_access:  read_only
        .address_space:  global
        .offset:         32
        .size:           8
        .value_kind:     global_buffer
      - .actual_access:  read_only
        .address_space:  global
        .offset:         40
        .size:           8
        .value_kind:     global_buffer
      - .actual_access:  read_only
        .address_space:  global
        .offset:         48
        .size:           8
        .value_kind:     global_buffer
      - .actual_access:  read_only
        .address_space:  global
        .offset:         56
        .size:           8
        .value_kind:     global_buffer
      - .actual_access:  read_only
        .address_space:  global
        .offset:         64
        .size:           8
        .value_kind:     global_buffer
      - .actual_access:  read_only
        .address_space:  global
        .offset:         72
        .size:           8
        .value_kind:     global_buffer
      - .offset:         80
        .size:           16
        .value_kind:     by_value
      - .address_space:  global
        .offset:         96
        .size:           8
        .value_kind:     global_buffer
      - .offset:         104
        .size:           4
        .value_kind:     by_value
      - .offset:         108
        .size:           1
        .value_kind:     by_value
    .group_segment_fixed_size: 0
    .kernarg_segment_align: 8
    .kernarg_segment_size: 112
    .language:       OpenCL C
    .language_version:
      - 2
      - 0
    .max_flat_workgroup_size: 128
    .name:           _ZN9rocsparseL18bsrxmvn_4x4_kernelILj128ELj32E21rocsparse_complex_numIdEiidS2_S2_EEvT3_20rocsparse_direction_NS_24const_host_device_scalarIT1_EES3_PKS3_PKT2_SC_S9_PKT4_PKT5_S7_PT6_21rocsparse_index_base_b
    .private_segment_fixed_size: 0
    .sgpr_count:     16
    .sgpr_spill_count: 0
    .symbol:         _ZN9rocsparseL18bsrxmvn_4x4_kernelILj128ELj32E21rocsparse_complex_numIdEiidS2_S2_EEvT3_20rocsparse_direction_NS_24const_host_device_scalarIT1_EES3_PKS3_PKT2_SC_S9_PKT4_PKT5_S7_PT6_21rocsparse_index_base_b.kd
    .uniform_work_group_size: 1
    .uses_dynamic_stack: false
    .vgpr_count:     122
    .vgpr_spill_count: 0
    .wavefront_size: 32
  - .args:
      - .offset:         0
        .size:           4
        .value_kind:     by_value
      - .offset:         4
        .size:           4
        .value_kind:     by_value
      - .offset:         8
        .size:           16
        .value_kind:     by_value
      - .offset:         24
        .size:           4
        .value_kind:     by_value
      - .actual_access:  read_only
        .address_space:  global
        .offset:         32
        .size:           8
        .value_kind:     global_buffer
      - .actual_access:  read_only
        .address_space:  global
        .offset:         40
        .size:           8
        .value_kind:     global_buffer
      - .actual_access:  read_only
        .address_space:  global
        .offset:         48
        .size:           8
        .value_kind:     global_buffer
      - .actual_access:  read_only
        .address_space:  global
        .offset:         56
        .size:           8
        .value_kind:     global_buffer
      - .actual_access:  read_only
        .address_space:  global
        .offset:         64
        .size:           8
        .value_kind:     global_buffer
      - .actual_access:  read_only
        .address_space:  global
        .offset:         72
        .size:           8
        .value_kind:     global_buffer
      - .offset:         80
        .size:           16
        .value_kind:     by_value
      - .address_space:  global
        .offset:         96
        .size:           8
        .value_kind:     global_buffer
      - .offset:         104
        .size:           4
        .value_kind:     by_value
      - .offset:         108
        .size:           1
        .value_kind:     by_value
    .group_segment_fixed_size: 0
    .kernarg_segment_align: 8
    .kernarg_segment_size: 112
    .language:       OpenCL C
    .language_version:
      - 2
      - 0
    .max_flat_workgroup_size: 128
    .name:           _ZN9rocsparseL18bsrxmvn_4x4_kernelILj128ELj64E21rocsparse_complex_numIdEiidS2_S2_EEvT3_20rocsparse_direction_NS_24const_host_device_scalarIT1_EES3_PKS3_PKT2_SC_S9_PKT4_PKT5_S7_PT6_21rocsparse_index_base_b
    .private_segment_fixed_size: 0
    .sgpr_count:     16
    .sgpr_spill_count: 0
    .symbol:         _ZN9rocsparseL18bsrxmvn_4x4_kernelILj128ELj64E21rocsparse_complex_numIdEiidS2_S2_EEvT3_20rocsparse_direction_NS_24const_host_device_scalarIT1_EES3_PKS3_PKT2_SC_S9_PKT4_PKT5_S7_PT6_21rocsparse_index_base_b.kd
    .uniform_work_group_size: 1
    .uses_dynamic_stack: false
    .vgpr_count:     122
    .vgpr_spill_count: 0
    .wavefront_size: 32
  - .args:
      - .offset:         0
        .size:           4
        .value_kind:     by_value
      - .offset:         4
        .size:           4
        .value_kind:     by_value
      - .offset:         8
        .size:           16
        .value_kind:     by_value
      - .offset:         24
        .size:           4
        .value_kind:     by_value
      - .actual_access:  read_only
        .address_space:  global
        .offset:         32
        .size:           8
        .value_kind:     global_buffer
      - .actual_access:  read_only
        .address_space:  global
        .offset:         40
        .size:           8
        .value_kind:     global_buffer
      - .actual_access:  read_only
        .address_space:  global
        .offset:         48
        .size:           8
        .value_kind:     global_buffer
      - .actual_access:  read_only
        .address_space:  global
        .offset:         56
        .size:           8
        .value_kind:     global_buffer
      - .actual_access:  read_only
        .address_space:  global
        .offset:         64
        .size:           8
        .value_kind:     global_buffer
      - .actual_access:  read_only
        .address_space:  global
        .offset:         72
        .size:           8
        .value_kind:     global_buffer
      - .offset:         80
        .size:           16
        .value_kind:     by_value
      - .address_space:  global
        .offset:         96
        .size:           8
        .value_kind:     global_buffer
      - .offset:         104
        .size:           4
        .value_kind:     by_value
      - .offset:         108
        .size:           1
        .value_kind:     by_value
    .group_segment_fixed_size: 0
    .kernarg_segment_align: 8
    .kernarg_segment_size: 112
    .language:       OpenCL C
    .language_version:
      - 2
      - 0
    .max_flat_workgroup_size: 128
    .name:           _ZN9rocsparseL18bsrxmvn_4x4_kernelILj128ELj4E21rocsparse_complex_numIdElidS2_S2_EEvT3_20rocsparse_direction_NS_24const_host_device_scalarIT1_EES3_PKS3_PKT2_SC_S9_PKT4_PKT5_S7_PT6_21rocsparse_index_base_b
    .private_segment_fixed_size: 0
    .sgpr_count:     16
    .sgpr_spill_count: 0
    .symbol:         _ZN9rocsparseL18bsrxmvn_4x4_kernelILj128ELj4E21rocsparse_complex_numIdElidS2_S2_EEvT3_20rocsparse_direction_NS_24const_host_device_scalarIT1_EES3_PKS3_PKT2_SC_S9_PKT4_PKT5_S7_PT6_21rocsparse_index_base_b.kd
    .uniform_work_group_size: 1
    .uses_dynamic_stack: false
    .vgpr_count:     141
    .vgpr_spill_count: 0
    .wavefront_size: 32
  - .args:
      - .offset:         0
        .size:           4
        .value_kind:     by_value
      - .offset:         4
        .size:           4
        .value_kind:     by_value
      - .offset:         8
        .size:           16
        .value_kind:     by_value
      - .offset:         24
        .size:           4
        .value_kind:     by_value
      - .actual_access:  read_only
        .address_space:  global
        .offset:         32
        .size:           8
        .value_kind:     global_buffer
      - .actual_access:  read_only
        .address_space:  global
        .offset:         40
        .size:           8
        .value_kind:     global_buffer
      - .actual_access:  read_only
        .address_space:  global
        .offset:         48
        .size:           8
        .value_kind:     global_buffer
      - .actual_access:  read_only
        .address_space:  global
        .offset:         56
        .size:           8
        .value_kind:     global_buffer
      - .actual_access:  read_only
        .address_space:  global
        .offset:         64
        .size:           8
        .value_kind:     global_buffer
      - .actual_access:  read_only
        .address_space:  global
        .offset:         72
        .size:           8
        .value_kind:     global_buffer
      - .offset:         80
        .size:           16
        .value_kind:     by_value
      - .address_space:  global
        .offset:         96
        .size:           8
        .value_kind:     global_buffer
      - .offset:         104
        .size:           4
        .value_kind:     by_value
      - .offset:         108
        .size:           1
        .value_kind:     by_value
    .group_segment_fixed_size: 0
    .kernarg_segment_align: 8
    .kernarg_segment_size: 112
    .language:       OpenCL C
    .language_version:
      - 2
      - 0
    .max_flat_workgroup_size: 128
    .name:           _ZN9rocsparseL18bsrxmvn_4x4_kernelILj128ELj8E21rocsparse_complex_numIdElidS2_S2_EEvT3_20rocsparse_direction_NS_24const_host_device_scalarIT1_EES3_PKS3_PKT2_SC_S9_PKT4_PKT5_S7_PT6_21rocsparse_index_base_b
    .private_segment_fixed_size: 0
    .sgpr_count:     16
    .sgpr_spill_count: 0
    .symbol:         _ZN9rocsparseL18bsrxmvn_4x4_kernelILj128ELj8E21rocsparse_complex_numIdElidS2_S2_EEvT3_20rocsparse_direction_NS_24const_host_device_scalarIT1_EES3_PKS3_PKT2_SC_S9_PKT4_PKT5_S7_PT6_21rocsparse_index_base_b.kd
    .uniform_work_group_size: 1
    .uses_dynamic_stack: false
    .vgpr_count:     141
    .vgpr_spill_count: 0
    .wavefront_size: 32
  - .args:
      - .offset:         0
        .size:           4
        .value_kind:     by_value
      - .offset:         4
        .size:           4
        .value_kind:     by_value
      - .offset:         8
        .size:           16
        .value_kind:     by_value
      - .offset:         24
        .size:           4
        .value_kind:     by_value
      - .actual_access:  read_only
        .address_space:  global
        .offset:         32
        .size:           8
        .value_kind:     global_buffer
      - .actual_access:  read_only
        .address_space:  global
        .offset:         40
        .size:           8
        .value_kind:     global_buffer
      - .actual_access:  read_only
        .address_space:  global
        .offset:         48
        .size:           8
        .value_kind:     global_buffer
      - .actual_access:  read_only
        .address_space:  global
        .offset:         56
        .size:           8
        .value_kind:     global_buffer
      - .actual_access:  read_only
        .address_space:  global
        .offset:         64
        .size:           8
        .value_kind:     global_buffer
      - .actual_access:  read_only
        .address_space:  global
        .offset:         72
        .size:           8
        .value_kind:     global_buffer
      - .offset:         80
        .size:           16
        .value_kind:     by_value
      - .address_space:  global
        .offset:         96
        .size:           8
        .value_kind:     global_buffer
      - .offset:         104
        .size:           4
        .value_kind:     by_value
      - .offset:         108
        .size:           1
        .value_kind:     by_value
    .group_segment_fixed_size: 0
    .kernarg_segment_align: 8
    .kernarg_segment_size: 112
    .language:       OpenCL C
    .language_version:
      - 2
      - 0
    .max_flat_workgroup_size: 128
    .name:           _ZN9rocsparseL18bsrxmvn_4x4_kernelILj128ELj16E21rocsparse_complex_numIdElidS2_S2_EEvT3_20rocsparse_direction_NS_24const_host_device_scalarIT1_EES3_PKS3_PKT2_SC_S9_PKT4_PKT5_S7_PT6_21rocsparse_index_base_b
    .private_segment_fixed_size: 0
    .sgpr_count:     16
    .sgpr_spill_count: 0
    .symbol:         _ZN9rocsparseL18bsrxmvn_4x4_kernelILj128ELj16E21rocsparse_complex_numIdElidS2_S2_EEvT3_20rocsparse_direction_NS_24const_host_device_scalarIT1_EES3_PKS3_PKT2_SC_S9_PKT4_PKT5_S7_PT6_21rocsparse_index_base_b.kd
    .uniform_work_group_size: 1
    .uses_dynamic_stack: false
    .vgpr_count:     141
    .vgpr_spill_count: 0
    .wavefront_size: 32
  - .args:
      - .offset:         0
        .size:           4
        .value_kind:     by_value
      - .offset:         4
        .size:           4
        .value_kind:     by_value
      - .offset:         8
        .size:           16
        .value_kind:     by_value
      - .offset:         24
        .size:           4
        .value_kind:     by_value
      - .actual_access:  read_only
        .address_space:  global
        .offset:         32
        .size:           8
        .value_kind:     global_buffer
      - .actual_access:  read_only
        .address_space:  global
        .offset:         40
        .size:           8
        .value_kind:     global_buffer
      - .actual_access:  read_only
        .address_space:  global
        .offset:         48
        .size:           8
        .value_kind:     global_buffer
      - .actual_access:  read_only
        .address_space:  global
        .offset:         56
        .size:           8
        .value_kind:     global_buffer
      - .actual_access:  read_only
        .address_space:  global
        .offset:         64
        .size:           8
        .value_kind:     global_buffer
      - .actual_access:  read_only
        .address_space:  global
        .offset:         72
        .size:           8
        .value_kind:     global_buffer
      - .offset:         80
        .size:           16
        .value_kind:     by_value
      - .address_space:  global
        .offset:         96
        .size:           8
        .value_kind:     global_buffer
      - .offset:         104
        .size:           4
        .value_kind:     by_value
      - .offset:         108
        .size:           1
        .value_kind:     by_value
    .group_segment_fixed_size: 0
    .kernarg_segment_align: 8
    .kernarg_segment_size: 112
    .language:       OpenCL C
    .language_version:
      - 2
      - 0
    .max_flat_workgroup_size: 128
    .name:           _ZN9rocsparseL18bsrxmvn_4x4_kernelILj128ELj32E21rocsparse_complex_numIdElidS2_S2_EEvT3_20rocsparse_direction_NS_24const_host_device_scalarIT1_EES3_PKS3_PKT2_SC_S9_PKT4_PKT5_S7_PT6_21rocsparse_index_base_b
    .private_segment_fixed_size: 0
    .sgpr_count:     16
    .sgpr_spill_count: 0
    .symbol:         _ZN9rocsparseL18bsrxmvn_4x4_kernelILj128ELj32E21rocsparse_complex_numIdElidS2_S2_EEvT3_20rocsparse_direction_NS_24const_host_device_scalarIT1_EES3_PKS3_PKT2_SC_S9_PKT4_PKT5_S7_PT6_21rocsparse_index_base_b.kd
    .uniform_work_group_size: 1
    .uses_dynamic_stack: false
    .vgpr_count:     141
    .vgpr_spill_count: 0
    .wavefront_size: 32
  - .args:
      - .offset:         0
        .size:           4
        .value_kind:     by_value
      - .offset:         4
        .size:           4
        .value_kind:     by_value
      - .offset:         8
        .size:           16
        .value_kind:     by_value
      - .offset:         24
        .size:           4
        .value_kind:     by_value
      - .actual_access:  read_only
        .address_space:  global
        .offset:         32
        .size:           8
        .value_kind:     global_buffer
      - .actual_access:  read_only
        .address_space:  global
        .offset:         40
        .size:           8
        .value_kind:     global_buffer
      - .actual_access:  read_only
        .address_space:  global
        .offset:         48
        .size:           8
        .value_kind:     global_buffer
      - .actual_access:  read_only
        .address_space:  global
        .offset:         56
        .size:           8
        .value_kind:     global_buffer
      - .actual_access:  read_only
        .address_space:  global
        .offset:         64
        .size:           8
        .value_kind:     global_buffer
      - .actual_access:  read_only
        .address_space:  global
        .offset:         72
        .size:           8
        .value_kind:     global_buffer
      - .offset:         80
        .size:           16
        .value_kind:     by_value
      - .address_space:  global
        .offset:         96
        .size:           8
        .value_kind:     global_buffer
      - .offset:         104
        .size:           4
        .value_kind:     by_value
      - .offset:         108
        .size:           1
        .value_kind:     by_value
    .group_segment_fixed_size: 0
    .kernarg_segment_align: 8
    .kernarg_segment_size: 112
    .language:       OpenCL C
    .language_version:
      - 2
      - 0
    .max_flat_workgroup_size: 128
    .name:           _ZN9rocsparseL18bsrxmvn_4x4_kernelILj128ELj64E21rocsparse_complex_numIdElidS2_S2_EEvT3_20rocsparse_direction_NS_24const_host_device_scalarIT1_EES3_PKS3_PKT2_SC_S9_PKT4_PKT5_S7_PT6_21rocsparse_index_base_b
    .private_segment_fixed_size: 0
    .sgpr_count:     16
    .sgpr_spill_count: 0
    .symbol:         _ZN9rocsparseL18bsrxmvn_4x4_kernelILj128ELj64E21rocsparse_complex_numIdElidS2_S2_EEvT3_20rocsparse_direction_NS_24const_host_device_scalarIT1_EES3_PKS3_PKT2_SC_S9_PKT4_PKT5_S7_PT6_21rocsparse_index_base_b.kd
    .uniform_work_group_size: 1
    .uses_dynamic_stack: false
    .vgpr_count:     141
    .vgpr_spill_count: 0
    .wavefront_size: 32
  - .args:
      - .offset:         0
        .size:           8
        .value_kind:     by_value
      - .offset:         8
        .size:           4
        .value_kind:     by_value
      - .offset:         16
        .size:           16
        .value_kind:     by_value
      - .offset:         32
        .size:           8
        .value_kind:     by_value
      - .actual_access:  read_only
        .address_space:  global
        .offset:         40
        .size:           8
        .value_kind:     global_buffer
      - .actual_access:  read_only
        .address_space:  global
        .offset:         48
        .size:           8
        .value_kind:     global_buffer
      - .actual_access:  read_only
        .address_space:  global
        .offset:         56
        .size:           8
        .value_kind:     global_buffer
      - .actual_access:  read_only
        .address_space:  global
        .offset:         64
        .size:           8
        .value_kind:     global_buffer
      - .actual_access:  read_only
        .address_space:  global
        .offset:         72
        .size:           8
        .value_kind:     global_buffer
      - .actual_access:  read_only
        .address_space:  global
        .offset:         80
        .size:           8
        .value_kind:     global_buffer
      - .offset:         88
        .size:           16
        .value_kind:     by_value
      - .address_space:  global
        .offset:         104
        .size:           8
        .value_kind:     global_buffer
      - .offset:         112
        .size:           4
        .value_kind:     by_value
      - .offset:         116
        .size:           1
        .value_kind:     by_value
    .group_segment_fixed_size: 0
    .kernarg_segment_align: 8
    .kernarg_segment_size: 120
    .language:       OpenCL C
    .language_version:
      - 2
      - 0
    .max_flat_workgroup_size: 128
    .name:           _ZN9rocsparseL18bsrxmvn_4x4_kernelILj128ELj4E21rocsparse_complex_numIdElldS2_S2_EEvT3_20rocsparse_direction_NS_24const_host_device_scalarIT1_EES3_PKS3_PKT2_SC_S9_PKT4_PKT5_S7_PT6_21rocsparse_index_base_b
    .private_segment_fixed_size: 0
    .sgpr_count:     14
    .sgpr_spill_count: 0
    .symbol:         _ZN9rocsparseL18bsrxmvn_4x4_kernelILj128ELj4E21rocsparse_complex_numIdElldS2_S2_EEvT3_20rocsparse_direction_NS_24const_host_device_scalarIT1_EES3_PKS3_PKT2_SC_S9_PKT4_PKT5_S7_PT6_21rocsparse_index_base_b.kd
    .uniform_work_group_size: 1
    .uses_dynamic_stack: false
    .vgpr_count:     144
    .vgpr_spill_count: 0
    .wavefront_size: 32
  - .args:
      - .offset:         0
        .size:           8
        .value_kind:     by_value
      - .offset:         8
        .size:           4
        .value_kind:     by_value
      - .offset:         16
        .size:           16
        .value_kind:     by_value
      - .offset:         32
        .size:           8
        .value_kind:     by_value
      - .actual_access:  read_only
        .address_space:  global
        .offset:         40
        .size:           8
        .value_kind:     global_buffer
      - .actual_access:  read_only
        .address_space:  global
        .offset:         48
        .size:           8
        .value_kind:     global_buffer
      - .actual_access:  read_only
        .address_space:  global
        .offset:         56
        .size:           8
        .value_kind:     global_buffer
      - .actual_access:  read_only
        .address_space:  global
        .offset:         64
        .size:           8
        .value_kind:     global_buffer
      - .actual_access:  read_only
        .address_space:  global
        .offset:         72
        .size:           8
        .value_kind:     global_buffer
      - .actual_access:  read_only
        .address_space:  global
        .offset:         80
        .size:           8
        .value_kind:     global_buffer
      - .offset:         88
        .size:           16
        .value_kind:     by_value
      - .address_space:  global
        .offset:         104
        .size:           8
        .value_kind:     global_buffer
      - .offset:         112
        .size:           4
        .value_kind:     by_value
      - .offset:         116
        .size:           1
        .value_kind:     by_value
    .group_segment_fixed_size: 0
    .kernarg_segment_align: 8
    .kernarg_segment_size: 120
    .language:       OpenCL C
    .language_version:
      - 2
      - 0
    .max_flat_workgroup_size: 128
    .name:           _ZN9rocsparseL18bsrxmvn_4x4_kernelILj128ELj8E21rocsparse_complex_numIdElldS2_S2_EEvT3_20rocsparse_direction_NS_24const_host_device_scalarIT1_EES3_PKS3_PKT2_SC_S9_PKT4_PKT5_S7_PT6_21rocsparse_index_base_b
    .private_segment_fixed_size: 0
    .sgpr_count:     14
    .sgpr_spill_count: 0
    .symbol:         _ZN9rocsparseL18bsrxmvn_4x4_kernelILj128ELj8E21rocsparse_complex_numIdElldS2_S2_EEvT3_20rocsparse_direction_NS_24const_host_device_scalarIT1_EES3_PKS3_PKT2_SC_S9_PKT4_PKT5_S7_PT6_21rocsparse_index_base_b.kd
    .uniform_work_group_size: 1
    .uses_dynamic_stack: false
    .vgpr_count:     144
    .vgpr_spill_count: 0
    .wavefront_size: 32
  - .args:
      - .offset:         0
        .size:           8
        .value_kind:     by_value
      - .offset:         8
        .size:           4
        .value_kind:     by_value
      - .offset:         16
        .size:           16
        .value_kind:     by_value
      - .offset:         32
        .size:           8
        .value_kind:     by_value
      - .actual_access:  read_only
        .address_space:  global
        .offset:         40
        .size:           8
        .value_kind:     global_buffer
      - .actual_access:  read_only
        .address_space:  global
        .offset:         48
        .size:           8
        .value_kind:     global_buffer
      - .actual_access:  read_only
        .address_space:  global
        .offset:         56
        .size:           8
        .value_kind:     global_buffer
      - .actual_access:  read_only
        .address_space:  global
        .offset:         64
        .size:           8
        .value_kind:     global_buffer
      - .actual_access:  read_only
        .address_space:  global
        .offset:         72
        .size:           8
        .value_kind:     global_buffer
      - .actual_access:  read_only
        .address_space:  global
        .offset:         80
        .size:           8
        .value_kind:     global_buffer
      - .offset:         88
        .size:           16
        .value_kind:     by_value
      - .address_space:  global
        .offset:         104
        .size:           8
        .value_kind:     global_buffer
      - .offset:         112
        .size:           4
        .value_kind:     by_value
      - .offset:         116
        .size:           1
        .value_kind:     by_value
    .group_segment_fixed_size: 0
    .kernarg_segment_align: 8
    .kernarg_segment_size: 120
    .language:       OpenCL C
    .language_version:
      - 2
      - 0
    .max_flat_workgroup_size: 128
    .name:           _ZN9rocsparseL18bsrxmvn_4x4_kernelILj128ELj16E21rocsparse_complex_numIdElldS2_S2_EEvT3_20rocsparse_direction_NS_24const_host_device_scalarIT1_EES3_PKS3_PKT2_SC_S9_PKT4_PKT5_S7_PT6_21rocsparse_index_base_b
    .private_segment_fixed_size: 0
    .sgpr_count:     14
    .sgpr_spill_count: 0
    .symbol:         _ZN9rocsparseL18bsrxmvn_4x4_kernelILj128ELj16E21rocsparse_complex_numIdElldS2_S2_EEvT3_20rocsparse_direction_NS_24const_host_device_scalarIT1_EES3_PKS3_PKT2_SC_S9_PKT4_PKT5_S7_PT6_21rocsparse_index_base_b.kd
    .uniform_work_group_size: 1
    .uses_dynamic_stack: false
    .vgpr_count:     144
    .vgpr_spill_count: 0
    .wavefront_size: 32
  - .args:
      - .offset:         0
        .size:           8
        .value_kind:     by_value
      - .offset:         8
        .size:           4
        .value_kind:     by_value
      - .offset:         16
        .size:           16
        .value_kind:     by_value
      - .offset:         32
        .size:           8
        .value_kind:     by_value
      - .actual_access:  read_only
        .address_space:  global
        .offset:         40
        .size:           8
        .value_kind:     global_buffer
      - .actual_access:  read_only
        .address_space:  global
        .offset:         48
        .size:           8
        .value_kind:     global_buffer
      - .actual_access:  read_only
        .address_space:  global
        .offset:         56
        .size:           8
        .value_kind:     global_buffer
      - .actual_access:  read_only
        .address_space:  global
        .offset:         64
        .size:           8
        .value_kind:     global_buffer
      - .actual_access:  read_only
        .address_space:  global
        .offset:         72
        .size:           8
        .value_kind:     global_buffer
      - .actual_access:  read_only
        .address_space:  global
        .offset:         80
        .size:           8
        .value_kind:     global_buffer
      - .offset:         88
        .size:           16
        .value_kind:     by_value
      - .address_space:  global
        .offset:         104
        .size:           8
        .value_kind:     global_buffer
      - .offset:         112
        .size:           4
        .value_kind:     by_value
      - .offset:         116
        .size:           1
        .value_kind:     by_value
    .group_segment_fixed_size: 0
    .kernarg_segment_align: 8
    .kernarg_segment_size: 120
    .language:       OpenCL C
    .language_version:
      - 2
      - 0
    .max_flat_workgroup_size: 128
    .name:           _ZN9rocsparseL18bsrxmvn_4x4_kernelILj128ELj32E21rocsparse_complex_numIdElldS2_S2_EEvT3_20rocsparse_direction_NS_24const_host_device_scalarIT1_EES3_PKS3_PKT2_SC_S9_PKT4_PKT5_S7_PT6_21rocsparse_index_base_b
    .private_segment_fixed_size: 0
    .sgpr_count:     14
    .sgpr_spill_count: 0
    .symbol:         _ZN9rocsparseL18bsrxmvn_4x4_kernelILj128ELj32E21rocsparse_complex_numIdElldS2_S2_EEvT3_20rocsparse_direction_NS_24const_host_device_scalarIT1_EES3_PKS3_PKT2_SC_S9_PKT4_PKT5_S7_PT6_21rocsparse_index_base_b.kd
    .uniform_work_group_size: 1
    .uses_dynamic_stack: false
    .vgpr_count:     144
    .vgpr_spill_count: 0
    .wavefront_size: 32
  - .args:
      - .offset:         0
        .size:           8
        .value_kind:     by_value
      - .offset:         8
        .size:           4
        .value_kind:     by_value
      - .offset:         16
        .size:           16
        .value_kind:     by_value
      - .offset:         32
        .size:           8
        .value_kind:     by_value
      - .actual_access:  read_only
        .address_space:  global
        .offset:         40
        .size:           8
        .value_kind:     global_buffer
      - .actual_access:  read_only
        .address_space:  global
        .offset:         48
        .size:           8
        .value_kind:     global_buffer
      - .actual_access:  read_only
        .address_space:  global
        .offset:         56
        .size:           8
        .value_kind:     global_buffer
      - .actual_access:  read_only
        .address_space:  global
        .offset:         64
        .size:           8
        .value_kind:     global_buffer
      - .actual_access:  read_only
        .address_space:  global
        .offset:         72
        .size:           8
        .value_kind:     global_buffer
      - .actual_access:  read_only
        .address_space:  global
        .offset:         80
        .size:           8
        .value_kind:     global_buffer
      - .offset:         88
        .size:           16
        .value_kind:     by_value
      - .address_space:  global
        .offset:         104
        .size:           8
        .value_kind:     global_buffer
      - .offset:         112
        .size:           4
        .value_kind:     by_value
      - .offset:         116
        .size:           1
        .value_kind:     by_value
    .group_segment_fixed_size: 0
    .kernarg_segment_align: 8
    .kernarg_segment_size: 120
    .language:       OpenCL C
    .language_version:
      - 2
      - 0
    .max_flat_workgroup_size: 128
    .name:           _ZN9rocsparseL18bsrxmvn_4x4_kernelILj128ELj64E21rocsparse_complex_numIdElldS2_S2_EEvT3_20rocsparse_direction_NS_24const_host_device_scalarIT1_EES3_PKS3_PKT2_SC_S9_PKT4_PKT5_S7_PT6_21rocsparse_index_base_b
    .private_segment_fixed_size: 0
    .sgpr_count:     14
    .sgpr_spill_count: 0
    .symbol:         _ZN9rocsparseL18bsrxmvn_4x4_kernelILj128ELj64E21rocsparse_complex_numIdElldS2_S2_EEvT3_20rocsparse_direction_NS_24const_host_device_scalarIT1_EES3_PKS3_PKT2_SC_S9_PKT4_PKT5_S7_PT6_21rocsparse_index_base_b.kd
    .uniform_work_group_size: 1
    .uses_dynamic_stack: false
    .vgpr_count:     144
    .vgpr_spill_count: 0
    .wavefront_size: 32
  - .args:
      - .offset:         0
        .size:           4
        .value_kind:     by_value
      - .offset:         4
        .size:           4
        .value_kind:     by_value
      - .offset:         8
        .size:           8
        .value_kind:     by_value
      - .offset:         16
        .size:           4
        .value_kind:     by_value
      - .actual_access:  read_only
        .address_space:  global
        .offset:         24
        .size:           8
        .value_kind:     global_buffer
      - .actual_access:  read_only
        .address_space:  global
        .offset:         32
        .size:           8
        .value_kind:     global_buffer
      - .actual_access:  read_only
        .address_space:  global
        .offset:         40
        .size:           8
        .value_kind:     global_buffer
      - .actual_access:  read_only
        .address_space:  global
        .offset:         48
        .size:           8
        .value_kind:     global_buffer
      - .actual_access:  read_only
        .address_space:  global
        .offset:         56
        .size:           8
        .value_kind:     global_buffer
      - .actual_access:  read_only
        .address_space:  global
        .offset:         64
        .size:           8
        .value_kind:     global_buffer
      - .offset:         72
        .size:           8
        .value_kind:     by_value
      - .address_space:  global
        .offset:         80
        .size:           8
        .value_kind:     global_buffer
      - .offset:         88
        .size:           4
        .value_kind:     by_value
      - .offset:         92
        .size:           1
        .value_kind:     by_value
    .group_segment_fixed_size: 0
    .kernarg_segment_align: 8
    .kernarg_segment_size: 96
    .language:       OpenCL C
    .language_version:
      - 2
      - 0
    .max_flat_workgroup_size: 128
    .name:           _ZN9rocsparseL18bsrxmvn_4x4_kernelILj128ELj4EdiifddEEvT3_20rocsparse_direction_NS_24const_host_device_scalarIT1_EES1_PKS1_PKT2_SA_S7_PKT4_PKT5_S5_PT6_21rocsparse_index_base_b
    .private_segment_fixed_size: 0
    .sgpr_count:     16
    .sgpr_spill_count: 0
    .symbol:         _ZN9rocsparseL18bsrxmvn_4x4_kernelILj128ELj4EdiifddEEvT3_20rocsparse_direction_NS_24const_host_device_scalarIT1_EES1_PKS1_PKT2_SA_S7_PKT4_PKT5_S5_PT6_21rocsparse_index_base_b.kd
    .uniform_work_group_size: 1
    .uses_dynamic_stack: false
    .vgpr_count:     108
    .vgpr_spill_count: 0
    .wavefront_size: 32
  - .args:
      - .offset:         0
        .size:           4
        .value_kind:     by_value
      - .offset:         4
        .size:           4
        .value_kind:     by_value
      - .offset:         8
        .size:           8
        .value_kind:     by_value
      - .offset:         16
        .size:           4
        .value_kind:     by_value
      - .actual_access:  read_only
        .address_space:  global
        .offset:         24
        .size:           8
        .value_kind:     global_buffer
      - .actual_access:  read_only
        .address_space:  global
        .offset:         32
        .size:           8
        .value_kind:     global_buffer
      - .actual_access:  read_only
        .address_space:  global
        .offset:         40
        .size:           8
        .value_kind:     global_buffer
      - .actual_access:  read_only
        .address_space:  global
        .offset:         48
        .size:           8
        .value_kind:     global_buffer
      - .actual_access:  read_only
        .address_space:  global
        .offset:         56
        .size:           8
        .value_kind:     global_buffer
      - .actual_access:  read_only
        .address_space:  global
        .offset:         64
        .size:           8
        .value_kind:     global_buffer
      - .offset:         72
        .size:           8
        .value_kind:     by_value
      - .address_space:  global
        .offset:         80
        .size:           8
        .value_kind:     global_buffer
      - .offset:         88
        .size:           4
        .value_kind:     by_value
      - .offset:         92
        .size:           1
        .value_kind:     by_value
    .group_segment_fixed_size: 0
    .kernarg_segment_align: 8
    .kernarg_segment_size: 96
    .language:       OpenCL C
    .language_version:
      - 2
      - 0
    .max_flat_workgroup_size: 128
    .name:           _ZN9rocsparseL18bsrxmvn_4x4_kernelILj128ELj8EdiifddEEvT3_20rocsparse_direction_NS_24const_host_device_scalarIT1_EES1_PKS1_PKT2_SA_S7_PKT4_PKT5_S5_PT6_21rocsparse_index_base_b
    .private_segment_fixed_size: 0
    .sgpr_count:     16
    .sgpr_spill_count: 0
    .symbol:         _ZN9rocsparseL18bsrxmvn_4x4_kernelILj128ELj8EdiifddEEvT3_20rocsparse_direction_NS_24const_host_device_scalarIT1_EES1_PKS1_PKT2_SA_S7_PKT4_PKT5_S5_PT6_21rocsparse_index_base_b.kd
    .uniform_work_group_size: 1
    .uses_dynamic_stack: false
    .vgpr_count:     108
    .vgpr_spill_count: 0
    .wavefront_size: 32
  - .args:
      - .offset:         0
        .size:           4
        .value_kind:     by_value
      - .offset:         4
        .size:           4
        .value_kind:     by_value
      - .offset:         8
        .size:           8
        .value_kind:     by_value
      - .offset:         16
        .size:           4
        .value_kind:     by_value
      - .actual_access:  read_only
        .address_space:  global
        .offset:         24
        .size:           8
        .value_kind:     global_buffer
      - .actual_access:  read_only
        .address_space:  global
        .offset:         32
        .size:           8
        .value_kind:     global_buffer
      - .actual_access:  read_only
        .address_space:  global
        .offset:         40
        .size:           8
        .value_kind:     global_buffer
      - .actual_access:  read_only
        .address_space:  global
        .offset:         48
        .size:           8
        .value_kind:     global_buffer
      - .actual_access:  read_only
        .address_space:  global
        .offset:         56
        .size:           8
        .value_kind:     global_buffer
      - .actual_access:  read_only
        .address_space:  global
        .offset:         64
        .size:           8
        .value_kind:     global_buffer
      - .offset:         72
        .size:           8
        .value_kind:     by_value
      - .address_space:  global
        .offset:         80
        .size:           8
        .value_kind:     global_buffer
      - .offset:         88
        .size:           4
        .value_kind:     by_value
      - .offset:         92
        .size:           1
        .value_kind:     by_value
    .group_segment_fixed_size: 0
    .kernarg_segment_align: 8
    .kernarg_segment_size: 96
    .language:       OpenCL C
    .language_version:
      - 2
      - 0
    .max_flat_workgroup_size: 128
    .name:           _ZN9rocsparseL18bsrxmvn_4x4_kernelILj128ELj16EdiifddEEvT3_20rocsparse_direction_NS_24const_host_device_scalarIT1_EES1_PKS1_PKT2_SA_S7_PKT4_PKT5_S5_PT6_21rocsparse_index_base_b
    .private_segment_fixed_size: 0
    .sgpr_count:     16
    .sgpr_spill_count: 0
    .symbol:         _ZN9rocsparseL18bsrxmvn_4x4_kernelILj128ELj16EdiifddEEvT3_20rocsparse_direction_NS_24const_host_device_scalarIT1_EES1_PKS1_PKT2_SA_S7_PKT4_PKT5_S5_PT6_21rocsparse_index_base_b.kd
    .uniform_work_group_size: 1
    .uses_dynamic_stack: false
    .vgpr_count:     108
    .vgpr_spill_count: 0
    .wavefront_size: 32
  - .args:
      - .offset:         0
        .size:           4
        .value_kind:     by_value
      - .offset:         4
        .size:           4
        .value_kind:     by_value
      - .offset:         8
        .size:           8
        .value_kind:     by_value
      - .offset:         16
        .size:           4
        .value_kind:     by_value
      - .actual_access:  read_only
        .address_space:  global
        .offset:         24
        .size:           8
        .value_kind:     global_buffer
      - .actual_access:  read_only
        .address_space:  global
        .offset:         32
        .size:           8
        .value_kind:     global_buffer
      - .actual_access:  read_only
        .address_space:  global
        .offset:         40
        .size:           8
        .value_kind:     global_buffer
      - .actual_access:  read_only
        .address_space:  global
        .offset:         48
        .size:           8
        .value_kind:     global_buffer
      - .actual_access:  read_only
        .address_space:  global
        .offset:         56
        .size:           8
        .value_kind:     global_buffer
      - .actual_access:  read_only
        .address_space:  global
        .offset:         64
        .size:           8
        .value_kind:     global_buffer
      - .offset:         72
        .size:           8
        .value_kind:     by_value
      - .address_space:  global
        .offset:         80
        .size:           8
        .value_kind:     global_buffer
      - .offset:         88
        .size:           4
        .value_kind:     by_value
      - .offset:         92
        .size:           1
        .value_kind:     by_value
    .group_segment_fixed_size: 0
    .kernarg_segment_align: 8
    .kernarg_segment_size: 96
    .language:       OpenCL C
    .language_version:
      - 2
      - 0
    .max_flat_workgroup_size: 128
    .name:           _ZN9rocsparseL18bsrxmvn_4x4_kernelILj128ELj32EdiifddEEvT3_20rocsparse_direction_NS_24const_host_device_scalarIT1_EES1_PKS1_PKT2_SA_S7_PKT4_PKT5_S5_PT6_21rocsparse_index_base_b
    .private_segment_fixed_size: 0
    .sgpr_count:     16
    .sgpr_spill_count: 0
    .symbol:         _ZN9rocsparseL18bsrxmvn_4x4_kernelILj128ELj32EdiifddEEvT3_20rocsparse_direction_NS_24const_host_device_scalarIT1_EES1_PKS1_PKT2_SA_S7_PKT4_PKT5_S5_PT6_21rocsparse_index_base_b.kd
    .uniform_work_group_size: 1
    .uses_dynamic_stack: false
    .vgpr_count:     108
    .vgpr_spill_count: 0
    .wavefront_size: 32
  - .args:
      - .offset:         0
        .size:           4
        .value_kind:     by_value
      - .offset:         4
        .size:           4
        .value_kind:     by_value
      - .offset:         8
        .size:           8
        .value_kind:     by_value
      - .offset:         16
        .size:           4
        .value_kind:     by_value
      - .actual_access:  read_only
        .address_space:  global
        .offset:         24
        .size:           8
        .value_kind:     global_buffer
      - .actual_access:  read_only
        .address_space:  global
        .offset:         32
        .size:           8
        .value_kind:     global_buffer
      - .actual_access:  read_only
        .address_space:  global
        .offset:         40
        .size:           8
        .value_kind:     global_buffer
      - .actual_access:  read_only
        .address_space:  global
        .offset:         48
        .size:           8
        .value_kind:     global_buffer
      - .actual_access:  read_only
        .address_space:  global
        .offset:         56
        .size:           8
        .value_kind:     global_buffer
      - .actual_access:  read_only
        .address_space:  global
        .offset:         64
        .size:           8
        .value_kind:     global_buffer
      - .offset:         72
        .size:           8
        .value_kind:     by_value
      - .address_space:  global
        .offset:         80
        .size:           8
        .value_kind:     global_buffer
      - .offset:         88
        .size:           4
        .value_kind:     by_value
      - .offset:         92
        .size:           1
        .value_kind:     by_value
    .group_segment_fixed_size: 0
    .kernarg_segment_align: 8
    .kernarg_segment_size: 96
    .language:       OpenCL C
    .language_version:
      - 2
      - 0
    .max_flat_workgroup_size: 128
    .name:           _ZN9rocsparseL18bsrxmvn_4x4_kernelILj128ELj64EdiifddEEvT3_20rocsparse_direction_NS_24const_host_device_scalarIT1_EES1_PKS1_PKT2_SA_S7_PKT4_PKT5_S5_PT6_21rocsparse_index_base_b
    .private_segment_fixed_size: 0
    .sgpr_count:     16
    .sgpr_spill_count: 0
    .symbol:         _ZN9rocsparseL18bsrxmvn_4x4_kernelILj128ELj64EdiifddEEvT3_20rocsparse_direction_NS_24const_host_device_scalarIT1_EES1_PKS1_PKT2_SA_S7_PKT4_PKT5_S5_PT6_21rocsparse_index_base_b.kd
    .uniform_work_group_size: 1
    .uses_dynamic_stack: false
    .vgpr_count:     108
    .vgpr_spill_count: 0
    .wavefront_size: 32
  - .args:
      - .offset:         0
        .size:           4
        .value_kind:     by_value
      - .offset:         4
        .size:           4
        .value_kind:     by_value
      - .offset:         8
        .size:           8
        .value_kind:     by_value
      - .offset:         16
        .size:           4
        .value_kind:     by_value
      - .actual_access:  read_only
        .address_space:  global
        .offset:         24
        .size:           8
        .value_kind:     global_buffer
      - .actual_access:  read_only
        .address_space:  global
        .offset:         32
        .size:           8
        .value_kind:     global_buffer
      - .actual_access:  read_only
        .address_space:  global
        .offset:         40
        .size:           8
        .value_kind:     global_buffer
      - .actual_access:  read_only
        .address_space:  global
        .offset:         48
        .size:           8
        .value_kind:     global_buffer
      - .actual_access:  read_only
        .address_space:  global
        .offset:         56
        .size:           8
        .value_kind:     global_buffer
      - .actual_access:  read_only
        .address_space:  global
        .offset:         64
        .size:           8
        .value_kind:     global_buffer
      - .offset:         72
        .size:           8
        .value_kind:     by_value
      - .address_space:  global
        .offset:         80
        .size:           8
        .value_kind:     global_buffer
      - .offset:         88
        .size:           4
        .value_kind:     by_value
      - .offset:         92
        .size:           1
        .value_kind:     by_value
    .group_segment_fixed_size: 0
    .kernarg_segment_align: 8
    .kernarg_segment_size: 96
    .language:       OpenCL C
    .language_version:
      - 2
      - 0
    .max_flat_workgroup_size: 128
    .name:           _ZN9rocsparseL18bsrxmvn_4x4_kernelILj128ELj4EdlifddEEvT3_20rocsparse_direction_NS_24const_host_device_scalarIT1_EES1_PKS1_PKT2_SA_S7_PKT4_PKT5_S5_PT6_21rocsparse_index_base_b
    .private_segment_fixed_size: 0
    .sgpr_count:     16
    .sgpr_spill_count: 0
    .symbol:         _ZN9rocsparseL18bsrxmvn_4x4_kernelILj128ELj4EdlifddEEvT3_20rocsparse_direction_NS_24const_host_device_scalarIT1_EES1_PKS1_PKT2_SA_S7_PKT4_PKT5_S5_PT6_21rocsparse_index_base_b.kd
    .uniform_work_group_size: 1
    .uses_dynamic_stack: false
    .vgpr_count:     120
    .vgpr_spill_count: 0
    .wavefront_size: 32
  - .args:
      - .offset:         0
        .size:           4
        .value_kind:     by_value
      - .offset:         4
        .size:           4
        .value_kind:     by_value
      - .offset:         8
        .size:           8
        .value_kind:     by_value
      - .offset:         16
        .size:           4
        .value_kind:     by_value
      - .actual_access:  read_only
        .address_space:  global
        .offset:         24
        .size:           8
        .value_kind:     global_buffer
      - .actual_access:  read_only
        .address_space:  global
        .offset:         32
        .size:           8
        .value_kind:     global_buffer
      - .actual_access:  read_only
        .address_space:  global
        .offset:         40
        .size:           8
        .value_kind:     global_buffer
      - .actual_access:  read_only
        .address_space:  global
        .offset:         48
        .size:           8
        .value_kind:     global_buffer
      - .actual_access:  read_only
        .address_space:  global
        .offset:         56
        .size:           8
        .value_kind:     global_buffer
      - .actual_access:  read_only
        .address_space:  global
        .offset:         64
        .size:           8
        .value_kind:     global_buffer
      - .offset:         72
        .size:           8
        .value_kind:     by_value
      - .address_space:  global
        .offset:         80
        .size:           8
        .value_kind:     global_buffer
      - .offset:         88
        .size:           4
        .value_kind:     by_value
      - .offset:         92
        .size:           1
        .value_kind:     by_value
    .group_segment_fixed_size: 0
    .kernarg_segment_align: 8
    .kernarg_segment_size: 96
    .language:       OpenCL C
    .language_version:
      - 2
      - 0
    .max_flat_workgroup_size: 128
    .name:           _ZN9rocsparseL18bsrxmvn_4x4_kernelILj128ELj8EdlifddEEvT3_20rocsparse_direction_NS_24const_host_device_scalarIT1_EES1_PKS1_PKT2_SA_S7_PKT4_PKT5_S5_PT6_21rocsparse_index_base_b
    .private_segment_fixed_size: 0
    .sgpr_count:     16
    .sgpr_spill_count: 0
    .symbol:         _ZN9rocsparseL18bsrxmvn_4x4_kernelILj128ELj8EdlifddEEvT3_20rocsparse_direction_NS_24const_host_device_scalarIT1_EES1_PKS1_PKT2_SA_S7_PKT4_PKT5_S5_PT6_21rocsparse_index_base_b.kd
    .uniform_work_group_size: 1
    .uses_dynamic_stack: false
    .vgpr_count:     120
    .vgpr_spill_count: 0
    .wavefront_size: 32
  - .args:
      - .offset:         0
        .size:           4
        .value_kind:     by_value
      - .offset:         4
        .size:           4
        .value_kind:     by_value
      - .offset:         8
        .size:           8
        .value_kind:     by_value
      - .offset:         16
        .size:           4
        .value_kind:     by_value
      - .actual_access:  read_only
        .address_space:  global
        .offset:         24
        .size:           8
        .value_kind:     global_buffer
      - .actual_access:  read_only
        .address_space:  global
        .offset:         32
        .size:           8
        .value_kind:     global_buffer
      - .actual_access:  read_only
        .address_space:  global
        .offset:         40
        .size:           8
        .value_kind:     global_buffer
      - .actual_access:  read_only
        .address_space:  global
        .offset:         48
        .size:           8
        .value_kind:     global_buffer
      - .actual_access:  read_only
        .address_space:  global
        .offset:         56
        .size:           8
        .value_kind:     global_buffer
      - .actual_access:  read_only
        .address_space:  global
        .offset:         64
        .size:           8
        .value_kind:     global_buffer
      - .offset:         72
        .size:           8
        .value_kind:     by_value
      - .address_space:  global
        .offset:         80
        .size:           8
        .value_kind:     global_buffer
      - .offset:         88
        .size:           4
        .value_kind:     by_value
      - .offset:         92
        .size:           1
        .value_kind:     by_value
    .group_segment_fixed_size: 0
    .kernarg_segment_align: 8
    .kernarg_segment_size: 96
    .language:       OpenCL C
    .language_version:
      - 2
      - 0
    .max_flat_workgroup_size: 128
    .name:           _ZN9rocsparseL18bsrxmvn_4x4_kernelILj128ELj16EdlifddEEvT3_20rocsparse_direction_NS_24const_host_device_scalarIT1_EES1_PKS1_PKT2_SA_S7_PKT4_PKT5_S5_PT6_21rocsparse_index_base_b
    .private_segment_fixed_size: 0
    .sgpr_count:     16
    .sgpr_spill_count: 0
    .symbol:         _ZN9rocsparseL18bsrxmvn_4x4_kernelILj128ELj16EdlifddEEvT3_20rocsparse_direction_NS_24const_host_device_scalarIT1_EES1_PKS1_PKT2_SA_S7_PKT4_PKT5_S5_PT6_21rocsparse_index_base_b.kd
    .uniform_work_group_size: 1
    .uses_dynamic_stack: false
    .vgpr_count:     120
    .vgpr_spill_count: 0
    .wavefront_size: 32
  - .args:
      - .offset:         0
        .size:           4
        .value_kind:     by_value
      - .offset:         4
        .size:           4
        .value_kind:     by_value
      - .offset:         8
        .size:           8
        .value_kind:     by_value
      - .offset:         16
        .size:           4
        .value_kind:     by_value
      - .actual_access:  read_only
        .address_space:  global
        .offset:         24
        .size:           8
        .value_kind:     global_buffer
      - .actual_access:  read_only
        .address_space:  global
        .offset:         32
        .size:           8
        .value_kind:     global_buffer
      - .actual_access:  read_only
        .address_space:  global
        .offset:         40
        .size:           8
        .value_kind:     global_buffer
      - .actual_access:  read_only
        .address_space:  global
        .offset:         48
        .size:           8
        .value_kind:     global_buffer
      - .actual_access:  read_only
        .address_space:  global
        .offset:         56
        .size:           8
        .value_kind:     global_buffer
      - .actual_access:  read_only
        .address_space:  global
        .offset:         64
        .size:           8
        .value_kind:     global_buffer
      - .offset:         72
        .size:           8
        .value_kind:     by_value
      - .address_space:  global
        .offset:         80
        .size:           8
        .value_kind:     global_buffer
      - .offset:         88
        .size:           4
        .value_kind:     by_value
      - .offset:         92
        .size:           1
        .value_kind:     by_value
    .group_segment_fixed_size: 0
    .kernarg_segment_align: 8
    .kernarg_segment_size: 96
    .language:       OpenCL C
    .language_version:
      - 2
      - 0
    .max_flat_workgroup_size: 128
    .name:           _ZN9rocsparseL18bsrxmvn_4x4_kernelILj128ELj32EdlifddEEvT3_20rocsparse_direction_NS_24const_host_device_scalarIT1_EES1_PKS1_PKT2_SA_S7_PKT4_PKT5_S5_PT6_21rocsparse_index_base_b
    .private_segment_fixed_size: 0
    .sgpr_count:     16
    .sgpr_spill_count: 0
    .symbol:         _ZN9rocsparseL18bsrxmvn_4x4_kernelILj128ELj32EdlifddEEvT3_20rocsparse_direction_NS_24const_host_device_scalarIT1_EES1_PKS1_PKT2_SA_S7_PKT4_PKT5_S5_PT6_21rocsparse_index_base_b.kd
    .uniform_work_group_size: 1
    .uses_dynamic_stack: false
    .vgpr_count:     120
    .vgpr_spill_count: 0
    .wavefront_size: 32
  - .args:
      - .offset:         0
        .size:           4
        .value_kind:     by_value
      - .offset:         4
        .size:           4
        .value_kind:     by_value
      - .offset:         8
        .size:           8
        .value_kind:     by_value
      - .offset:         16
        .size:           4
        .value_kind:     by_value
      - .actual_access:  read_only
        .address_space:  global
        .offset:         24
        .size:           8
        .value_kind:     global_buffer
      - .actual_access:  read_only
        .address_space:  global
        .offset:         32
        .size:           8
        .value_kind:     global_buffer
      - .actual_access:  read_only
        .address_space:  global
        .offset:         40
        .size:           8
        .value_kind:     global_buffer
      - .actual_access:  read_only
        .address_space:  global
        .offset:         48
        .size:           8
        .value_kind:     global_buffer
      - .actual_access:  read_only
        .address_space:  global
        .offset:         56
        .size:           8
        .value_kind:     global_buffer
      - .actual_access:  read_only
        .address_space:  global
        .offset:         64
        .size:           8
        .value_kind:     global_buffer
      - .offset:         72
        .size:           8
        .value_kind:     by_value
      - .address_space:  global
        .offset:         80
        .size:           8
        .value_kind:     global_buffer
      - .offset:         88
        .size:           4
        .value_kind:     by_value
      - .offset:         92
        .size:           1
        .value_kind:     by_value
    .group_segment_fixed_size: 0
    .kernarg_segment_align: 8
    .kernarg_segment_size: 96
    .language:       OpenCL C
    .language_version:
      - 2
      - 0
    .max_flat_workgroup_size: 128
    .name:           _ZN9rocsparseL18bsrxmvn_4x4_kernelILj128ELj64EdlifddEEvT3_20rocsparse_direction_NS_24const_host_device_scalarIT1_EES1_PKS1_PKT2_SA_S7_PKT4_PKT5_S5_PT6_21rocsparse_index_base_b
    .private_segment_fixed_size: 0
    .sgpr_count:     16
    .sgpr_spill_count: 0
    .symbol:         _ZN9rocsparseL18bsrxmvn_4x4_kernelILj128ELj64EdlifddEEvT3_20rocsparse_direction_NS_24const_host_device_scalarIT1_EES1_PKS1_PKT2_SA_S7_PKT4_PKT5_S5_PT6_21rocsparse_index_base_b.kd
    .uniform_work_group_size: 1
    .uses_dynamic_stack: false
    .vgpr_count:     120
    .vgpr_spill_count: 0
    .wavefront_size: 32
  - .args:
      - .offset:         0
        .size:           8
        .value_kind:     by_value
      - .offset:         8
        .size:           4
        .value_kind:     by_value
      - .offset:         16
        .size:           8
        .value_kind:     by_value
      - .offset:         24
        .size:           8
        .value_kind:     by_value
      - .actual_access:  read_only
        .address_space:  global
        .offset:         32
        .size:           8
        .value_kind:     global_buffer
      - .actual_access:  read_only
        .address_space:  global
        .offset:         40
        .size:           8
        .value_kind:     global_buffer
      - .actual_access:  read_only
        .address_space:  global
        .offset:         48
        .size:           8
        .value_kind:     global_buffer
      - .actual_access:  read_only
        .address_space:  global
        .offset:         56
        .size:           8
        .value_kind:     global_buffer
      - .actual_access:  read_only
        .address_space:  global
        .offset:         64
        .size:           8
        .value_kind:     global_buffer
      - .actual_access:  read_only
        .address_space:  global
        .offset:         72
        .size:           8
        .value_kind:     global_buffer
      - .offset:         80
        .size:           8
        .value_kind:     by_value
      - .address_space:  global
        .offset:         88
        .size:           8
        .value_kind:     global_buffer
      - .offset:         96
        .size:           4
        .value_kind:     by_value
      - .offset:         100
        .size:           1
        .value_kind:     by_value
    .group_segment_fixed_size: 0
    .kernarg_segment_align: 8
    .kernarg_segment_size: 104
    .language:       OpenCL C
    .language_version:
      - 2
      - 0
    .max_flat_workgroup_size: 128
    .name:           _ZN9rocsparseL18bsrxmvn_4x4_kernelILj128ELj4EdllfddEEvT3_20rocsparse_direction_NS_24const_host_device_scalarIT1_EES1_PKS1_PKT2_SA_S7_PKT4_PKT5_S5_PT6_21rocsparse_index_base_b
    .private_segment_fixed_size: 0
    .sgpr_count:     14
    .sgpr_spill_count: 0
    .symbol:         _ZN9rocsparseL18bsrxmvn_4x4_kernelILj128ELj4EdllfddEEvT3_20rocsparse_direction_NS_24const_host_device_scalarIT1_EES1_PKS1_PKT2_SA_S7_PKT4_PKT5_S5_PT6_21rocsparse_index_base_b.kd
    .uniform_work_group_size: 1
    .uses_dynamic_stack: false
    .vgpr_count:     122
    .vgpr_spill_count: 0
    .wavefront_size: 32
  - .args:
      - .offset:         0
        .size:           8
        .value_kind:     by_value
      - .offset:         8
        .size:           4
        .value_kind:     by_value
      - .offset:         16
        .size:           8
        .value_kind:     by_value
      - .offset:         24
        .size:           8
        .value_kind:     by_value
      - .actual_access:  read_only
        .address_space:  global
        .offset:         32
        .size:           8
        .value_kind:     global_buffer
      - .actual_access:  read_only
        .address_space:  global
        .offset:         40
        .size:           8
        .value_kind:     global_buffer
      - .actual_access:  read_only
        .address_space:  global
        .offset:         48
        .size:           8
        .value_kind:     global_buffer
      - .actual_access:  read_only
        .address_space:  global
        .offset:         56
        .size:           8
        .value_kind:     global_buffer
      - .actual_access:  read_only
        .address_space:  global
        .offset:         64
        .size:           8
        .value_kind:     global_buffer
      - .actual_access:  read_only
        .address_space:  global
        .offset:         72
        .size:           8
        .value_kind:     global_buffer
      - .offset:         80
        .size:           8
        .value_kind:     by_value
      - .address_space:  global
        .offset:         88
        .size:           8
        .value_kind:     global_buffer
      - .offset:         96
        .size:           4
        .value_kind:     by_value
      - .offset:         100
        .size:           1
        .value_kind:     by_value
    .group_segment_fixed_size: 0
    .kernarg_segment_align: 8
    .kernarg_segment_size: 104
    .language:       OpenCL C
    .language_version:
      - 2
      - 0
    .max_flat_workgroup_size: 128
    .name:           _ZN9rocsparseL18bsrxmvn_4x4_kernelILj128ELj8EdllfddEEvT3_20rocsparse_direction_NS_24const_host_device_scalarIT1_EES1_PKS1_PKT2_SA_S7_PKT4_PKT5_S5_PT6_21rocsparse_index_base_b
    .private_segment_fixed_size: 0
    .sgpr_count:     14
    .sgpr_spill_count: 0
    .symbol:         _ZN9rocsparseL18bsrxmvn_4x4_kernelILj128ELj8EdllfddEEvT3_20rocsparse_direction_NS_24const_host_device_scalarIT1_EES1_PKS1_PKT2_SA_S7_PKT4_PKT5_S5_PT6_21rocsparse_index_base_b.kd
    .uniform_work_group_size: 1
    .uses_dynamic_stack: false
    .vgpr_count:     122
    .vgpr_spill_count: 0
    .wavefront_size: 32
  - .args:
      - .offset:         0
        .size:           8
        .value_kind:     by_value
      - .offset:         8
        .size:           4
        .value_kind:     by_value
      - .offset:         16
        .size:           8
        .value_kind:     by_value
      - .offset:         24
        .size:           8
        .value_kind:     by_value
      - .actual_access:  read_only
        .address_space:  global
        .offset:         32
        .size:           8
        .value_kind:     global_buffer
      - .actual_access:  read_only
        .address_space:  global
        .offset:         40
        .size:           8
        .value_kind:     global_buffer
      - .actual_access:  read_only
        .address_space:  global
        .offset:         48
        .size:           8
        .value_kind:     global_buffer
      - .actual_access:  read_only
        .address_space:  global
        .offset:         56
        .size:           8
        .value_kind:     global_buffer
      - .actual_access:  read_only
        .address_space:  global
        .offset:         64
        .size:           8
        .value_kind:     global_buffer
      - .actual_access:  read_only
        .address_space:  global
        .offset:         72
        .size:           8
        .value_kind:     global_buffer
      - .offset:         80
        .size:           8
        .value_kind:     by_value
      - .address_space:  global
        .offset:         88
        .size:           8
        .value_kind:     global_buffer
      - .offset:         96
        .size:           4
        .value_kind:     by_value
      - .offset:         100
        .size:           1
        .value_kind:     by_value
    .group_segment_fixed_size: 0
    .kernarg_segment_align: 8
    .kernarg_segment_size: 104
    .language:       OpenCL C
    .language_version:
      - 2
      - 0
    .max_flat_workgroup_size: 128
    .name:           _ZN9rocsparseL18bsrxmvn_4x4_kernelILj128ELj16EdllfddEEvT3_20rocsparse_direction_NS_24const_host_device_scalarIT1_EES1_PKS1_PKT2_SA_S7_PKT4_PKT5_S5_PT6_21rocsparse_index_base_b
    .private_segment_fixed_size: 0
    .sgpr_count:     14
    .sgpr_spill_count: 0
    .symbol:         _ZN9rocsparseL18bsrxmvn_4x4_kernelILj128ELj16EdllfddEEvT3_20rocsparse_direction_NS_24const_host_device_scalarIT1_EES1_PKS1_PKT2_SA_S7_PKT4_PKT5_S5_PT6_21rocsparse_index_base_b.kd
    .uniform_work_group_size: 1
    .uses_dynamic_stack: false
    .vgpr_count:     122
    .vgpr_spill_count: 0
    .wavefront_size: 32
  - .args:
      - .offset:         0
        .size:           8
        .value_kind:     by_value
      - .offset:         8
        .size:           4
        .value_kind:     by_value
      - .offset:         16
        .size:           8
        .value_kind:     by_value
      - .offset:         24
        .size:           8
        .value_kind:     by_value
      - .actual_access:  read_only
        .address_space:  global
        .offset:         32
        .size:           8
        .value_kind:     global_buffer
      - .actual_access:  read_only
        .address_space:  global
        .offset:         40
        .size:           8
        .value_kind:     global_buffer
      - .actual_access:  read_only
        .address_space:  global
        .offset:         48
        .size:           8
        .value_kind:     global_buffer
      - .actual_access:  read_only
        .address_space:  global
        .offset:         56
        .size:           8
        .value_kind:     global_buffer
      - .actual_access:  read_only
        .address_space:  global
        .offset:         64
        .size:           8
        .value_kind:     global_buffer
      - .actual_access:  read_only
        .address_space:  global
        .offset:         72
        .size:           8
        .value_kind:     global_buffer
      - .offset:         80
        .size:           8
        .value_kind:     by_value
      - .address_space:  global
        .offset:         88
        .size:           8
        .value_kind:     global_buffer
      - .offset:         96
        .size:           4
        .value_kind:     by_value
      - .offset:         100
        .size:           1
        .value_kind:     by_value
    .group_segment_fixed_size: 0
    .kernarg_segment_align: 8
    .kernarg_segment_size: 104
    .language:       OpenCL C
    .language_version:
      - 2
      - 0
    .max_flat_workgroup_size: 128
    .name:           _ZN9rocsparseL18bsrxmvn_4x4_kernelILj128ELj32EdllfddEEvT3_20rocsparse_direction_NS_24const_host_device_scalarIT1_EES1_PKS1_PKT2_SA_S7_PKT4_PKT5_S5_PT6_21rocsparse_index_base_b
    .private_segment_fixed_size: 0
    .sgpr_count:     14
    .sgpr_spill_count: 0
    .symbol:         _ZN9rocsparseL18bsrxmvn_4x4_kernelILj128ELj32EdllfddEEvT3_20rocsparse_direction_NS_24const_host_device_scalarIT1_EES1_PKS1_PKT2_SA_S7_PKT4_PKT5_S5_PT6_21rocsparse_index_base_b.kd
    .uniform_work_group_size: 1
    .uses_dynamic_stack: false
    .vgpr_count:     122
    .vgpr_spill_count: 0
    .wavefront_size: 32
  - .args:
      - .offset:         0
        .size:           8
        .value_kind:     by_value
      - .offset:         8
        .size:           4
        .value_kind:     by_value
      - .offset:         16
        .size:           8
        .value_kind:     by_value
      - .offset:         24
        .size:           8
        .value_kind:     by_value
      - .actual_access:  read_only
        .address_space:  global
        .offset:         32
        .size:           8
        .value_kind:     global_buffer
      - .actual_access:  read_only
        .address_space:  global
        .offset:         40
        .size:           8
        .value_kind:     global_buffer
      - .actual_access:  read_only
        .address_space:  global
        .offset:         48
        .size:           8
        .value_kind:     global_buffer
      - .actual_access:  read_only
        .address_space:  global
        .offset:         56
        .size:           8
        .value_kind:     global_buffer
      - .actual_access:  read_only
        .address_space:  global
        .offset:         64
        .size:           8
        .value_kind:     global_buffer
      - .actual_access:  read_only
        .address_space:  global
        .offset:         72
        .size:           8
        .value_kind:     global_buffer
      - .offset:         80
        .size:           8
        .value_kind:     by_value
      - .address_space:  global
        .offset:         88
        .size:           8
        .value_kind:     global_buffer
      - .offset:         96
        .size:           4
        .value_kind:     by_value
      - .offset:         100
        .size:           1
        .value_kind:     by_value
    .group_segment_fixed_size: 0
    .kernarg_segment_align: 8
    .kernarg_segment_size: 104
    .language:       OpenCL C
    .language_version:
      - 2
      - 0
    .max_flat_workgroup_size: 128
    .name:           _ZN9rocsparseL18bsrxmvn_4x4_kernelILj128ELj64EdllfddEEvT3_20rocsparse_direction_NS_24const_host_device_scalarIT1_EES1_PKS1_PKT2_SA_S7_PKT4_PKT5_S5_PT6_21rocsparse_index_base_b
    .private_segment_fixed_size: 0
    .sgpr_count:     14
    .sgpr_spill_count: 0
    .symbol:         _ZN9rocsparseL18bsrxmvn_4x4_kernelILj128ELj64EdllfddEEvT3_20rocsparse_direction_NS_24const_host_device_scalarIT1_EES1_PKS1_PKT2_SA_S7_PKT4_PKT5_S5_PT6_21rocsparse_index_base_b.kd
    .uniform_work_group_size: 1
    .uses_dynamic_stack: false
    .vgpr_count:     122
    .vgpr_spill_count: 0
    .wavefront_size: 32
  - .args:
      - .offset:         0
        .size:           4
        .value_kind:     by_value
      - .offset:         4
        .size:           4
        .value_kind:     by_value
      - .offset:         8
        .size:           16
        .value_kind:     by_value
      - .offset:         24
        .size:           4
        .value_kind:     by_value
      - .actual_access:  read_only
        .address_space:  global
        .offset:         32
        .size:           8
        .value_kind:     global_buffer
      - .actual_access:  read_only
        .address_space:  global
        .offset:         40
        .size:           8
        .value_kind:     global_buffer
      - .actual_access:  read_only
        .address_space:  global
        .offset:         48
        .size:           8
        .value_kind:     global_buffer
      - .actual_access:  read_only
        .address_space:  global
        .offset:         56
        .size:           8
        .value_kind:     global_buffer
      - .actual_access:  read_only
        .address_space:  global
        .offset:         64
        .size:           8
        .value_kind:     global_buffer
      - .actual_access:  read_only
        .address_space:  global
        .offset:         72
        .size:           8
        .value_kind:     global_buffer
      - .offset:         80
        .size:           16
        .value_kind:     by_value
      - .address_space:  global
        .offset:         96
        .size:           8
        .value_kind:     global_buffer
      - .offset:         104
        .size:           4
        .value_kind:     by_value
      - .offset:         108
        .size:           1
        .value_kind:     by_value
    .group_segment_fixed_size: 0
    .kernarg_segment_align: 8
    .kernarg_segment_size: 112
    .language:       OpenCL C
    .language_version:
      - 2
      - 0
    .max_flat_workgroup_size: 128
    .name:           _ZN9rocsparseL18bsrxmvn_4x4_kernelILj128ELj4E21rocsparse_complex_numIdEiiS1_IfES2_S2_EEvT3_20rocsparse_direction_NS_24const_host_device_scalarIT1_EES4_PKS4_PKT2_SD_SA_PKT4_PKT5_S8_PT6_21rocsparse_index_base_b
    .private_segment_fixed_size: 0
    .sgpr_count:     16
    .sgpr_spill_count: 0
    .symbol:         _ZN9rocsparseL18bsrxmvn_4x4_kernelILj128ELj4E21rocsparse_complex_numIdEiiS1_IfES2_S2_EEvT3_20rocsparse_direction_NS_24const_host_device_scalarIT1_EES4_PKS4_PKT2_SD_SA_PKT4_PKT5_S8_PT6_21rocsparse_index_base_b.kd
    .uniform_work_group_size: 1
    .uses_dynamic_stack: false
    .vgpr_count:     140
    .vgpr_spill_count: 0
    .wavefront_size: 32
  - .args:
      - .offset:         0
        .size:           4
        .value_kind:     by_value
      - .offset:         4
        .size:           4
        .value_kind:     by_value
      - .offset:         8
        .size:           16
        .value_kind:     by_value
      - .offset:         24
        .size:           4
        .value_kind:     by_value
      - .actual_access:  read_only
        .address_space:  global
        .offset:         32
        .size:           8
        .value_kind:     global_buffer
      - .actual_access:  read_only
        .address_space:  global
        .offset:         40
        .size:           8
        .value_kind:     global_buffer
      - .actual_access:  read_only
        .address_space:  global
        .offset:         48
        .size:           8
        .value_kind:     global_buffer
      - .actual_access:  read_only
        .address_space:  global
        .offset:         56
        .size:           8
        .value_kind:     global_buffer
      - .actual_access:  read_only
        .address_space:  global
        .offset:         64
        .size:           8
        .value_kind:     global_buffer
      - .actual_access:  read_only
        .address_space:  global
        .offset:         72
        .size:           8
        .value_kind:     global_buffer
      - .offset:         80
        .size:           16
        .value_kind:     by_value
      - .address_space:  global
        .offset:         96
        .size:           8
        .value_kind:     global_buffer
      - .offset:         104
        .size:           4
        .value_kind:     by_value
      - .offset:         108
        .size:           1
        .value_kind:     by_value
    .group_segment_fixed_size: 0
    .kernarg_segment_align: 8
    .kernarg_segment_size: 112
    .language:       OpenCL C
    .language_version:
      - 2
      - 0
    .max_flat_workgroup_size: 128
    .name:           _ZN9rocsparseL18bsrxmvn_4x4_kernelILj128ELj8E21rocsparse_complex_numIdEiiS1_IfES2_S2_EEvT3_20rocsparse_direction_NS_24const_host_device_scalarIT1_EES4_PKS4_PKT2_SD_SA_PKT4_PKT5_S8_PT6_21rocsparse_index_base_b
    .private_segment_fixed_size: 0
    .sgpr_count:     16
    .sgpr_spill_count: 0
    .symbol:         _ZN9rocsparseL18bsrxmvn_4x4_kernelILj128ELj8E21rocsparse_complex_numIdEiiS1_IfES2_S2_EEvT3_20rocsparse_direction_NS_24const_host_device_scalarIT1_EES4_PKS4_PKT2_SD_SA_PKT4_PKT5_S8_PT6_21rocsparse_index_base_b.kd
    .uniform_work_group_size: 1
    .uses_dynamic_stack: false
    .vgpr_count:     140
    .vgpr_spill_count: 0
    .wavefront_size: 32
  - .args:
      - .offset:         0
        .size:           4
        .value_kind:     by_value
      - .offset:         4
        .size:           4
        .value_kind:     by_value
      - .offset:         8
        .size:           16
        .value_kind:     by_value
      - .offset:         24
        .size:           4
        .value_kind:     by_value
      - .actual_access:  read_only
        .address_space:  global
        .offset:         32
        .size:           8
        .value_kind:     global_buffer
      - .actual_access:  read_only
        .address_space:  global
        .offset:         40
        .size:           8
        .value_kind:     global_buffer
      - .actual_access:  read_only
        .address_space:  global
        .offset:         48
        .size:           8
        .value_kind:     global_buffer
      - .actual_access:  read_only
        .address_space:  global
        .offset:         56
        .size:           8
        .value_kind:     global_buffer
      - .actual_access:  read_only
        .address_space:  global
        .offset:         64
        .size:           8
        .value_kind:     global_buffer
      - .actual_access:  read_only
        .address_space:  global
        .offset:         72
        .size:           8
        .value_kind:     global_buffer
      - .offset:         80
        .size:           16
        .value_kind:     by_value
      - .address_space:  global
        .offset:         96
        .size:           8
        .value_kind:     global_buffer
      - .offset:         104
        .size:           4
        .value_kind:     by_value
      - .offset:         108
        .size:           1
        .value_kind:     by_value
    .group_segment_fixed_size: 0
    .kernarg_segment_align: 8
    .kernarg_segment_size: 112
    .language:       OpenCL C
    .language_version:
      - 2
      - 0
    .max_flat_workgroup_size: 128
    .name:           _ZN9rocsparseL18bsrxmvn_4x4_kernelILj128ELj16E21rocsparse_complex_numIdEiiS1_IfES2_S2_EEvT3_20rocsparse_direction_NS_24const_host_device_scalarIT1_EES4_PKS4_PKT2_SD_SA_PKT4_PKT5_S8_PT6_21rocsparse_index_base_b
    .private_segment_fixed_size: 0
    .sgpr_count:     16
    .sgpr_spill_count: 0
    .symbol:         _ZN9rocsparseL18bsrxmvn_4x4_kernelILj128ELj16E21rocsparse_complex_numIdEiiS1_IfES2_S2_EEvT3_20rocsparse_direction_NS_24const_host_device_scalarIT1_EES4_PKS4_PKT2_SD_SA_PKT4_PKT5_S8_PT6_21rocsparse_index_base_b.kd
    .uniform_work_group_size: 1
    .uses_dynamic_stack: false
    .vgpr_count:     140
    .vgpr_spill_count: 0
    .wavefront_size: 32
  - .args:
      - .offset:         0
        .size:           4
        .value_kind:     by_value
      - .offset:         4
        .size:           4
        .value_kind:     by_value
      - .offset:         8
        .size:           16
        .value_kind:     by_value
      - .offset:         24
        .size:           4
        .value_kind:     by_value
      - .actual_access:  read_only
        .address_space:  global
        .offset:         32
        .size:           8
        .value_kind:     global_buffer
      - .actual_access:  read_only
        .address_space:  global
        .offset:         40
        .size:           8
        .value_kind:     global_buffer
      - .actual_access:  read_only
        .address_space:  global
        .offset:         48
        .size:           8
        .value_kind:     global_buffer
      - .actual_access:  read_only
        .address_space:  global
        .offset:         56
        .size:           8
        .value_kind:     global_buffer
      - .actual_access:  read_only
        .address_space:  global
        .offset:         64
        .size:           8
        .value_kind:     global_buffer
      - .actual_access:  read_only
        .address_space:  global
        .offset:         72
        .size:           8
        .value_kind:     global_buffer
      - .offset:         80
        .size:           16
        .value_kind:     by_value
      - .address_space:  global
        .offset:         96
        .size:           8
        .value_kind:     global_buffer
      - .offset:         104
        .size:           4
        .value_kind:     by_value
      - .offset:         108
        .size:           1
        .value_kind:     by_value
    .group_segment_fixed_size: 0
    .kernarg_segment_align: 8
    .kernarg_segment_size: 112
    .language:       OpenCL C
    .language_version:
      - 2
      - 0
    .max_flat_workgroup_size: 128
    .name:           _ZN9rocsparseL18bsrxmvn_4x4_kernelILj128ELj32E21rocsparse_complex_numIdEiiS1_IfES2_S2_EEvT3_20rocsparse_direction_NS_24const_host_device_scalarIT1_EES4_PKS4_PKT2_SD_SA_PKT4_PKT5_S8_PT6_21rocsparse_index_base_b
    .private_segment_fixed_size: 0
    .sgpr_count:     16
    .sgpr_spill_count: 0
    .symbol:         _ZN9rocsparseL18bsrxmvn_4x4_kernelILj128ELj32E21rocsparse_complex_numIdEiiS1_IfES2_S2_EEvT3_20rocsparse_direction_NS_24const_host_device_scalarIT1_EES4_PKS4_PKT2_SD_SA_PKT4_PKT5_S8_PT6_21rocsparse_index_base_b.kd
    .uniform_work_group_size: 1
    .uses_dynamic_stack: false
    .vgpr_count:     140
    .vgpr_spill_count: 0
    .wavefront_size: 32
  - .args:
      - .offset:         0
        .size:           4
        .value_kind:     by_value
      - .offset:         4
        .size:           4
        .value_kind:     by_value
      - .offset:         8
        .size:           16
        .value_kind:     by_value
      - .offset:         24
        .size:           4
        .value_kind:     by_value
      - .actual_access:  read_only
        .address_space:  global
        .offset:         32
        .size:           8
        .value_kind:     global_buffer
      - .actual_access:  read_only
        .address_space:  global
        .offset:         40
        .size:           8
        .value_kind:     global_buffer
      - .actual_access:  read_only
        .address_space:  global
        .offset:         48
        .size:           8
        .value_kind:     global_buffer
      - .actual_access:  read_only
        .address_space:  global
        .offset:         56
        .size:           8
        .value_kind:     global_buffer
      - .actual_access:  read_only
        .address_space:  global
        .offset:         64
        .size:           8
        .value_kind:     global_buffer
      - .actual_access:  read_only
        .address_space:  global
        .offset:         72
        .size:           8
        .value_kind:     global_buffer
      - .offset:         80
        .size:           16
        .value_kind:     by_value
      - .address_space:  global
        .offset:         96
        .size:           8
        .value_kind:     global_buffer
      - .offset:         104
        .size:           4
        .value_kind:     by_value
      - .offset:         108
        .size:           1
        .value_kind:     by_value
    .group_segment_fixed_size: 0
    .kernarg_segment_align: 8
    .kernarg_segment_size: 112
    .language:       OpenCL C
    .language_version:
      - 2
      - 0
    .max_flat_workgroup_size: 128
    .name:           _ZN9rocsparseL18bsrxmvn_4x4_kernelILj128ELj64E21rocsparse_complex_numIdEiiS1_IfES2_S2_EEvT3_20rocsparse_direction_NS_24const_host_device_scalarIT1_EES4_PKS4_PKT2_SD_SA_PKT4_PKT5_S8_PT6_21rocsparse_index_base_b
    .private_segment_fixed_size: 0
    .sgpr_count:     16
    .sgpr_spill_count: 0
    .symbol:         _ZN9rocsparseL18bsrxmvn_4x4_kernelILj128ELj64E21rocsparse_complex_numIdEiiS1_IfES2_S2_EEvT3_20rocsparse_direction_NS_24const_host_device_scalarIT1_EES4_PKS4_PKT2_SD_SA_PKT4_PKT5_S8_PT6_21rocsparse_index_base_b.kd
    .uniform_work_group_size: 1
    .uses_dynamic_stack: false
    .vgpr_count:     140
    .vgpr_spill_count: 0
    .wavefront_size: 32
  - .args:
      - .offset:         0
        .size:           4
        .value_kind:     by_value
      - .offset:         4
        .size:           4
        .value_kind:     by_value
      - .offset:         8
        .size:           16
        .value_kind:     by_value
      - .offset:         24
        .size:           4
        .value_kind:     by_value
      - .actual_access:  read_only
        .address_space:  global
        .offset:         32
        .size:           8
        .value_kind:     global_buffer
      - .actual_access:  read_only
        .address_space:  global
        .offset:         40
        .size:           8
        .value_kind:     global_buffer
      - .actual_access:  read_only
        .address_space:  global
        .offset:         48
        .size:           8
        .value_kind:     global_buffer
      - .actual_access:  read_only
        .address_space:  global
        .offset:         56
        .size:           8
        .value_kind:     global_buffer
      - .actual_access:  read_only
        .address_space:  global
        .offset:         64
        .size:           8
        .value_kind:     global_buffer
      - .actual_access:  read_only
        .address_space:  global
        .offset:         72
        .size:           8
        .value_kind:     global_buffer
      - .offset:         80
        .size:           16
        .value_kind:     by_value
      - .address_space:  global
        .offset:         96
        .size:           8
        .value_kind:     global_buffer
      - .offset:         104
        .size:           4
        .value_kind:     by_value
      - .offset:         108
        .size:           1
        .value_kind:     by_value
    .group_segment_fixed_size: 0
    .kernarg_segment_align: 8
    .kernarg_segment_size: 112
    .language:       OpenCL C
    .language_version:
      - 2
      - 0
    .max_flat_workgroup_size: 128
    .name:           _ZN9rocsparseL18bsrxmvn_4x4_kernelILj128ELj4E21rocsparse_complex_numIdEliS1_IfES2_S2_EEvT3_20rocsparse_direction_NS_24const_host_device_scalarIT1_EES4_PKS4_PKT2_SD_SA_PKT4_PKT5_S8_PT6_21rocsparse_index_base_b
    .private_segment_fixed_size: 0
    .sgpr_count:     16
    .sgpr_spill_count: 0
    .symbol:         _ZN9rocsparseL18bsrxmvn_4x4_kernelILj128ELj4E21rocsparse_complex_numIdEliS1_IfES2_S2_EEvT3_20rocsparse_direction_NS_24const_host_device_scalarIT1_EES4_PKS4_PKT2_SD_SA_PKT4_PKT5_S8_PT6_21rocsparse_index_base_b.kd
    .uniform_work_group_size: 1
    .uses_dynamic_stack: false
    .vgpr_count:     148
    .vgpr_spill_count: 0
    .wavefront_size: 32
  - .args:
      - .offset:         0
        .size:           4
        .value_kind:     by_value
      - .offset:         4
        .size:           4
        .value_kind:     by_value
      - .offset:         8
        .size:           16
        .value_kind:     by_value
      - .offset:         24
        .size:           4
        .value_kind:     by_value
      - .actual_access:  read_only
        .address_space:  global
        .offset:         32
        .size:           8
        .value_kind:     global_buffer
      - .actual_access:  read_only
        .address_space:  global
        .offset:         40
        .size:           8
        .value_kind:     global_buffer
      - .actual_access:  read_only
        .address_space:  global
        .offset:         48
        .size:           8
        .value_kind:     global_buffer
      - .actual_access:  read_only
        .address_space:  global
        .offset:         56
        .size:           8
        .value_kind:     global_buffer
      - .actual_access:  read_only
        .address_space:  global
        .offset:         64
        .size:           8
        .value_kind:     global_buffer
      - .actual_access:  read_only
        .address_space:  global
        .offset:         72
        .size:           8
        .value_kind:     global_buffer
      - .offset:         80
        .size:           16
        .value_kind:     by_value
      - .address_space:  global
        .offset:         96
        .size:           8
        .value_kind:     global_buffer
      - .offset:         104
        .size:           4
        .value_kind:     by_value
      - .offset:         108
        .size:           1
        .value_kind:     by_value
    .group_segment_fixed_size: 0
    .kernarg_segment_align: 8
    .kernarg_segment_size: 112
    .language:       OpenCL C
    .language_version:
      - 2
      - 0
    .max_flat_workgroup_size: 128
    .name:           _ZN9rocsparseL18bsrxmvn_4x4_kernelILj128ELj8E21rocsparse_complex_numIdEliS1_IfES2_S2_EEvT3_20rocsparse_direction_NS_24const_host_device_scalarIT1_EES4_PKS4_PKT2_SD_SA_PKT4_PKT5_S8_PT6_21rocsparse_index_base_b
    .private_segment_fixed_size: 0
    .sgpr_count:     16
    .sgpr_spill_count: 0
    .symbol:         _ZN9rocsparseL18bsrxmvn_4x4_kernelILj128ELj8E21rocsparse_complex_numIdEliS1_IfES2_S2_EEvT3_20rocsparse_direction_NS_24const_host_device_scalarIT1_EES4_PKS4_PKT2_SD_SA_PKT4_PKT5_S8_PT6_21rocsparse_index_base_b.kd
    .uniform_work_group_size: 1
    .uses_dynamic_stack: false
    .vgpr_count:     148
    .vgpr_spill_count: 0
    .wavefront_size: 32
  - .args:
      - .offset:         0
        .size:           4
        .value_kind:     by_value
      - .offset:         4
        .size:           4
        .value_kind:     by_value
      - .offset:         8
        .size:           16
        .value_kind:     by_value
      - .offset:         24
        .size:           4
        .value_kind:     by_value
      - .actual_access:  read_only
        .address_space:  global
        .offset:         32
        .size:           8
        .value_kind:     global_buffer
      - .actual_access:  read_only
        .address_space:  global
        .offset:         40
        .size:           8
        .value_kind:     global_buffer
      - .actual_access:  read_only
        .address_space:  global
        .offset:         48
        .size:           8
        .value_kind:     global_buffer
      - .actual_access:  read_only
        .address_space:  global
        .offset:         56
        .size:           8
        .value_kind:     global_buffer
      - .actual_access:  read_only
        .address_space:  global
        .offset:         64
        .size:           8
        .value_kind:     global_buffer
      - .actual_access:  read_only
        .address_space:  global
        .offset:         72
        .size:           8
        .value_kind:     global_buffer
      - .offset:         80
        .size:           16
        .value_kind:     by_value
      - .address_space:  global
        .offset:         96
        .size:           8
        .value_kind:     global_buffer
      - .offset:         104
        .size:           4
        .value_kind:     by_value
      - .offset:         108
        .size:           1
        .value_kind:     by_value
    .group_segment_fixed_size: 0
    .kernarg_segment_align: 8
    .kernarg_segment_size: 112
    .language:       OpenCL C
    .language_version:
      - 2
      - 0
    .max_flat_workgroup_size: 128
    .name:           _ZN9rocsparseL18bsrxmvn_4x4_kernelILj128ELj16E21rocsparse_complex_numIdEliS1_IfES2_S2_EEvT3_20rocsparse_direction_NS_24const_host_device_scalarIT1_EES4_PKS4_PKT2_SD_SA_PKT4_PKT5_S8_PT6_21rocsparse_index_base_b
    .private_segment_fixed_size: 0
    .sgpr_count:     16
    .sgpr_spill_count: 0
    .symbol:         _ZN9rocsparseL18bsrxmvn_4x4_kernelILj128ELj16E21rocsparse_complex_numIdEliS1_IfES2_S2_EEvT3_20rocsparse_direction_NS_24const_host_device_scalarIT1_EES4_PKS4_PKT2_SD_SA_PKT4_PKT5_S8_PT6_21rocsparse_index_base_b.kd
    .uniform_work_group_size: 1
    .uses_dynamic_stack: false
    .vgpr_count:     148
    .vgpr_spill_count: 0
    .wavefront_size: 32
  - .args:
      - .offset:         0
        .size:           4
        .value_kind:     by_value
      - .offset:         4
        .size:           4
        .value_kind:     by_value
      - .offset:         8
        .size:           16
        .value_kind:     by_value
      - .offset:         24
        .size:           4
        .value_kind:     by_value
      - .actual_access:  read_only
        .address_space:  global
        .offset:         32
        .size:           8
        .value_kind:     global_buffer
      - .actual_access:  read_only
        .address_space:  global
        .offset:         40
        .size:           8
        .value_kind:     global_buffer
      - .actual_access:  read_only
        .address_space:  global
        .offset:         48
        .size:           8
        .value_kind:     global_buffer
      - .actual_access:  read_only
        .address_space:  global
        .offset:         56
        .size:           8
        .value_kind:     global_buffer
      - .actual_access:  read_only
        .address_space:  global
        .offset:         64
        .size:           8
        .value_kind:     global_buffer
      - .actual_access:  read_only
        .address_space:  global
        .offset:         72
        .size:           8
        .value_kind:     global_buffer
      - .offset:         80
        .size:           16
        .value_kind:     by_value
      - .address_space:  global
        .offset:         96
        .size:           8
        .value_kind:     global_buffer
      - .offset:         104
        .size:           4
        .value_kind:     by_value
      - .offset:         108
        .size:           1
        .value_kind:     by_value
    .group_segment_fixed_size: 0
    .kernarg_segment_align: 8
    .kernarg_segment_size: 112
    .language:       OpenCL C
    .language_version:
      - 2
      - 0
    .max_flat_workgroup_size: 128
    .name:           _ZN9rocsparseL18bsrxmvn_4x4_kernelILj128ELj32E21rocsparse_complex_numIdEliS1_IfES2_S2_EEvT3_20rocsparse_direction_NS_24const_host_device_scalarIT1_EES4_PKS4_PKT2_SD_SA_PKT4_PKT5_S8_PT6_21rocsparse_index_base_b
    .private_segment_fixed_size: 0
    .sgpr_count:     16
    .sgpr_spill_count: 0
    .symbol:         _ZN9rocsparseL18bsrxmvn_4x4_kernelILj128ELj32E21rocsparse_complex_numIdEliS1_IfES2_S2_EEvT3_20rocsparse_direction_NS_24const_host_device_scalarIT1_EES4_PKS4_PKT2_SD_SA_PKT4_PKT5_S8_PT6_21rocsparse_index_base_b.kd
    .uniform_work_group_size: 1
    .uses_dynamic_stack: false
    .vgpr_count:     148
    .vgpr_spill_count: 0
    .wavefront_size: 32
  - .args:
      - .offset:         0
        .size:           4
        .value_kind:     by_value
      - .offset:         4
        .size:           4
        .value_kind:     by_value
      - .offset:         8
        .size:           16
        .value_kind:     by_value
      - .offset:         24
        .size:           4
        .value_kind:     by_value
      - .actual_access:  read_only
        .address_space:  global
        .offset:         32
        .size:           8
        .value_kind:     global_buffer
      - .actual_access:  read_only
        .address_space:  global
        .offset:         40
        .size:           8
        .value_kind:     global_buffer
      - .actual_access:  read_only
        .address_space:  global
        .offset:         48
        .size:           8
        .value_kind:     global_buffer
      - .actual_access:  read_only
        .address_space:  global
        .offset:         56
        .size:           8
        .value_kind:     global_buffer
      - .actual_access:  read_only
        .address_space:  global
        .offset:         64
        .size:           8
        .value_kind:     global_buffer
      - .actual_access:  read_only
        .address_space:  global
        .offset:         72
        .size:           8
        .value_kind:     global_buffer
      - .offset:         80
        .size:           16
        .value_kind:     by_value
      - .address_space:  global
        .offset:         96
        .size:           8
        .value_kind:     global_buffer
      - .offset:         104
        .size:           4
        .value_kind:     by_value
      - .offset:         108
        .size:           1
        .value_kind:     by_value
    .group_segment_fixed_size: 0
    .kernarg_segment_align: 8
    .kernarg_segment_size: 112
    .language:       OpenCL C
    .language_version:
      - 2
      - 0
    .max_flat_workgroup_size: 128
    .name:           _ZN9rocsparseL18bsrxmvn_4x4_kernelILj128ELj64E21rocsparse_complex_numIdEliS1_IfES2_S2_EEvT3_20rocsparse_direction_NS_24const_host_device_scalarIT1_EES4_PKS4_PKT2_SD_SA_PKT4_PKT5_S8_PT6_21rocsparse_index_base_b
    .private_segment_fixed_size: 0
    .sgpr_count:     16
    .sgpr_spill_count: 0
    .symbol:         _ZN9rocsparseL18bsrxmvn_4x4_kernelILj128ELj64E21rocsparse_complex_numIdEliS1_IfES2_S2_EEvT3_20rocsparse_direction_NS_24const_host_device_scalarIT1_EES4_PKS4_PKT2_SD_SA_PKT4_PKT5_S8_PT6_21rocsparse_index_base_b.kd
    .uniform_work_group_size: 1
    .uses_dynamic_stack: false
    .vgpr_count:     148
    .vgpr_spill_count: 0
    .wavefront_size: 32
  - .args:
      - .offset:         0
        .size:           8
        .value_kind:     by_value
      - .offset:         8
        .size:           4
        .value_kind:     by_value
      - .offset:         16
        .size:           16
        .value_kind:     by_value
      - .offset:         32
        .size:           8
        .value_kind:     by_value
      - .actual_access:  read_only
        .address_space:  global
        .offset:         40
        .size:           8
        .value_kind:     global_buffer
      - .actual_access:  read_only
        .address_space:  global
        .offset:         48
        .size:           8
        .value_kind:     global_buffer
      - .actual_access:  read_only
        .address_space:  global
        .offset:         56
        .size:           8
        .value_kind:     global_buffer
      - .actual_access:  read_only
        .address_space:  global
        .offset:         64
        .size:           8
        .value_kind:     global_buffer
      - .actual_access:  read_only
        .address_space:  global
        .offset:         72
        .size:           8
        .value_kind:     global_buffer
      - .actual_access:  read_only
        .address_space:  global
        .offset:         80
        .size:           8
        .value_kind:     global_buffer
      - .offset:         88
        .size:           16
        .value_kind:     by_value
      - .address_space:  global
        .offset:         104
        .size:           8
        .value_kind:     global_buffer
      - .offset:         112
        .size:           4
        .value_kind:     by_value
      - .offset:         116
        .size:           1
        .value_kind:     by_value
    .group_segment_fixed_size: 0
    .kernarg_segment_align: 8
    .kernarg_segment_size: 120
    .language:       OpenCL C
    .language_version:
      - 2
      - 0
    .max_flat_workgroup_size: 128
    .name:           _ZN9rocsparseL18bsrxmvn_4x4_kernelILj128ELj4E21rocsparse_complex_numIdEllS1_IfES2_S2_EEvT3_20rocsparse_direction_NS_24const_host_device_scalarIT1_EES4_PKS4_PKT2_SD_SA_PKT4_PKT5_S8_PT6_21rocsparse_index_base_b
    .private_segment_fixed_size: 0
    .sgpr_count:     14
    .sgpr_spill_count: 0
    .symbol:         _ZN9rocsparseL18bsrxmvn_4x4_kernelILj128ELj4E21rocsparse_complex_numIdEllS1_IfES2_S2_EEvT3_20rocsparse_direction_NS_24const_host_device_scalarIT1_EES4_PKS4_PKT2_SD_SA_PKT4_PKT5_S8_PT6_21rocsparse_index_base_b.kd
    .uniform_work_group_size: 1
    .uses_dynamic_stack: false
    .vgpr_count:     152
    .vgpr_spill_count: 0
    .wavefront_size: 32
  - .args:
      - .offset:         0
        .size:           8
        .value_kind:     by_value
      - .offset:         8
        .size:           4
        .value_kind:     by_value
      - .offset:         16
        .size:           16
        .value_kind:     by_value
      - .offset:         32
        .size:           8
        .value_kind:     by_value
      - .actual_access:  read_only
        .address_space:  global
        .offset:         40
        .size:           8
        .value_kind:     global_buffer
      - .actual_access:  read_only
        .address_space:  global
        .offset:         48
        .size:           8
        .value_kind:     global_buffer
      - .actual_access:  read_only
        .address_space:  global
        .offset:         56
        .size:           8
        .value_kind:     global_buffer
      - .actual_access:  read_only
        .address_space:  global
        .offset:         64
        .size:           8
        .value_kind:     global_buffer
      - .actual_access:  read_only
        .address_space:  global
        .offset:         72
        .size:           8
        .value_kind:     global_buffer
      - .actual_access:  read_only
        .address_space:  global
        .offset:         80
        .size:           8
        .value_kind:     global_buffer
      - .offset:         88
        .size:           16
        .value_kind:     by_value
      - .address_space:  global
        .offset:         104
        .size:           8
        .value_kind:     global_buffer
      - .offset:         112
        .size:           4
        .value_kind:     by_value
      - .offset:         116
        .size:           1
        .value_kind:     by_value
    .group_segment_fixed_size: 0
    .kernarg_segment_align: 8
    .kernarg_segment_size: 120
    .language:       OpenCL C
    .language_version:
      - 2
      - 0
    .max_flat_workgroup_size: 128
    .name:           _ZN9rocsparseL18bsrxmvn_4x4_kernelILj128ELj8E21rocsparse_complex_numIdEllS1_IfES2_S2_EEvT3_20rocsparse_direction_NS_24const_host_device_scalarIT1_EES4_PKS4_PKT2_SD_SA_PKT4_PKT5_S8_PT6_21rocsparse_index_base_b
    .private_segment_fixed_size: 0
    .sgpr_count:     14
    .sgpr_spill_count: 0
    .symbol:         _ZN9rocsparseL18bsrxmvn_4x4_kernelILj128ELj8E21rocsparse_complex_numIdEllS1_IfES2_S2_EEvT3_20rocsparse_direction_NS_24const_host_device_scalarIT1_EES4_PKS4_PKT2_SD_SA_PKT4_PKT5_S8_PT6_21rocsparse_index_base_b.kd
    .uniform_work_group_size: 1
    .uses_dynamic_stack: false
    .vgpr_count:     152
    .vgpr_spill_count: 0
    .wavefront_size: 32
  - .args:
      - .offset:         0
        .size:           8
        .value_kind:     by_value
      - .offset:         8
        .size:           4
        .value_kind:     by_value
      - .offset:         16
        .size:           16
        .value_kind:     by_value
      - .offset:         32
        .size:           8
        .value_kind:     by_value
      - .actual_access:  read_only
        .address_space:  global
        .offset:         40
        .size:           8
        .value_kind:     global_buffer
      - .actual_access:  read_only
        .address_space:  global
        .offset:         48
        .size:           8
        .value_kind:     global_buffer
      - .actual_access:  read_only
        .address_space:  global
        .offset:         56
        .size:           8
        .value_kind:     global_buffer
      - .actual_access:  read_only
        .address_space:  global
        .offset:         64
        .size:           8
        .value_kind:     global_buffer
      - .actual_access:  read_only
        .address_space:  global
        .offset:         72
        .size:           8
        .value_kind:     global_buffer
      - .actual_access:  read_only
        .address_space:  global
        .offset:         80
        .size:           8
        .value_kind:     global_buffer
      - .offset:         88
        .size:           16
        .value_kind:     by_value
      - .address_space:  global
        .offset:         104
        .size:           8
        .value_kind:     global_buffer
      - .offset:         112
        .size:           4
        .value_kind:     by_value
      - .offset:         116
        .size:           1
        .value_kind:     by_value
    .group_segment_fixed_size: 0
    .kernarg_segment_align: 8
    .kernarg_segment_size: 120
    .language:       OpenCL C
    .language_version:
      - 2
      - 0
    .max_flat_workgroup_size: 128
    .name:           _ZN9rocsparseL18bsrxmvn_4x4_kernelILj128ELj16E21rocsparse_complex_numIdEllS1_IfES2_S2_EEvT3_20rocsparse_direction_NS_24const_host_device_scalarIT1_EES4_PKS4_PKT2_SD_SA_PKT4_PKT5_S8_PT6_21rocsparse_index_base_b
    .private_segment_fixed_size: 0
    .sgpr_count:     14
    .sgpr_spill_count: 0
    .symbol:         _ZN9rocsparseL18bsrxmvn_4x4_kernelILj128ELj16E21rocsparse_complex_numIdEllS1_IfES2_S2_EEvT3_20rocsparse_direction_NS_24const_host_device_scalarIT1_EES4_PKS4_PKT2_SD_SA_PKT4_PKT5_S8_PT6_21rocsparse_index_base_b.kd
    .uniform_work_group_size: 1
    .uses_dynamic_stack: false
    .vgpr_count:     152
    .vgpr_spill_count: 0
    .wavefront_size: 32
  - .args:
      - .offset:         0
        .size:           8
        .value_kind:     by_value
      - .offset:         8
        .size:           4
        .value_kind:     by_value
      - .offset:         16
        .size:           16
        .value_kind:     by_value
      - .offset:         32
        .size:           8
        .value_kind:     by_value
      - .actual_access:  read_only
        .address_space:  global
        .offset:         40
        .size:           8
        .value_kind:     global_buffer
      - .actual_access:  read_only
        .address_space:  global
        .offset:         48
        .size:           8
        .value_kind:     global_buffer
      - .actual_access:  read_only
        .address_space:  global
        .offset:         56
        .size:           8
        .value_kind:     global_buffer
      - .actual_access:  read_only
        .address_space:  global
        .offset:         64
        .size:           8
        .value_kind:     global_buffer
      - .actual_access:  read_only
        .address_space:  global
        .offset:         72
        .size:           8
        .value_kind:     global_buffer
      - .actual_access:  read_only
        .address_space:  global
        .offset:         80
        .size:           8
        .value_kind:     global_buffer
      - .offset:         88
        .size:           16
        .value_kind:     by_value
      - .address_space:  global
        .offset:         104
        .size:           8
        .value_kind:     global_buffer
      - .offset:         112
        .size:           4
        .value_kind:     by_value
      - .offset:         116
        .size:           1
        .value_kind:     by_value
    .group_segment_fixed_size: 0
    .kernarg_segment_align: 8
    .kernarg_segment_size: 120
    .language:       OpenCL C
    .language_version:
      - 2
      - 0
    .max_flat_workgroup_size: 128
    .name:           _ZN9rocsparseL18bsrxmvn_4x4_kernelILj128ELj32E21rocsparse_complex_numIdEllS1_IfES2_S2_EEvT3_20rocsparse_direction_NS_24const_host_device_scalarIT1_EES4_PKS4_PKT2_SD_SA_PKT4_PKT5_S8_PT6_21rocsparse_index_base_b
    .private_segment_fixed_size: 0
    .sgpr_count:     14
    .sgpr_spill_count: 0
    .symbol:         _ZN9rocsparseL18bsrxmvn_4x4_kernelILj128ELj32E21rocsparse_complex_numIdEllS1_IfES2_S2_EEvT3_20rocsparse_direction_NS_24const_host_device_scalarIT1_EES4_PKS4_PKT2_SD_SA_PKT4_PKT5_S8_PT6_21rocsparse_index_base_b.kd
    .uniform_work_group_size: 1
    .uses_dynamic_stack: false
    .vgpr_count:     152
    .vgpr_spill_count: 0
    .wavefront_size: 32
  - .args:
      - .offset:         0
        .size:           8
        .value_kind:     by_value
      - .offset:         8
        .size:           4
        .value_kind:     by_value
      - .offset:         16
        .size:           16
        .value_kind:     by_value
      - .offset:         32
        .size:           8
        .value_kind:     by_value
      - .actual_access:  read_only
        .address_space:  global
        .offset:         40
        .size:           8
        .value_kind:     global_buffer
      - .actual_access:  read_only
        .address_space:  global
        .offset:         48
        .size:           8
        .value_kind:     global_buffer
      - .actual_access:  read_only
        .address_space:  global
        .offset:         56
        .size:           8
        .value_kind:     global_buffer
      - .actual_access:  read_only
        .address_space:  global
        .offset:         64
        .size:           8
        .value_kind:     global_buffer
      - .actual_access:  read_only
        .address_space:  global
        .offset:         72
        .size:           8
        .value_kind:     global_buffer
      - .actual_access:  read_only
        .address_space:  global
        .offset:         80
        .size:           8
        .value_kind:     global_buffer
      - .offset:         88
        .size:           16
        .value_kind:     by_value
      - .address_space:  global
        .offset:         104
        .size:           8
        .value_kind:     global_buffer
      - .offset:         112
        .size:           4
        .value_kind:     by_value
      - .offset:         116
        .size:           1
        .value_kind:     by_value
    .group_segment_fixed_size: 0
    .kernarg_segment_align: 8
    .kernarg_segment_size: 120
    .language:       OpenCL C
    .language_version:
      - 2
      - 0
    .max_flat_workgroup_size: 128
    .name:           _ZN9rocsparseL18bsrxmvn_4x4_kernelILj128ELj64E21rocsparse_complex_numIdEllS1_IfES2_S2_EEvT3_20rocsparse_direction_NS_24const_host_device_scalarIT1_EES4_PKS4_PKT2_SD_SA_PKT4_PKT5_S8_PT6_21rocsparse_index_base_b
    .private_segment_fixed_size: 0
    .sgpr_count:     14
    .sgpr_spill_count: 0
    .symbol:         _ZN9rocsparseL18bsrxmvn_4x4_kernelILj128ELj64E21rocsparse_complex_numIdEllS1_IfES2_S2_EEvT3_20rocsparse_direction_NS_24const_host_device_scalarIT1_EES4_PKS4_PKT2_SD_SA_PKT4_PKT5_S8_PT6_21rocsparse_index_base_b.kd
    .uniform_work_group_size: 1
    .uses_dynamic_stack: false
    .vgpr_count:     152
    .vgpr_spill_count: 0
    .wavefront_size: 32
amdhsa.target:   amdgcn-amd-amdhsa--gfx1250
amdhsa.version:
  - 1
  - 2
...

	.end_amdgpu_metadata
